;; amdgpu-corpus repo=ggml-org/llama.cpp kind=compiled arch=gfx1250 opt=O3
	.amdgcn_target "amdgcn-amd-amdhsa--gfx1250"
	.amdhsa_code_object_version 6
	.section	.text._ZL15flash_attn_tileILi128ELi128ELi8ELi8ELb0EEvPKcS1_S1_S1_S1_PKiPfP15HIP_vector_typeIfLj2EEffffjfiS5_IjLj3EEiiiiiiiiiiiliiliiiiil,"axG",@progbits,_ZL15flash_attn_tileILi128ELi128ELi8ELi8ELb0EEvPKcS1_S1_S1_S1_PKiPfP15HIP_vector_typeIfLj2EEffffjfiS5_IjLj3EEiiiiiiiiiiiliiliiiiil,comdat
	.globl	_ZL15flash_attn_tileILi128ELi128ELi8ELi8ELb0EEvPKcS1_S1_S1_S1_PKiPfP15HIP_vector_typeIfLj2EEffffjfiS5_IjLj3EEiiiiiiiiiiiliiliiiiil ; -- Begin function _ZL15flash_attn_tileILi128ELi128ELi8ELi8ELb0EEvPKcS1_S1_S1_S1_PKiPfP15HIP_vector_typeIfLj2EEffffjfiS5_IjLj3EEiiiiiiiiiiiliiliiiiil
	.p2align	8
	.type	_ZL15flash_attn_tileILi128ELi128ELi8ELi8ELb0EEvPKcS1_S1_S1_S1_PKiPfP15HIP_vector_typeIfLj2EEffffjfiS5_IjLj3EEiiiiiiiiiiiliiliiiiil,@function
_ZL15flash_attn_tileILi128ELi128ELi8ELi8ELb0EEvPKcS1_S1_S1_S1_PKiPfP15HIP_vector_typeIfLj2EEffffjfiS5_IjLj3EEiiiiiiiiiiiliiliiiiil: ; @_ZL15flash_attn_tileILi128ELi128ELi8ELi8ELb0EEvPKcS1_S1_S1_S1_PKiPfP15HIP_vector_typeIfLj2EEffffjfiS5_IjLj3EEiiiiiiiiiiiliiliiiiil
; %bb.0:
	s_clause 0x1
	s_load_b128 s[28:31], s[0:1], 0x5c
	s_load_b64 s[38:39], s[0:1], 0x80
	s_bfe_u32 s5, ttmp6, 0x40014
	s_lshr_b32 s4, ttmp7, 16
	s_add_co_i32 s5, s5, 1
	s_bfe_u32 s6, ttmp6, 0x40008
	s_mul_i32 s5, s4, s5
	s_getreg_b32 s33, hwreg(HW_REG_IB_STS2, 6, 4)
	s_add_co_i32 s6, s6, s5
	s_clause 0x1
	s_load_b512 s[12:27], s[0:1], 0x0
	s_load_b64 s[8:9], s[0:1], 0xb8
	s_mov_b64 s[40:41], 0
	s_wait_kmcnt 0x0
	s_ashr_i32 s2, s31, 31
	s_delay_alu instid0(SALU_CYCLE_1) | instskip(NEXT) | instid1(SALU_CYCLE_1)
	s_lshr_b32 s2, s2, 29
	s_add_co_i32 s2, s31, s2
	s_delay_alu instid0(SALU_CYCLE_1) | instskip(NEXT) | instid1(SALU_CYCLE_1)
	s_ashr_i32 s2, s2, 3
	s_cvt_f32_u32 s3, s2
	s_sub_co_i32 s7, 0, s2
	s_delay_alu instid0(SALU_CYCLE_2) | instskip(SKIP_1) | instid1(TRANS32_DEP_1)
	v_rcp_iflag_f32_e32 v1, s3
	v_nop
	v_readfirstlane_b32 s3, v1
	s_mul_f32 s3, s3, 0x4f7ffffe
	s_delay_alu instid0(SALU_CYCLE_3) | instskip(NEXT) | instid1(SALU_CYCLE_3)
	s_cvt_u32_f32 s3, s3
	s_mul_i32 s7, s7, s3
	s_delay_alu instid0(SALU_CYCLE_1) | instskip(NEXT) | instid1(SALU_CYCLE_1)
	s_mul_hi_u32 s7, s3, s7
	s_add_co_i32 s3, s3, s7
	s_cmp_eq_u32 s33, 0
	s_cselect_b32 s4, s4, s6
	s_delay_alu instid0(SALU_CYCLE_1) | instskip(NEXT) | instid1(SALU_CYCLE_1)
	s_mul_hi_u32 s3, s4, s3
	s_mul_i32 s5, s3, s2
	s_add_co_i32 s6, s3, 1
	s_sub_co_i32 s5, s4, s5
	s_delay_alu instid0(SALU_CYCLE_1)
	s_sub_co_i32 s7, s5, s2
	s_cmp_ge_u32 s5, s2
	s_cselect_b32 s3, s6, s3
	s_cselect_b32 s5, s7, s5
	s_add_co_i32 s6, s3, 1
	s_cmp_ge_u32 s5, s2
	s_cselect_b32 s34, s6, s3
	s_abs_i32 s2, s39
	s_abs_i32 s7, s31
	s_cvt_f32_u32 s3, s2
	s_sub_co_i32 s5, 0, s2
	s_lshl_b32 s4, s4, 3
	s_mul_i32 s6, s34, s31
	v_rcp_iflag_f32_e32 v1, s3
	s_sub_co_i32 s36, s4, s6
	s_xor_b32 s4, s31, s39
	s_delay_alu instid0(SALU_CYCLE_1) | instskip(SKIP_1) | instid1(TRANS32_DEP_1)
	s_ashr_i32 s4, s4, 31
	v_nop
	v_readfirstlane_b32 s3, v1
	s_mul_f32 s3, s3, 0x4f7ffffe
	s_delay_alu instid0(SALU_CYCLE_3) | instskip(NEXT) | instid1(SALU_CYCLE_3)
	s_cvt_u32_f32 s3, s3
	s_mul_i32 s5, s5, s3
	s_delay_alu instid0(SALU_CYCLE_1) | instskip(NEXT) | instid1(SALU_CYCLE_1)
	s_mul_hi_u32 s5, s3, s5
	s_add_co_i32 s3, s3, s5
	s_delay_alu instid0(SALU_CYCLE_1) | instskip(NEXT) | instid1(SALU_CYCLE_1)
	s_mul_hi_u32 s3, s7, s3
	s_mul_i32 s5, s3, s2
	s_add_co_i32 s6, s3, 1
	s_sub_co_i32 s5, s7, s5
	s_delay_alu instid0(SALU_CYCLE_1)
	s_sub_co_i32 s7, s5, s2
	s_cmp_ge_u32 s5, s2
	s_cselect_b32 s3, s6, s3
	s_cselect_b32 s5, s7, s5
	s_add_co_i32 s6, s3, 1
	s_cmp_ge_u32 s5, s2
	s_cselect_b32 s2, s6, s3
	s_mov_b32 s3, 0
	s_xor_b32 s2, s2, s4
	s_delay_alu instid0(SALU_CYCLE_1) | instskip(NEXT) | instid1(SALU_CYCLE_1)
	s_sub_co_i32 s11, s2, s4
	s_abs_i32 s10, s11
	s_cmp_eq_u64 s[18:19], 0
	s_cvt_f32_u32 s2, s10
	s_delay_alu instid0(SALU_CYCLE_3) | instskip(SKIP_1) | instid1(TRANS32_DEP_1)
	v_rcp_iflag_f32_e32 v1, s2
	v_nop
	v_readfirstlane_b32 s2, v1
	s_cbranch_scc1 .LBB0_2
; %bb.1:
	s_abs_i32 s6, s8
	s_abs_i32 s7, s34
	s_cvt_f32_u32 s4, s6
	s_sub_co_i32 s5, 0, s6
	s_delay_alu instid0(SALU_CYCLE_2) | instskip(SKIP_1) | instid1(TRANS32_DEP_1)
	v_rcp_iflag_f32_e32 v1, s4
	v_nop
	v_readfirstlane_b32 s4, v1
	s_mul_f32 s4, s4, 0x4f7ffffe
	s_delay_alu instid0(SALU_CYCLE_3) | instskip(NEXT) | instid1(SALU_CYCLE_3)
	s_cvt_u32_f32 s4, s4
	s_mul_i32 s5, s5, s4
	s_delay_alu instid0(SALU_CYCLE_1) | instskip(NEXT) | instid1(SALU_CYCLE_1)
	s_mul_hi_u32 s5, s4, s5
	s_add_co_i32 s4, s4, s5
	s_delay_alu instid0(SALU_CYCLE_1) | instskip(SKIP_2) | instid1(SALU_CYCLE_1)
	s_mul_hi_u32 s8, s7, s4
	s_load_b64 s[4:5], s[0:1], 0xc8
	s_mul_i32 s8, s8, s6
	s_sub_co_i32 s7, s7, s8
	s_ashr_i32 s8, s34, 31
	s_sub_co_i32 s35, s7, s6
	s_cmp_ge_u32 s7, s6
	s_cselect_b32 s7, s35, s7
	s_delay_alu instid0(SALU_CYCLE_1) | instskip(SKIP_2) | instid1(SALU_CYCLE_1)
	s_sub_co_i32 s35, s7, s6
	s_cmp_ge_u32 s7, s6
	s_cselect_b32 s6, s35, s7
	s_xor_b32 s6, s6, s8
	s_delay_alu instid0(SALU_CYCLE_1) | instskip(NEXT) | instid1(SALU_CYCLE_1)
	s_sub_co_i32 s6, s6, s8
	s_ashr_i32 s7, s6, 31
	s_wait_kmcnt 0x0
	s_mul_u64 s[4:5], s[4:5], s[6:7]
	s_delay_alu instid0(SALU_CYCLE_1)
	s_add_nc_u64 s[40:41], s[18:19], s[4:5]
.LBB0_2:
	s_bfe_u32 s4, ttmp6, 0x4000c
	s_and_b32 s5, ttmp6, 15
	s_add_co_i32 s4, s4, 1
	v_bfe_u32 v1, v0, 10, 10
	s_mul_i32 s4, ttmp9, s4
	s_load_b96 s[44:46], s[0:1], 0x70
	s_add_co_i32 s5, s5, s4
	s_cmp_eq_u32 s33, 0
	v_and_b32_e32 v53, 0x3ff, v0
	s_cselect_b32 s8, ttmp9, s5
	v_mov_b32_e32 v5, 0
	v_lshl_add_u32 v54, s8, 3, v1
	s_delay_alu instid0(VALU_DEP_2) | instskip(NEXT) | instid1(VALU_DEP_2)
	v_mov_b32_e32 v3, v5
	v_mul_hi_u32 v2, s28, v54
	s_wait_kmcnt 0x0
	s_mul_i32 s6, s36, s45
	s_ashr_i32 s5, s45, 31
	s_delay_alu instid0(VALU_DEP_1)
	v_add_nc_u32_e32 v2, v54, v2
	s_mov_b32 s4, s45
	s_ashr_i32 s45, s44, 31
	s_ashr_i32 s7, s6, 31
	s_lshr_b64 s[18:19], s[44:45], 2
	v_lshrrev_b32_e32 v2, s29, v2
	s_delay_alu instid0(VALU_DEP_1) | instskip(NEXT) | instid1(VALU_DEP_1)
	v_mul_lo_u32 v2, v2, s30
	v_dual_sub_nc_u32 v4, v54, v2 :: v_dual_lshlrev_b32 v2, 4, v53
	s_delay_alu instid0(VALU_DEP_1) | instskip(SKIP_1) | instid1(SALU_CYCLE_1)
	v_mul_u64_e32 v[6:7], s[18:19], v[4:5]
	s_mul_i32 s18, s34, s46
	s_ashr_i32 s19, s18, 31
	s_delay_alu instid0(SALU_CYCLE_1) | instskip(SKIP_3) | instid1(VALU_DEP_1)
	s_add_nc_u64 s[12:13], s[12:13], s[18:19]
	s_and_b64 s[18:19], s[4:5], -4
	s_add_nc_u64 s[6:7], s[12:13], s[6:7]
	s_and_b64 s[12:13], s[4:5], 0x3ffffffffffffffc
	v_lshl_add_u64 v[6:7], v[6:7], 2, s[6:7]
	s_lshr_b64 s[6:7], s[4:5], 2
	s_lshr_b32 s4, s5, 2
	s_cmp_eq_u64 s[22:23], 0
	s_delay_alu instid0(VALU_DEP_1) | instskip(NEXT) | instid1(VALU_DEP_1)
	v_add_nc_u64_e32 v[22:23], v[6:7], v[2:3]
	v_add_nc_u64_e32 v[26:27], s[18:19], v[22:23]
	v_lshl_add_u64 v[10:11], s[6:7], 3, v[22:23]
	v_lshl_add_u64 v[24:25], s[12:13], 2, v[22:23]
	global_load_b128 v[6:9], v[22:23], off
	v_mad_nc_u64_u32 v[38:39], s6, 20, v[22:23]
	v_mad_nc_u64_u32 v[40:41], s6, 24, v[22:23]
	s_clause 0x2
	global_load_b128 v[10:13], v[10:11], off
	global_load_b128 v[14:17], v[24:25], off
	;; [unrolled: 1-line block ×3, first 2 shown]
	s_wait_xcnt 0x1
	v_mad_nc_u64_u32 v[24:25], s6, 12, v[22:23]
	v_mad_nc_u64_u32 v[42:43], s6, 28, v[22:23]
	v_mad_u32 v39, s4, 20, v39
	v_mad_u32 v41, s4, 24, v41
	s_delay_alu instid0(VALU_DEP_4) | instskip(NEXT) | instid1(VALU_DEP_4)
	v_mad_u32 v25, s4, 12, v25
	v_mad_u32 v43, s4, 28, v43
	s_load_b32 s4, s[0:1], 0x40
	s_clause 0x3
	global_load_b128 v[22:25], v[24:25], off
	global_load_b128 v[26:29], v[38:39], off
	;; [unrolled: 1-line block ×4, first 2 shown]
	s_wait_loadcnt 0x7
	s_wait_kmcnt 0x0
	v_fma_mixlo_f16 v3, s4, v7, 0
	v_fma_mixlo_f16 v5, s4, v6, 0
	v_lshlrev_b32_e32 v55, 11, v1
	v_fma_mixlo_f16 v6, s4, v9, 0
	v_lshlrev_b32_e32 v0, 3, v53
	;; [unrolled: 2-line block ×3, first 2 shown]
	v_and_b32_e32 v5, 0xffff, v5
	s_wait_loadcnt 0x6
	v_fma_mixlo_f16 v8, s4, v10, 0
	v_fma_mixlo_f16 v9, s4, v11, 0
	v_fma_mixlo_f16 v10, s4, v12, 0
	v_fma_mixlo_f16 v11, s4, v13, 0
	s_wait_loadcnt 0x5
	v_fma_mixlo_f16 v12, s4, v14, 0
	v_fma_mixlo_f16 v13, s4, v15, 0
	v_fma_mixlo_f16 v14, s4, v16, 0
	v_fma_mixlo_f16 v15, s4, v17, 0
	;; [unrolled: 5-line block ×3, first 2 shown]
	s_wait_xcnt 0x2
	v_dual_lshlrev_b32 v6, 16, v6 :: v_dual_add_nc_u32 v38, v55, v0
	v_and_b32_e32 v7, 0xffff, v7
	v_or_b32_e32 v3, v3, v5
	v_lshlrev_b32_e32 v5, 16, v9
	v_and_b32_e32 v8, 0xffff, v8
	v_dual_lshlrev_b32 v9, 16, v11 :: v_dual_lshlrev_b32 v11, 16, v13
	v_lshlrev_b32_e32 v13, 16, v15
	v_and_b32_e32 v12, 0xffff, v12
	v_and_b32_e32 v14, 0xffff, v14
	v_dual_lshlrev_b32 v15, 16, v17 :: v_dual_lshlrev_b32 v17, 16, v19
	v_and_b32_e32 v16, 0xffff, v16
	v_and_b32_e32 v18, 0xffff, v18
	v_or3_b32 v7, v6, v7, 0
	v_and_b32_e32 v10, 0xffff, v10
	v_or3_b32 v6, 0, 0, v3
	v_or_b32_e32 v3, v5, v8
	v_or_b32_e32 v5, v11, v12
	v_or3_b32 v11, v13, v14, 0
	v_or3_b32 v13, v17, v18, 0
	s_wait_loadcnt 0x2
	v_fma_mixlo_f16 v17, s4, v27, 0
	v_or_b32_e32 v12, v15, v16
	v_fma_mixlo_f16 v15, s4, v25, 0
	v_or3_b32 v9, v9, v10, 0
	v_fma_mixlo_f16 v16, s4, v26, 0
	v_fma_mixlo_f16 v14, s4, v24, 0
	;; [unrolled: 1-line block ×3, first 2 shown]
	v_lshlrev_b32_e32 v15, 16, v15
	v_or3_b32 v10, 0, 0, v5
	v_fma_mixlo_f16 v5, s4, v23, 0
	v_fma_mixlo_f16 v19, s4, v29, 0
	s_wait_loadcnt 0x1
	v_fma_mixlo_f16 v20, s4, v30, 0
	v_fma_mixlo_f16 v21, s4, v31, 0
	;; [unrolled: 1-line block ×3, first 2 shown]
	v_lshlrev_b32_e32 v5, 16, v5
	v_or3_b32 v8, 0, 0, v3
	v_fma_mixlo_f16 v3, s4, v22, 0
	s_wait_loadcnt 0x0
	v_fma_mixlo_f16 v24, s4, v34, 0
	v_fma_mixlo_f16 v25, s4, v35, 0
	;; [unrolled: 1-line block ×3, first 2 shown]
	v_lshlrev_b32_e32 v17, 16, v17
	v_and_b32_e32 v3, 0xffff, v3
	v_and_b32_e32 v16, 0xffff, v16
	v_fma_mixlo_f16 v22, s4, v32, 0
	v_fma_mixlo_f16 v26, s4, v36, 0
	v_dual_lshlrev_b32 v19, 16, v19 :: v_dual_lshlrev_b32 v21, 16, v21
	v_and_b32_e32 v18, 0xffff, v18
	v_and_b32_e32 v20, 0xffff, v20
	v_dual_lshlrev_b32 v23, 16, v23 :: v_dual_lshlrev_b32 v25, 16, v25
	v_and_b32_e32 v24, 0xffff, v24
	v_and_b32_e32 v14, 0xffff, v14
	v_or_b32_e32 v3, v5, v3
	v_dual_lshlrev_b32 v27, 16, v27 :: v_dual_bitop2_b32 v5, v17, v16 bitop3:0x54
	v_and_b32_e32 v22, 0xffff, v22
	v_and_b32_e32 v26, 0xffff, v26
	v_or3_b32 v17, v19, v18, 0
	v_or_b32_e32 v18, v21, v20
	v_or_b32_e32 v20, v25, v24
	v_or3_b32 v12, 0, 0, v12
	v_or3_b32 v15, v15, v14, 0
	;; [unrolled: 1-line block ×8, first 2 shown]
	ds_store_2addr_b64 v38, v[6:7], v[12:13] offset1:32
	ds_store_2addr_b64 v38, v[8:9], v[14:15] offset0:64 offset1:96
	ds_store_2addr_b64 v38, v[10:11], v[16:17] offset0:128 offset1:160
	;; [unrolled: 1-line block ×3, first 2 shown]
	s_wait_dscnt 0x0
	s_barrier_signal -1
	s_barrier_wait -1
	s_cbranch_scc1 .LBB0_4
; %bb.3:
	s_load_b32 s4, s[0:1], 0xd0
	s_wait_kmcnt 0x0
	s_mul_i32 s4, s4, s34
	s_delay_alu instid0(SALU_CYCLE_1)
	s_add_co_i32 s4, s4, s8
	s_load_b32 s38, s[22:23], s4 offset:0x0 scale_offset
.LBB0_4:
	s_wait_xcnt 0x0
	s_bfe_u32 s4, ttmp6, 0x40010
	s_and_b32 s5, ttmp7, 0xffff
	s_add_co_i32 s4, s4, 1
	s_bfe_u32 s6, ttmp6, 0x40004
	s_mul_i32 s4, s5, s4
	v_mbcnt_lo_u32_b32 v60, -1, 0
	s_add_co_i32 s6, s6, s4
	s_cmp_eq_u32 s33, 0
	s_mov_b32 s4, 0
	s_cselect_b32 s33, s5, s6
	s_delay_alu instid0(SALU_CYCLE_1)
	s_lshl_b32 s18, s33, 6
	s_wait_kmcnt 0x0
	s_cmp_lt_i32 s18, s38
	s_cbranch_scc1 .LBB0_7
; %bb.5:
	v_mbcnt_lo_u32_b32 v9, -1, 0
	s_delay_alu instid0(VALU_DEP_1)
	v_dual_mov_b32 v8, 32 :: v_dual_bitop2_b32 v61, 16, v9 bitop3:0x14
	v_xor_b32_e32 v59, 8, v9
	v_xor_b32_e32 v58, 4, v9
	;; [unrolled: 1-line block ×4, first 2 shown]
	v_lshlrev_b32_e32 v52, 2, v53
	s_and_not1_b32 vcc_lo, exec_lo, s4
	s_cbranch_vccz .LBB0_8
; %bb.6:
	v_dual_mov_b32 v88, 0 :: v_dual_mov_b32 v33, 0
	v_dual_mov_b32 v7, 0xfeffffff :: v_dual_mov_b32 v6, 0xfeffffff
	;; [unrolled: 1-line block ×16, first 2 shown]
	s_branch .LBB0_11
.LBB0_7:
                                        ; implicit-def: $vgpr9
                                        ; implicit-def: $vgpr8
                                        ; implicit-def: $vgpr61
                                        ; implicit-def: $vgpr59
                                        ; implicit-def: $vgpr58
                                        ; implicit-def: $vgpr57
                                        ; implicit-def: $vgpr56
	v_lshlrev_b32_e32 v52, 2, v53
.LBB0_8:
	s_clause 0x1
	s_load_b64 s[12:13], s[0:1], 0x8c
	s_load_b128 s[4:7], s[0:1], 0x98
	s_mul_f32 s2, s2, 0x4f7ffffe
	s_sub_co_i32 s8, 0, s10
	v_dual_lshrrev_b32 v3, 3, v53 :: v_dual_bitop2_b32 v6, 28, v52 bitop3:0x40
	s_delay_alu instid0(SALU_CYCLE_1)
	s_cvt_u32_f32 s19, s2
	v_lshrrev_b32_e32 v5, 4, v53
	s_abs_i32 s2, s36
	s_mov_b32 s23, s3
	s_mul_i32 s8, s8, s19
	v_lshlrev_b32_e32 v7, 2, v6
	s_mul_hi_u32 s8, s19, s8
	v_lshl_add_u32 v5, v1, 1, v5
	s_add_co_i32 s22, s19, s8
	s_ashr_i32 s19, s9, 1
	s_mul_u64 s[8:9], s[2:3], s[22:23]
	s_ashr_i32 s28, s36, 31
	s_mul_i32 s3, s9, s10
	s_ashr_i32 s11, s11, 31
	s_load_b64 s[42:43], s[0:1], 0xa8
	s_sub_co_i32 s2, s2, s3
	s_wait_kmcnt 0x0
	s_ashr_i32 s22, s6, 2
	s_ashr_i32 s35, s34, 31
	s_xor_b32 s8, s28, s11
	s_ashr_i32 s28, s12, 2
	s_add_co_i32 s3, s9, 1
	s_sub_co_i32 s6, s2, s10
	s_cmp_ge_u32 s2, s10
	v_mul_lo_u32 v10, s22, v5
	s_cselect_b32 s3, s3, s9
	v_lshl_add_u32 v3, v1, 2, v3
	s_cselect_b32 s2, s6, s2
	s_add_co_i32 s6, s3, 1
	s_cmp_ge_u32 s2, s10
	v_dual_mov_b32 v43, 0 :: v_dual_bitop2_b32 v8, 60, v52 bitop3:0x40
	s_cselect_b32 s2, s6, s3
	v_mul_lo_u32 v40, s28, v3
	s_xor_b32 s2, s2, s8
	v_mad_u32_u24 v3, 0x90, v3, v7
	s_sub_co_i32 s6, s2, s8
	v_dual_lshlrev_b32 v7, 2, v8 :: v_dual_ashrrev_i32 v11, 31, v10
	v_mad_u32 v65, v4, s19, v53
	v_lshl_add_u32 v4, s22, 4, v10
	s_mul_u64 s[2:3], s[4:5], s[34:35]
	s_mul_i32 s4, s6, s13
	s_add_nc_u64 s[2:3], s[14:15], s[2:3]
	s_ashr_i32 s5, s4, 31
	v_dual_mov_b32 v49, v43 :: v_dual_add_nc_u32 v62, 0x4000, v3
	v_dual_mov_b32 v74, v43 :: v_dual_add_nc_u32 v63, 0x5200, v3
	v_lshl_or_b32 v3, v5, 8, v7
	v_lshl_add_u32 v66, v1, 10, 0x6400
	v_ashrrev_i32_e32 v5, 31, v4
	s_mul_u64 s[8:9], s[42:43], s[34:35]
	s_add_nc_u64 s[42:43], s[2:3], s[4:5]
	s_mul_i32 s2, s6, s7
	v_lshl_add_u32 v44, s28, 5, v40
	v_or_b32_e32 v69, 0x4000, v0
	s_add_nc_u64 s[4:5], s[16:17], s[8:9]
	s_ashr_i32 s3, s2, 31
	v_add_nc_u32_e32 v70, v66, v2
	s_add_nc_u64 s[44:45], s[4:5], s[2:3]
	s_movk_i32 s2, 0x4000
	v_lshlrev_b64_e32 v[46:47], 2, v[10:11]
	v_lshlrev_b64_e32 v[50:51], 2, v[4:5]
	v_dual_mov_b32 v0, 0xfeffffff :: v_dual_ashrrev_i32 v41, 31, v40
	v_dual_ashrrev_i32 v45, 31, v44 :: v_dual_lshlrev_b32 v42, 2, v6
	v_mad_u32_u24 v64, 0x90, v53, s2
	v_dual_mov_b32 v76, v43 :: v_dual_add_nc_u32 v67, 0x4000, v3
	v_dual_mov_b32 v75, v43 :: v_dual_add_nc_u32 v68, 0x5000, v3
	v_dual_mov_b32 v77, v43 :: v_dual_bitop2_b32 v61, 16, v60 bitop3:0x14
	v_dual_mov_b32 v79, v43 :: v_dual_bitop2_b32 v59, 8, v60 bitop3:0x14
	;; [unrolled: 1-line block ×5, first 2 shown]
	v_dual_mov_b32 v83, v43 :: v_dual_lshlrev_b32 v48, 2, v8
	v_dual_mov_b32 v82, v43 :: v_dual_add_nc_u32 v71, 0x800, v69
	v_dual_mov_b32 v85, v43 :: v_dual_add_nc_u32 v72, 0x1000, v69
	;; [unrolled: 1-line block ×3, first 2 shown]
	v_dual_mov_b32 v1, 0xfeffffff :: v_dual_mov_b32 v2, 0xfeffffff
	v_dual_mov_b32 v3, 0xfeffffff :: v_dual_mov_b32 v4, 0xfeffffff
	;; [unrolled: 1-line block ×9, first 2 shown]
	v_mov_b32_e32 v88, v43
	s_ashr_i32 s29, s28, 31
	s_ashr_i32 s23, s22, 31
	s_add_nc_u64 s[46:47], s[0:1], 0xd0
.LBB0_9:                                ; =>This Inner Loop Header: Depth=1
	v_cmp_gt_i32_e32 vcc_lo, 32, v61
	v_dual_mov_b32 v21, 0 :: v_dual_mov_b32 v90, v0
	v_dual_mov_b32 v91, v1 :: v_dual_mov_b32 v92, v2
	v_cndmask_b32_e32 v0, v60, v61, vcc_lo
	v_cmp_gt_i32_e32 vcc_lo, 32, v59
	v_add_nc_u32_e32 v8, s18, v65
	s_ashr_i32 s19, s18, 31
	v_dual_mov_b32 v93, v3 :: v_dual_mov_b32 v94, v4
	v_cndmask_b32_e32 v1, v60, v59, vcc_lo
	v_cmp_gt_i32_e32 vcc_lo, 32, v58
	s_mul_u64 s[2:3], s[18:19], s[28:29]
	s_mul_u64 s[4:5], s[18:19], s[22:23]
	s_lshl_b64 s[2:3], s[2:3], 2
	v_dual_cndmask_b32 v2, v60, v58 :: v_dual_lshlrev_b32 v19, 2, v1
	v_cmp_gt_i32_e32 vcc_lo, 32, v57
	s_add_nc_u64 s[2:3], s[42:43], s[2:3]
	v_lshlrev_b32_e32 v20, 2, v0
	v_lshl_add_u64 v[0:1], v[40:41], 2, s[2:3]
	s_lshl_b64 s[4:5], s[4:5], 2
	v_cndmask_b32_e32 v3, v60, v57, vcc_lo
	v_cmp_gt_i32_e32 vcc_lo, 32, v56
	s_add_nc_u64 s[4:5], s[44:45], s[4:5]
	v_dual_mov_b32 v95, v5 :: v_dual_mov_b32 v96, v6
	v_add_nc_u64_e32 v[10:11], s[4:5], v[46:47]
	v_dual_cndmask_b32 v4, v60, v56, vcc_lo :: v_dual_lshlrev_b32 v18, 2, v2
	v_lshlrev_b32_e32 v17, 2, v3
	v_lshl_add_u64 v[2:3], v[44:45], 2, s[2:3]
	v_add_nc_u64_e32 v[12:13], s[4:5], v[50:51]
	s_delay_alu instid0(VALU_DEP_4)
	v_lshlrev_b32_e32 v16, 2, v4
	v_add_nc_u64_e32 v[4:5], v[0:1], v[42:43]
	v_dual_mov_b32 v97, v7 :: v_dual_mov_b32 v22, 0
	v_add_nc_u64_e32 v[6:7], v[2:3], v[42:43]
	v_add_nc_u64_e32 v[0:1], v[10:11], v[48:49]
	v_add_nc_u64_e32 v[2:3], v[12:13], v[48:49]
	s_clause 0x1
	global_load_b128 v[10:13], v[4:5], off
	global_load_b128 v[104:107], v[6:7], off
	v_dual_mov_b32 v23, 0 :: v_dual_mov_b32 v24, 0
	v_dual_mov_b32 v25, 0 :: v_dual_mov_b32 v26, 0
	;; [unrolled: 1-line block ×7, first 2 shown]
	s_wait_loadcnt 0x1
	ds_store_b128 v62, v[10:13]
	s_wait_loadcnt 0x0
	ds_store_b128 v63, v[104:107]
	s_wait_dscnt 0x0
	s_barrier_signal -1
	s_barrier_wait -1
	ds_load_b128 v[10:13], v64
	ds_load_b128 v[104:107], v55
	ds_load_b128 v[108:111], v55 offset:256
	ds_load_b128 v[112:115], v55 offset:512
	;; [unrolled: 1-line block ×8, first 2 shown]
	s_wait_dscnt 0x8
	;;#ASMSTART
	v_dot2_f32_f16 v21, v10, v104, v21
	;;#ASMEND
	;;#ASMSTART
	v_dot2_f32_f16 v21, v11, v105, v21
	;;#ASMEND
	;;#ASMSTART
	v_dot2_f32_f16 v21, v12, v106, v21
	;;#ASMEND
	;;#ASMSTART
	v_dot2_f32_f16 v21, v13, v107, v21
	;;#ASMEND
	s_wait_dscnt 0x7
	;;#ASMSTART
	v_dot2_f32_f16 v22, v10, v108, v22
	;;#ASMEND
	;;#ASMSTART
	v_dot2_f32_f16 v22, v11, v109, v22
	;;#ASMEND
	;;#ASMSTART
	v_dot2_f32_f16 v22, v12, v110, v22
	;;#ASMEND
	;;#ASMSTART
	v_dot2_f32_f16 v22, v13, v111, v22
	;;#ASMEND
	;; [unrolled: 13-line block ×8, first 2 shown]
	;;#ASMSTART
	v_dot2_f32_f16 v29, v120, v104, v29
	;;#ASMEND
	;;#ASMSTART
	v_dot2_f32_f16 v29, v121, v105, v29
	;;#ASMEND
	;; [unrolled: 3-line block ×32, first 2 shown]
	ds_load_b128 v[10:13], v64 offset:16
	ds_load_b128 v[104:107], v55 offset:16
	;; [unrolled: 1-line block ×10, first 2 shown]
	s_wait_dscnt 0x8
	;;#ASMSTART
	v_dot2_f32_f16 v21, v10, v104, v21
	;;#ASMEND
	;;#ASMSTART
	v_dot2_f32_f16 v21, v11, v105, v21
	;;#ASMEND
	;;#ASMSTART
	v_dot2_f32_f16 v21, v12, v106, v21
	;;#ASMEND
	;;#ASMSTART
	v_dot2_f32_f16 v21, v13, v107, v21
	;;#ASMEND
	s_wait_dscnt 0x7
	;;#ASMSTART
	v_dot2_f32_f16 v22, v10, v108, v22
	;;#ASMEND
	;;#ASMSTART
	v_dot2_f32_f16 v22, v11, v109, v22
	;;#ASMEND
	;;#ASMSTART
	v_dot2_f32_f16 v22, v12, v110, v22
	;;#ASMEND
	;;#ASMSTART
	v_dot2_f32_f16 v22, v13, v111, v22
	;;#ASMEND
	s_wait_dscnt 0x6
	;;#ASMSTART
	v_dot2_f32_f16 v23, v10, v112, v23
	;;#ASMEND
	;;#ASMSTART
	v_dot2_f32_f16 v23, v11, v113, v23
	;;#ASMEND
	;;#ASMSTART
	v_dot2_f32_f16 v23, v12, v114, v23
	;;#ASMEND
	;;#ASMSTART
	v_dot2_f32_f16 v23, v13, v115, v23
	;;#ASMEND
	s_wait_dscnt 0x5
	;;#ASMSTART
	v_dot2_f32_f16 v24, v10, v116, v24
	;;#ASMEND
	;;#ASMSTART
	v_dot2_f32_f16 v24, v11, v117, v24
	;;#ASMEND
	;;#ASMSTART
	v_dot2_f32_f16 v24, v12, v118, v24
	;;#ASMEND
	;;#ASMSTART
	v_dot2_f32_f16 v24, v13, v119, v24
	;;#ASMEND
	s_wait_dscnt 0x3
	;;#ASMSTART
	v_dot2_f32_f16 v25, v10, v124, v25
	;;#ASMEND
	;;#ASMSTART
	v_dot2_f32_f16 v25, v11, v125, v25
	;;#ASMEND
	;;#ASMSTART
	v_dot2_f32_f16 v25, v12, v126, v25
	;;#ASMEND
	;;#ASMSTART
	v_dot2_f32_f16 v25, v13, v127, v25
	;;#ASMEND
	s_wait_dscnt 0x2
	;;#ASMSTART
	v_dot2_f32_f16 v26, v10, v128, v26
	;;#ASMEND
	;;#ASMSTART
	v_dot2_f32_f16 v26, v11, v129, v26
	;;#ASMEND
	;;#ASMSTART
	v_dot2_f32_f16 v26, v12, v130, v26
	;;#ASMEND
	;;#ASMSTART
	v_dot2_f32_f16 v26, v13, v131, v26
	;;#ASMEND
	s_wait_dscnt 0x1
	;;#ASMSTART
	v_dot2_f32_f16 v27, v10, v132, v27
	;;#ASMEND
	;;#ASMSTART
	v_dot2_f32_f16 v27, v11, v133, v27
	;;#ASMEND
	;;#ASMSTART
	v_dot2_f32_f16 v27, v12, v134, v27
	;;#ASMEND
	;;#ASMSTART
	v_dot2_f32_f16 v27, v13, v135, v27
	;;#ASMEND
	s_wait_dscnt 0x0
	;;#ASMSTART
	v_dot2_f32_f16 v28, v10, v136, v28
	;;#ASMEND
	;;#ASMSTART
	v_dot2_f32_f16 v28, v11, v137, v28
	;;#ASMEND
	;;#ASMSTART
	v_dot2_f32_f16 v28, v12, v138, v28
	;;#ASMEND
	;;#ASMSTART
	v_dot2_f32_f16 v28, v13, v139, v28
	;;#ASMEND
	;;#ASMSTART
	v_dot2_f32_f16 v29, v120, v104, v29
	;;#ASMEND
	;;#ASMSTART
	v_dot2_f32_f16 v29, v121, v105, v29
	;;#ASMEND
	;; [unrolled: 3-line block ×32, first 2 shown]
	ds_load_b128 v[10:13], v64 offset:32
	ds_load_b128 v[104:107], v55 offset:32
	;; [unrolled: 1-line block ×10, first 2 shown]
	s_wait_dscnt 0x8
	;;#ASMSTART
	v_dot2_f32_f16 v21, v10, v104, v21
	;;#ASMEND
	;;#ASMSTART
	v_dot2_f32_f16 v21, v11, v105, v21
	;;#ASMEND
	;;#ASMSTART
	v_dot2_f32_f16 v21, v12, v106, v21
	;;#ASMEND
	;;#ASMSTART
	v_dot2_f32_f16 v21, v13, v107, v21
	;;#ASMEND
	s_wait_dscnt 0x7
	;;#ASMSTART
	v_dot2_f32_f16 v22, v10, v108, v22
	;;#ASMEND
	;;#ASMSTART
	v_dot2_f32_f16 v22, v11, v109, v22
	;;#ASMEND
	;;#ASMSTART
	v_dot2_f32_f16 v22, v12, v110, v22
	;;#ASMEND
	;;#ASMSTART
	v_dot2_f32_f16 v22, v13, v111, v22
	;;#ASMEND
	;; [unrolled: 13-line block ×8, first 2 shown]
	;;#ASMSTART
	v_dot2_f32_f16 v29, v120, v104, v29
	;;#ASMEND
	;;#ASMSTART
	v_dot2_f32_f16 v29, v121, v105, v29
	;;#ASMEND
	;; [unrolled: 3-line block ×32, first 2 shown]
	ds_load_b128 v[10:13], v64 offset:48
	ds_load_b128 v[104:107], v55 offset:48
	;; [unrolled: 1-line block ×10, first 2 shown]
	s_wait_dscnt 0x8
	;;#ASMSTART
	v_dot2_f32_f16 v21, v10, v104, v21
	;;#ASMEND
	;;#ASMSTART
	v_dot2_f32_f16 v21, v11, v105, v21
	;;#ASMEND
	;;#ASMSTART
	v_dot2_f32_f16 v21, v12, v106, v21
	;;#ASMEND
	;;#ASMSTART
	v_dot2_f32_f16 v21, v13, v107, v21
	;;#ASMEND
	s_wait_dscnt 0x7
	;;#ASMSTART
	v_dot2_f32_f16 v22, v10, v108, v22
	;;#ASMEND
	;;#ASMSTART
	v_dot2_f32_f16 v22, v11, v109, v22
	;;#ASMEND
	;;#ASMSTART
	v_dot2_f32_f16 v22, v12, v110, v22
	;;#ASMEND
	;;#ASMSTART
	v_dot2_f32_f16 v22, v13, v111, v22
	;;#ASMEND
	;; [unrolled: 13-line block ×8, first 2 shown]
	;;#ASMSTART
	v_dot2_f32_f16 v29, v120, v104, v29
	;;#ASMEND
	;;#ASMSTART
	v_dot2_f32_f16 v29, v121, v105, v29
	;;#ASMEND
	;;#ASMSTART
	v_dot2_f32_f16 v29, v122, v106, v29
	;;#ASMEND
	;;#ASMSTART
	v_dot2_f32_f16 v29, v123, v107, v29
	;;#ASMEND
	;;#ASMSTART
	v_dot2_f32_f16 v30, v120, v108, v30
	;;#ASMEND
	;;#ASMSTART
	v_dot2_f32_f16 v30, v121, v109, v30
	;;#ASMEND
	;;#ASMSTART
	v_dot2_f32_f16 v30, v122, v110, v30
	;;#ASMEND
	;;#ASMSTART
	v_dot2_f32_f16 v30, v123, v111, v30
	;;#ASMEND
	;;#ASMSTART
	v_dot2_f32_f16 v31, v120, v112, v31
	;;#ASMEND
	;;#ASMSTART
	v_dot2_f32_f16 v31, v121, v113, v31
	;;#ASMEND
	;;#ASMSTART
	v_dot2_f32_f16 v31, v122, v114, v31
	;;#ASMEND
	;;#ASMSTART
	v_dot2_f32_f16 v31, v123, v115, v31
	;;#ASMEND
	;;#ASMSTART
	v_dot2_f32_f16 v98, v120, v116, v98
	;;#ASMEND
	;;#ASMSTART
	v_dot2_f32_f16 v98, v121, v117, v98
	;;#ASMEND
	;;#ASMSTART
	v_dot2_f32_f16 v98, v122, v118, v98
	;;#ASMEND
	;;#ASMSTART
	v_dot2_f32_f16 v98, v123, v119, v98
	;;#ASMEND
	;;#ASMSTART
	v_dot2_f32_f16 v100, v120, v124, v100
	;;#ASMEND
	;;#ASMSTART
	v_dot2_f32_f16 v100, v121, v125, v100
	;;#ASMEND
	;;#ASMSTART
	v_dot2_f32_f16 v100, v122, v126, v100
	;;#ASMEND
	;;#ASMSTART
	v_dot2_f32_f16 v100, v123, v127, v100
	;;#ASMEND
	;;#ASMSTART
	v_dot2_f32_f16 v99, v120, v128, v99
	;;#ASMEND
	;;#ASMSTART
	v_dot2_f32_f16 v99, v121, v129, v99
	;;#ASMEND
	;;#ASMSTART
	v_dot2_f32_f16 v99, v122, v130, v99
	;;#ASMEND
	;;#ASMSTART
	v_dot2_f32_f16 v99, v123, v131, v99
	;;#ASMEND
	;;#ASMSTART
	v_dot2_f32_f16 v102, v120, v132, v102
	;;#ASMEND
	;;#ASMSTART
	v_dot2_f32_f16 v102, v121, v133, v102
	;;#ASMEND
	;;#ASMSTART
	v_dot2_f32_f16 v102, v122, v134, v102
	;;#ASMEND
	;;#ASMSTART
	v_dot2_f32_f16 v102, v123, v135, v102
	;;#ASMEND
	;;#ASMSTART
	v_dot2_f32_f16 v101, v120, v136, v101
	;;#ASMEND
	;;#ASMSTART
	v_dot2_f32_f16 v101, v121, v137, v101
	;;#ASMEND
	;;#ASMSTART
	v_dot2_f32_f16 v101, v122, v138, v101
	;;#ASMEND
	;;#ASMSTART
	v_dot2_f32_f16 v101, v123, v139, v101
	;;#ASMEND
	ds_load_b128 v[10:13], v64 offset:64
	ds_load_b128 v[104:107], v55 offset:64
	;; [unrolled: 1-line block ×10, first 2 shown]
	s_wait_dscnt 0x8
	;;#ASMSTART
	v_dot2_f32_f16 v21, v10, v104, v21
	;;#ASMEND
	;;#ASMSTART
	v_dot2_f32_f16 v21, v11, v105, v21
	;;#ASMEND
	;;#ASMSTART
	v_dot2_f32_f16 v21, v12, v106, v21
	;;#ASMEND
	;;#ASMSTART
	v_dot2_f32_f16 v21, v13, v107, v21
	;;#ASMEND
	s_wait_dscnt 0x7
	;;#ASMSTART
	v_dot2_f32_f16 v22, v10, v108, v22
	;;#ASMEND
	;;#ASMSTART
	v_dot2_f32_f16 v22, v11, v109, v22
	;;#ASMEND
	;;#ASMSTART
	v_dot2_f32_f16 v22, v12, v110, v22
	;;#ASMEND
	;;#ASMSTART
	v_dot2_f32_f16 v22, v13, v111, v22
	;;#ASMEND
	;; [unrolled: 13-line block ×8, first 2 shown]
	;;#ASMSTART
	v_dot2_f32_f16 v29, v120, v104, v29
	;;#ASMEND
	;;#ASMSTART
	v_dot2_f32_f16 v29, v121, v105, v29
	;;#ASMEND
	;; [unrolled: 3-line block ×32, first 2 shown]
	ds_load_b128 v[10:13], v64 offset:80
	ds_load_b128 v[104:107], v55 offset:80
	;; [unrolled: 1-line block ×10, first 2 shown]
	s_wait_dscnt 0x8
	;;#ASMSTART
	v_dot2_f32_f16 v21, v10, v104, v21
	;;#ASMEND
	;;#ASMSTART
	v_dot2_f32_f16 v21, v11, v105, v21
	;;#ASMEND
	;;#ASMSTART
	v_dot2_f32_f16 v21, v12, v106, v21
	;;#ASMEND
	;;#ASMSTART
	v_dot2_f32_f16 v21, v13, v107, v21
	;;#ASMEND
	s_wait_dscnt 0x7
	;;#ASMSTART
	v_dot2_f32_f16 v22, v10, v108, v22
	;;#ASMEND
	;;#ASMSTART
	v_dot2_f32_f16 v22, v11, v109, v22
	;;#ASMEND
	;;#ASMSTART
	v_dot2_f32_f16 v22, v12, v110, v22
	;;#ASMEND
	;;#ASMSTART
	v_dot2_f32_f16 v22, v13, v111, v22
	;;#ASMEND
	;; [unrolled: 13-line block ×8, first 2 shown]
	;;#ASMSTART
	v_dot2_f32_f16 v29, v120, v104, v29
	;;#ASMEND
	;;#ASMSTART
	v_dot2_f32_f16 v29, v121, v105, v29
	;;#ASMEND
	;; [unrolled: 3-line block ×32, first 2 shown]
	ds_load_b128 v[10:13], v64 offset:96
	ds_load_b128 v[104:107], v55 offset:96
	;; [unrolled: 1-line block ×10, first 2 shown]
	s_wait_dscnt 0x8
	;;#ASMSTART
	v_dot2_f32_f16 v21, v10, v104, v21
	;;#ASMEND
	;;#ASMSTART
	v_dot2_f32_f16 v21, v11, v105, v21
	;;#ASMEND
	;;#ASMSTART
	v_dot2_f32_f16 v21, v12, v106, v21
	;;#ASMEND
	;;#ASMSTART
	v_dot2_f32_f16 v21, v13, v107, v21
	;;#ASMEND
	s_wait_dscnt 0x7
	;;#ASMSTART
	v_dot2_f32_f16 v22, v10, v108, v22
	;;#ASMEND
	;;#ASMSTART
	v_dot2_f32_f16 v22, v11, v109, v22
	;;#ASMEND
	;;#ASMSTART
	v_dot2_f32_f16 v22, v12, v110, v22
	;;#ASMEND
	;;#ASMSTART
	v_dot2_f32_f16 v22, v13, v111, v22
	;;#ASMEND
	;; [unrolled: 13-line block ×8, first 2 shown]
	;;#ASMSTART
	v_dot2_f32_f16 v29, v120, v104, v29
	;;#ASMEND
	;;#ASMSTART
	v_dot2_f32_f16 v29, v121, v105, v29
	;;#ASMEND
	;; [unrolled: 3-line block ×32, first 2 shown]
	ds_load_b128 v[10:13], v64 offset:112
	ds_load_b128 v[104:107], v55 offset:112
	;; [unrolled: 1-line block ×10, first 2 shown]
	s_wait_dscnt 0x8
	;;#ASMSTART
	v_dot2_f32_f16 v21, v10, v104, v21
	;;#ASMEND
	;;#ASMSTART
	v_dot2_f32_f16 v21, v11, v105, v21
	;;#ASMEND
	;;#ASMSTART
	v_dot2_f32_f16 v21, v12, v106, v21
	;;#ASMEND
	;;#ASMSTART
	v_dot2_f32_f16 v21, v13, v107, v21
	;;#ASMEND
	s_wait_dscnt 0x7
	;;#ASMSTART
	v_dot2_f32_f16 v22, v10, v108, v22
	;;#ASMEND
	;;#ASMSTART
	v_dot2_f32_f16 v22, v11, v109, v22
	;;#ASMEND
	;;#ASMSTART
	v_dot2_f32_f16 v22, v12, v110, v22
	;;#ASMEND
	;;#ASMSTART
	v_dot2_f32_f16 v22, v13, v111, v22
	;;#ASMEND
	;; [unrolled: 13-line block ×8, first 2 shown]
	;;#ASMSTART
	v_dot2_f32_f16 v29, v120, v104, v29
	;;#ASMEND
	;;#ASMSTART
	v_dot2_f32_f16 v29, v121, v105, v29
	;;#ASMEND
	;; [unrolled: 3-line block ×32, first 2 shown]
	s_barrier_signal -1
	s_barrier_wait -1
	s_clause 0x1
	global_load_b128 v[10:13], v[4:5], off offset:128
	global_load_b128 v[104:107], v[6:7], off offset:128
	s_wait_loadcnt 0x1
	ds_store_b128 v62, v[10:13]
	s_wait_loadcnt 0x0
	ds_store_b128 v63, v[104:107]
	s_wait_dscnt 0x0
	s_barrier_signal -1
	s_barrier_wait -1
	ds_load_b128 v[4:7], v64
	ds_load_b128 v[10:13], v55 offset:128
	ds_load_b128 v[104:107], v55 offset:384
	;; [unrolled: 1-line block ×9, first 2 shown]
	s_wait_dscnt 0x8
	;;#ASMSTART
	v_dot2_f32_f16 v21, v4, v10, v21
	;;#ASMEND
	;;#ASMSTART
	v_dot2_f32_f16 v21, v5, v11, v21
	;;#ASMEND
	;;#ASMSTART
	v_dot2_f32_f16 v21, v6, v12, v21
	;;#ASMEND
	;;#ASMSTART
	v_dot2_f32_f16 v21, v7, v13, v21
	;;#ASMEND
	s_wait_dscnt 0x7
	;;#ASMSTART
	v_dot2_f32_f16 v22, v4, v104, v22
	;;#ASMEND
	;;#ASMSTART
	v_dot2_f32_f16 v22, v5, v105, v22
	;;#ASMEND
	;;#ASMSTART
	v_dot2_f32_f16 v22, v6, v106, v22
	;;#ASMEND
	;;#ASMSTART
	v_dot2_f32_f16 v22, v7, v107, v22
	;;#ASMEND
	;; [unrolled: 13-line block ×8, first 2 shown]
	;;#ASMSTART
	v_dot2_f32_f16 v29, v116, v10, v29
	;;#ASMEND
	;;#ASMSTART
	v_dot2_f32_f16 v29, v117, v11, v29
	;;#ASMEND
	;; [unrolled: 3-line block ×32, first 2 shown]
	ds_load_b128 v[4:7], v64 offset:16
	ds_load_b128 v[10:13], v55 offset:144
	;; [unrolled: 1-line block ×10, first 2 shown]
	s_wait_dscnt 0x8
	;;#ASMSTART
	v_dot2_f32_f16 v21, v4, v10, v21
	;;#ASMEND
	;;#ASMSTART
	v_dot2_f32_f16 v21, v5, v11, v21
	;;#ASMEND
	;;#ASMSTART
	v_dot2_f32_f16 v21, v6, v12, v21
	;;#ASMEND
	;;#ASMSTART
	v_dot2_f32_f16 v21, v7, v13, v21
	;;#ASMEND
	s_wait_dscnt 0x7
	;;#ASMSTART
	v_dot2_f32_f16 v22, v4, v104, v22
	;;#ASMEND
	;;#ASMSTART
	v_dot2_f32_f16 v22, v5, v105, v22
	;;#ASMEND
	;;#ASMSTART
	v_dot2_f32_f16 v22, v6, v106, v22
	;;#ASMEND
	;;#ASMSTART
	v_dot2_f32_f16 v22, v7, v107, v22
	;;#ASMEND
	;; [unrolled: 13-line block ×8, first 2 shown]
	;;#ASMSTART
	v_dot2_f32_f16 v29, v116, v10, v29
	;;#ASMEND
	;;#ASMSTART
	v_dot2_f32_f16 v29, v117, v11, v29
	;;#ASMEND
	;; [unrolled: 3-line block ×32, first 2 shown]
	ds_load_b128 v[4:7], v64 offset:32
	ds_load_b128 v[10:13], v55 offset:160
	;; [unrolled: 1-line block ×10, first 2 shown]
	s_wait_dscnt 0x8
	;;#ASMSTART
	v_dot2_f32_f16 v21, v4, v10, v21
	;;#ASMEND
	;;#ASMSTART
	v_dot2_f32_f16 v21, v5, v11, v21
	;;#ASMEND
	;;#ASMSTART
	v_dot2_f32_f16 v21, v6, v12, v21
	;;#ASMEND
	;;#ASMSTART
	v_dot2_f32_f16 v21, v7, v13, v21
	;;#ASMEND
	s_wait_dscnt 0x7
	;;#ASMSTART
	v_dot2_f32_f16 v22, v4, v104, v22
	;;#ASMEND
	;;#ASMSTART
	v_dot2_f32_f16 v22, v5, v105, v22
	;;#ASMEND
	;;#ASMSTART
	v_dot2_f32_f16 v22, v6, v106, v22
	;;#ASMEND
	;;#ASMSTART
	v_dot2_f32_f16 v22, v7, v107, v22
	;;#ASMEND
	s_wait_dscnt 0x6
	;;#ASMSTART
	v_dot2_f32_f16 v23, v4, v108, v23
	;;#ASMEND
	;;#ASMSTART
	v_dot2_f32_f16 v23, v5, v109, v23
	;;#ASMEND
	;;#ASMSTART
	v_dot2_f32_f16 v23, v6, v110, v23
	;;#ASMEND
	;;#ASMSTART
	v_dot2_f32_f16 v23, v7, v111, v23
	;;#ASMEND
	s_wait_dscnt 0x5
	;;#ASMSTART
	v_dot2_f32_f16 v24, v4, v112, v24
	;;#ASMEND
	;;#ASMSTART
	v_dot2_f32_f16 v24, v5, v113, v24
	;;#ASMEND
	;;#ASMSTART
	v_dot2_f32_f16 v24, v6, v114, v24
	;;#ASMEND
	;;#ASMSTART
	v_dot2_f32_f16 v24, v7, v115, v24
	;;#ASMEND
	s_wait_dscnt 0x3
	;;#ASMSTART
	v_dot2_f32_f16 v25, v4, v120, v25
	;;#ASMEND
	;;#ASMSTART
	v_dot2_f32_f16 v25, v5, v121, v25
	;;#ASMEND
	;;#ASMSTART
	v_dot2_f32_f16 v25, v6, v122, v25
	;;#ASMEND
	;;#ASMSTART
	v_dot2_f32_f16 v25, v7, v123, v25
	;;#ASMEND
	s_wait_dscnt 0x2
	;;#ASMSTART
	v_dot2_f32_f16 v26, v4, v124, v26
	;;#ASMEND
	;;#ASMSTART
	v_dot2_f32_f16 v26, v5, v125, v26
	;;#ASMEND
	;;#ASMSTART
	v_dot2_f32_f16 v26, v6, v126, v26
	;;#ASMEND
	;;#ASMSTART
	v_dot2_f32_f16 v26, v7, v127, v26
	;;#ASMEND
	s_wait_dscnt 0x1
	;;#ASMSTART
	v_dot2_f32_f16 v27, v4, v128, v27
	;;#ASMEND
	;;#ASMSTART
	v_dot2_f32_f16 v27, v5, v129, v27
	;;#ASMEND
	;;#ASMSTART
	v_dot2_f32_f16 v27, v6, v130, v27
	;;#ASMEND
	;;#ASMSTART
	v_dot2_f32_f16 v27, v7, v131, v27
	;;#ASMEND
	s_wait_dscnt 0x0
	;;#ASMSTART
	v_dot2_f32_f16 v28, v4, v132, v28
	;;#ASMEND
	;;#ASMSTART
	v_dot2_f32_f16 v28, v5, v133, v28
	;;#ASMEND
	;;#ASMSTART
	v_dot2_f32_f16 v28, v6, v134, v28
	;;#ASMEND
	;;#ASMSTART
	v_dot2_f32_f16 v28, v7, v135, v28
	;;#ASMEND
	;;#ASMSTART
	v_dot2_f32_f16 v29, v116, v10, v29
	;;#ASMEND
	;;#ASMSTART
	v_dot2_f32_f16 v29, v117, v11, v29
	;;#ASMEND
	;; [unrolled: 3-line block ×32, first 2 shown]
	ds_load_b128 v[4:7], v64 offset:48
	ds_load_b128 v[10:13], v55 offset:176
	;; [unrolled: 1-line block ×10, first 2 shown]
	s_wait_dscnt 0x8
	;;#ASMSTART
	v_dot2_f32_f16 v21, v4, v10, v21
	;;#ASMEND
	;;#ASMSTART
	v_dot2_f32_f16 v21, v5, v11, v21
	;;#ASMEND
	;;#ASMSTART
	v_dot2_f32_f16 v21, v6, v12, v21
	;;#ASMEND
	;;#ASMSTART
	v_dot2_f32_f16 v21, v7, v13, v21
	;;#ASMEND
	s_wait_dscnt 0x7
	;;#ASMSTART
	v_dot2_f32_f16 v22, v4, v104, v22
	;;#ASMEND
	;;#ASMSTART
	v_dot2_f32_f16 v22, v5, v105, v22
	;;#ASMEND
	;;#ASMSTART
	v_dot2_f32_f16 v22, v6, v106, v22
	;;#ASMEND
	;;#ASMSTART
	v_dot2_f32_f16 v22, v7, v107, v22
	;;#ASMEND
	;; [unrolled: 13-line block ×8, first 2 shown]
	;;#ASMSTART
	v_dot2_f32_f16 v29, v116, v10, v29
	;;#ASMEND
	;;#ASMSTART
	v_dot2_f32_f16 v29, v117, v11, v29
	;;#ASMEND
	;; [unrolled: 3-line block ×32, first 2 shown]
	ds_load_b128 v[4:7], v64 offset:64
	ds_load_b128 v[10:13], v55 offset:192
	ds_load_b128 v[104:107], v55 offset:448
	ds_load_b128 v[108:111], v55 offset:704
	ds_load_b128 v[112:115], v55 offset:960
	ds_load_b128 v[116:119], v64 offset:4672
	ds_load_b128 v[120:123], v55 offset:1216
	ds_load_b128 v[124:127], v55 offset:1472
	ds_load_b128 v[128:131], v55 offset:1728
	ds_load_b128 v[132:135], v55 offset:1984
	s_wait_dscnt 0x8
	;;#ASMSTART
	v_dot2_f32_f16 v21, v4, v10, v21
	;;#ASMEND
	;;#ASMSTART
	v_dot2_f32_f16 v21, v5, v11, v21
	;;#ASMEND
	;;#ASMSTART
	v_dot2_f32_f16 v21, v6, v12, v21
	;;#ASMEND
	;;#ASMSTART
	v_dot2_f32_f16 v21, v7, v13, v21
	;;#ASMEND
	s_wait_dscnt 0x7
	;;#ASMSTART
	v_dot2_f32_f16 v22, v4, v104, v22
	;;#ASMEND
	;;#ASMSTART
	v_dot2_f32_f16 v22, v5, v105, v22
	;;#ASMEND
	;;#ASMSTART
	v_dot2_f32_f16 v22, v6, v106, v22
	;;#ASMEND
	;;#ASMSTART
	v_dot2_f32_f16 v22, v7, v107, v22
	;;#ASMEND
	s_wait_dscnt 0x6
	;;#ASMSTART
	v_dot2_f32_f16 v23, v4, v108, v23
	;;#ASMEND
	;;#ASMSTART
	v_dot2_f32_f16 v23, v5, v109, v23
	;;#ASMEND
	;;#ASMSTART
	v_dot2_f32_f16 v23, v6, v110, v23
	;;#ASMEND
	;;#ASMSTART
	v_dot2_f32_f16 v23, v7, v111, v23
	;;#ASMEND
	s_wait_dscnt 0x5
	;;#ASMSTART
	v_dot2_f32_f16 v24, v4, v112, v24
	;;#ASMEND
	;;#ASMSTART
	v_dot2_f32_f16 v24, v5, v113, v24
	;;#ASMEND
	;;#ASMSTART
	v_dot2_f32_f16 v24, v6, v114, v24
	;;#ASMEND
	;;#ASMSTART
	v_dot2_f32_f16 v24, v7, v115, v24
	;;#ASMEND
	s_wait_dscnt 0x3
	;;#ASMSTART
	v_dot2_f32_f16 v25, v4, v120, v25
	;;#ASMEND
	;;#ASMSTART
	v_dot2_f32_f16 v25, v5, v121, v25
	;;#ASMEND
	;;#ASMSTART
	v_dot2_f32_f16 v25, v6, v122, v25
	;;#ASMEND
	;;#ASMSTART
	v_dot2_f32_f16 v25, v7, v123, v25
	;;#ASMEND
	s_wait_dscnt 0x2
	;;#ASMSTART
	v_dot2_f32_f16 v26, v4, v124, v26
	;;#ASMEND
	;;#ASMSTART
	v_dot2_f32_f16 v26, v5, v125, v26
	;;#ASMEND
	;;#ASMSTART
	v_dot2_f32_f16 v26, v6, v126, v26
	;;#ASMEND
	;;#ASMSTART
	v_dot2_f32_f16 v26, v7, v127, v26
	;;#ASMEND
	s_wait_dscnt 0x1
	;;#ASMSTART
	v_dot2_f32_f16 v27, v4, v128, v27
	;;#ASMEND
	;;#ASMSTART
	v_dot2_f32_f16 v27, v5, v129, v27
	;;#ASMEND
	;;#ASMSTART
	v_dot2_f32_f16 v27, v6, v130, v27
	;;#ASMEND
	;;#ASMSTART
	v_dot2_f32_f16 v27, v7, v131, v27
	;;#ASMEND
	s_wait_dscnt 0x0
	;;#ASMSTART
	v_dot2_f32_f16 v28, v4, v132, v28
	;;#ASMEND
	;;#ASMSTART
	v_dot2_f32_f16 v28, v5, v133, v28
	;;#ASMEND
	;;#ASMSTART
	v_dot2_f32_f16 v28, v6, v134, v28
	;;#ASMEND
	;;#ASMSTART
	v_dot2_f32_f16 v28, v7, v135, v28
	;;#ASMEND
	;;#ASMSTART
	v_dot2_f32_f16 v29, v116, v10, v29
	;;#ASMEND
	;;#ASMSTART
	v_dot2_f32_f16 v29, v117, v11, v29
	;;#ASMEND
	;; [unrolled: 3-line block ×32, first 2 shown]
	ds_load_b128 v[4:7], v64 offset:80
	ds_load_b128 v[10:13], v55 offset:208
	;; [unrolled: 1-line block ×10, first 2 shown]
	s_wait_dscnt 0x8
	;;#ASMSTART
	v_dot2_f32_f16 v21, v4, v10, v21
	;;#ASMEND
	;;#ASMSTART
	v_dot2_f32_f16 v21, v5, v11, v21
	;;#ASMEND
	;;#ASMSTART
	v_dot2_f32_f16 v21, v6, v12, v21
	;;#ASMEND
	;;#ASMSTART
	v_dot2_f32_f16 v21, v7, v13, v21
	;;#ASMEND
	s_wait_dscnt 0x7
	;;#ASMSTART
	v_dot2_f32_f16 v22, v4, v104, v22
	;;#ASMEND
	;;#ASMSTART
	v_dot2_f32_f16 v22, v5, v105, v22
	;;#ASMEND
	;;#ASMSTART
	v_dot2_f32_f16 v22, v6, v106, v22
	;;#ASMEND
	;;#ASMSTART
	v_dot2_f32_f16 v22, v7, v107, v22
	;;#ASMEND
	;; [unrolled: 13-line block ×8, first 2 shown]
	;;#ASMSTART
	v_dot2_f32_f16 v29, v116, v10, v29
	;;#ASMEND
	;;#ASMSTART
	v_dot2_f32_f16 v29, v117, v11, v29
	;;#ASMEND
	;; [unrolled: 3-line block ×32, first 2 shown]
	ds_load_b128 v[4:7], v64 offset:96
	ds_load_b128 v[10:13], v55 offset:224
	;; [unrolled: 1-line block ×10, first 2 shown]
	s_wait_dscnt 0x8
	;;#ASMSTART
	v_dot2_f32_f16 v21, v4, v10, v21
	;;#ASMEND
	;;#ASMSTART
	v_dot2_f32_f16 v21, v5, v11, v21
	;;#ASMEND
	;;#ASMSTART
	v_dot2_f32_f16 v21, v6, v12, v21
	;;#ASMEND
	;;#ASMSTART
	v_dot2_f32_f16 v21, v7, v13, v21
	;;#ASMEND
	s_wait_dscnt 0x7
	;;#ASMSTART
	v_dot2_f32_f16 v22, v4, v104, v22
	;;#ASMEND
	;;#ASMSTART
	v_dot2_f32_f16 v22, v5, v105, v22
	;;#ASMEND
	;;#ASMSTART
	v_dot2_f32_f16 v22, v6, v106, v22
	;;#ASMEND
	;;#ASMSTART
	v_dot2_f32_f16 v22, v7, v107, v22
	;;#ASMEND
	;; [unrolled: 13-line block ×8, first 2 shown]
	;;#ASMSTART
	v_dot2_f32_f16 v29, v116, v10, v29
	;;#ASMEND
	;;#ASMSTART
	v_dot2_f32_f16 v29, v117, v11, v29
	;;#ASMEND
	;; [unrolled: 3-line block ×32, first 2 shown]
	ds_load_b128 v[4:7], v64 offset:112
	ds_load_b128 v[10:13], v55 offset:240
	;; [unrolled: 1-line block ×10, first 2 shown]
	s_wait_dscnt 0x8
	;;#ASMSTART
	v_dot2_f32_f16 v21, v4, v10, v21
	;;#ASMEND
	;;#ASMSTART
	v_dot2_f32_f16 v21, v5, v11, v21
	;;#ASMEND
	;;#ASMSTART
	v_dot2_f32_f16 v21, v6, v12, v21
	;;#ASMEND
	;;#ASMSTART
	v_dot2_f32_f16 v21, v7, v13, v21
	;;#ASMEND
	s_wait_dscnt 0x7
	;;#ASMSTART
	v_dot2_f32_f16 v22, v4, v104, v22
	;;#ASMEND
	;;#ASMSTART
	v_dot2_f32_f16 v22, v5, v105, v22
	;;#ASMEND
	;;#ASMSTART
	v_dot2_f32_f16 v22, v6, v106, v22
	;;#ASMEND
	;;#ASMSTART
	v_dot2_f32_f16 v22, v7, v107, v22
	;;#ASMEND
	;; [unrolled: 13-line block ×8, first 2 shown]
	;;#ASMSTART
	v_dot2_f32_f16 v29, v116, v10, v29
	;;#ASMEND
	;;#ASMSTART
	v_dot2_f32_f16 v29, v117, v11, v29
	;;#ASMEND
	;; [unrolled: 3-line block ×32, first 2 shown]
	s_clause 0x1
	global_load_u16 v4, v8, s[40:41] scale_offset
	global_load_u16 v5, v8, s[40:41] offset:64 scale_offset
	s_wait_loadcnt 0x0
	s_barrier_signal -1
	s_barrier_wait -1
	s_clause 0x1
	global_load_b128 v[8:11], v[0:1], off
	global_load_b128 v[12:15], v[2:3], off
	s_wait_xcnt 0x1
	v_cvt_f32_f16_e32 v0, v4
	v_cvt_f32_f16_e32 v1, v5
	s_delay_alu instid0(VALU_DEP_2) | instskip(NEXT) | instid1(VALU_DEP_2)
	v_dual_add_f32 v21, v21, v0 :: v_dual_add_f32 v22, v22, v0
	v_dual_add_f32 v29, v29, v1 :: v_dual_add_f32 v30, v30, v1
	v_add_f32_e32 v23, v23, v0
	v_dual_add_f32 v31, v31, v1 :: v_dual_add_f32 v24, v24, v0
	v_dual_add_f32 v98, v98, v1 :: v_dual_add_f32 v25, v25, v0
	v_dual_add_f32 v100, v100, v1 :: v_dual_add_f32 v26, v26, v0
	v_dual_add_f32 v99, v99, v1 :: v_dual_add_f32 v102, v102, v1
	v_dual_add_f32 v27, v27, v0 :: v_dual_add_f32 v28, v28, v0
	s_wait_xcnt 0x0
	v_dual_add_f32 v101, v101, v1 :: v_dual_add_f32 v2, 0x40051340, v22
	v_dual_add_f32 v0, 0x40051340, v21 :: v_dual_add_f32 v3, 0x40051340, v30
	;; [unrolled: 1-line block ×7, first 2 shown]
	v_max3_num_f32 v0, v90, v0, v1
	v_max3_num_f32 v1, v91, v2, v3
	;; [unrolled: 1-line block ×5, first 2 shown]
	v_dual_add_f32 v107, 0x40051340, v27 :: v_dual_add_f32 v108, 0x40051340, v102
	ds_bpermute_b32 v106, v20, v3
	v_add_f32_e32 v109, 0x40051340, v28
	v_max3_num_f32 v4, v94, v103, v104
	ds_bpermute_b32 v103, v20, v0
	v_max3_num_f32 v6, v96, v107, v108
	ds_bpermute_b32 v104, v20, v1
	ds_bpermute_b32 v105, v20, v2
	ds_bpermute_b32 v107, v20, v4
	ds_bpermute_b32 v108, v20, v5
	s_wait_dscnt 0x5
	v_max_num_f32_e32 v106, v106, v106
	v_max3_num_f32 v7, v97, v109, v110
	ds_bpermute_b32 v109, v20, v6
	s_wait_dscnt 0x4
	v_dual_max_num_f32 v103, v103, v103 :: v_dual_max_num_f32 v104, v104, v104
	ds_bpermute_b32 v20, v20, v7
	s_wait_dscnt 0x3
	v_dual_max_num_f32 v105, v105, v105 :: v_dual_max_num_f32 v107, v107, v107
	v_dual_max_num_f32 v0, v0, v103 :: v_dual_max_num_f32 v1, v1, v104
	s_wait_dscnt 0x2
	s_delay_alu instid0(VALU_DEP_2) | instskip(NEXT) | instid1(VALU_DEP_3)
	v_dual_max_num_f32 v108, v108, v108 :: v_dual_max_num_f32 v2, v2, v105
	v_dual_max_num_f32 v3, v3, v106 :: v_dual_max_num_f32 v4, v4, v107
	ds_bpermute_b32 v103, v19, v1
	ds_bpermute_b32 v104, v19, v2
	;; [unrolled: 1-line block ×4, first 2 shown]
	s_wait_dscnt 0x5
	v_max_num_f32_e32 v109, v109, v109
	v_max_num_f32_e32 v5, v5, v108
	s_wait_dscnt 0x4
	s_delay_alu instid0(VALU_DEP_2)
	v_dual_max_num_f32 v20, v20, v20 :: v_dual_max_num_f32 v6, v6, v109
	ds_bpermute_b32 v107, v19, v5
	v_max_num_f32_e32 v7, v7, v20
	ds_bpermute_b32 v20, v19, v0
	ds_bpermute_b32 v108, v19, v6
	s_wait_dscnt 0x5
	v_dual_max_num_f32 v103, v103, v103 :: v_dual_max_num_f32 v104, v104, v104
	s_wait_dscnt 0x3
	v_dual_max_num_f32 v105, v105, v105 :: v_dual_max_num_f32 v106, v106, v106
	s_delay_alu instid0(VALU_DEP_2) | instskip(NEXT) | instid1(VALU_DEP_2)
	v_dual_max_num_f32 v1, v1, v103 :: v_dual_max_num_f32 v2, v2, v104
	v_dual_max_num_f32 v3, v3, v105 :: v_dual_max_num_f32 v4, v4, v106
	ds_bpermute_b32 v103, v18, v2
	s_wait_dscnt 0x3
	v_max_num_f32_e32 v107, v107, v107
	ds_bpermute_b32 v104, v18, v3
	ds_bpermute_b32 v105, v18, v4
	s_wait_dscnt 0x4
	v_max_num_f32_e32 v20, v20, v20
	ds_bpermute_b32 v19, v19, v7
	s_wait_dscnt 0x4
	v_dual_max_num_f32 v108, v108, v108 :: v_dual_max_num_f32 v5, v5, v107
	v_max_num_f32_e32 v0, v0, v20
	ds_bpermute_b32 v20, v18, v1
	v_max_num_f32_e32 v6, v6, v108
	ds_bpermute_b32 v106, v18, v5
	ds_bpermute_b32 v107, v18, v6
	s_wait_dscnt 0x5
	v_dual_max_num_f32 v103, v103, v103 :: v_dual_max_num_f32 v104, v104, v104
	s_wait_dscnt 0x4
	s_delay_alu instid0(VALU_DEP_1) | instskip(SKIP_2) | instid1(VALU_DEP_2)
	v_dual_max_num_f32 v105, v105, v105 :: v_dual_max_num_f32 v2, v2, v103
	s_wait_dscnt 0x3
	v_max_num_f32_e32 v19, v19, v19
	v_dual_max_num_f32 v3, v3, v104 :: v_dual_max_num_f32 v4, v4, v105
	s_wait_dscnt 0x2
	s_delay_alu instid0(VALU_DEP_2)
	v_dual_max_num_f32 v7, v7, v19 :: v_dual_max_num_f32 v20, v20, v20
	ds_bpermute_b32 v19, v18, v0
	s_wait_dscnt 0x2
	v_max_num_f32_e32 v106, v106, v106
	ds_bpermute_b32 v103, v17, v3
	ds_bpermute_b32 v18, v18, v7
	s_wait_dscnt 0x3
	v_dual_max_num_f32 v107, v107, v107 :: v_dual_max_num_f32 v1, v1, v20
	v_max_num_f32_e32 v5, v5, v106
	ds_bpermute_b32 v20, v17, v2
	ds_bpermute_b32 v104, v17, v4
	v_max_num_f32_e32 v6, v6, v107
	ds_bpermute_b32 v105, v17, v5
	ds_bpermute_b32 v106, v17, v6
	s_wait_dscnt 0x6
	v_max_num_f32_e32 v19, v19, v19
	s_wait_dscnt 0x4
	v_dual_max_num_f32 v103, v103, v103 :: v_dual_max_num_f32 v18, v18, v18
	s_delay_alu instid0(VALU_DEP_2)
	v_max_num_f32_e32 v0, v0, v19
	ds_bpermute_b32 v19, v17, v1
	s_wait_dscnt 0x4
	v_dual_max_num_f32 v20, v20, v20 :: v_dual_max_num_f32 v7, v7, v18
	s_wait_dscnt 0x3
	v_max_num_f32_e32 v104, v104, v104
	ds_bpermute_b32 v18, v17, v0
	s_wait_dscnt 0x3
	v_dual_max_num_f32 v105, v105, v105 :: v_dual_max_num_f32 v2, v2, v20
	v_dual_max_num_f32 v3, v3, v103 :: v_dual_max_num_f32 v4, v4, v104
	s_wait_dscnt 0x2
	s_delay_alu instid0(VALU_DEP_2)
	v_dual_max_num_f32 v106, v106, v106 :: v_dual_max_num_f32 v5, v5, v105
	ds_bpermute_b32 v20, v16, v3
	ds_bpermute_b32 v103, v16, v4
	v_max_num_f32_e32 v6, v6, v106
	ds_bpermute_b32 v104, v16, v5
	ds_bpermute_b32 v105, v16, v6
	s_wait_dscnt 0x4
	v_dual_max_num_f32 v19, v19, v19 :: v_dual_max_num_f32 v18, v18, v18
	ds_bpermute_b32 v17, v17, v7
	v_max_num_f32_e32 v1, v1, v19
	ds_bpermute_b32 v19, v16, v2
	v_max_num_f32_e32 v0, v0, v18
	ds_bpermute_b32 v18, v16, v1
	s_wait_dscnt 0x5
	v_dual_max_num_f32 v20, v20, v20 :: v_dual_max_num_f32 v103, v103, v103
	s_wait_dscnt 0x4
	v_max_num_f32_e32 v104, v104, v104
	s_delay_alu instid0(VALU_DEP_2) | instskip(SKIP_2) | instid1(VALU_DEP_1)
	v_dual_max_num_f32 v3, v3, v20 :: v_dual_max_num_f32 v4, v4, v103
	s_wait_dscnt 0x3
	v_max_num_f32_e32 v105, v105, v105
	v_dual_max_num_f32 v5, v5, v104 :: v_dual_max_num_f32 v6, v6, v105
	s_wait_dscnt 0x2
	v_max_num_f32_e32 v17, v17, v17
	s_wait_dscnt 0x1
	s_delay_alu instid0(VALU_DEP_2) | instskip(NEXT) | instid1(VALU_DEP_2)
	v_dual_sub_f32 v26, v26, v5 :: v_dual_max_num_f32 v19, v19, v19
	v_max_num_f32_e32 v7, v7, v17
	ds_bpermute_b32 v17, v16, v0
	s_wait_dscnt 0x1
	v_max_num_f32_e32 v18, v18, v18
	v_max_num_f32_e32 v2, v2, v19
	v_mul_f32_e32 v108, 0x3fb8aa3b, v26
	v_cmp_ngt_f32_e64 s9, 0xc2ce8ed0, v26
	s_delay_alu instid0(VALU_DEP_4) | instskip(NEXT) | instid1(VALU_DEP_4)
	v_max_num_f32_e32 v1, v1, v18
	v_dual_sub_f32 v20, v23, v2 :: v_dual_sub_f32 v23, v98, v3
	s_delay_alu instid0(VALU_DEP_4) | instskip(SKIP_1) | instid1(VALU_DEP_4)
	v_fma_f32 v124, 0x3fb8aa3b, v26, -v108
	v_rndne_f32_e32 v140, v108
	v_sub_f32_e32 v18, v22, v1
	v_dual_sub_f32 v19, v30, v1 :: v_dual_sub_f32 v22, v24, v3
	v_dual_sub_f32 v24, v25, v4 :: v_dual_sub_f32 v25, v100, v4
	s_delay_alu instid0(VALU_DEP_3)
	v_mul_f32_e32 v100, 0x3fb8aa3b, v18
	v_sub_f32_e32 v30, v102, v6
	v_mul_f32_e32 v102, 0x3fb8aa3b, v20
	s_wait_dscnt 0x0
	v_dual_mul_f32 v104, 0x3fb8aa3b, v22 :: v_dual_max_num_f32 v17, v17, v17
	ds_bpermute_b32 v16, v16, v7
	v_fma_f32 v116, 0x3fb8aa3b, v18, -v100
	v_rndne_f32_e32 v132, v100
	v_dual_mul_f32 v105, 0x3fb8aa3b, v23 :: v_dual_mul_f32 v106, 0x3fb8aa3b, v24
	v_max_num_f32_e32 v0, v0, v17
	v_mul_f32_e32 v107, 0x3fb8aa3b, v25
	v_fmac_f32_e32 v116, 0x32a5705f, v18
	v_fma_f32 v118, 0x3fb8aa3b, v20, -v102
	v_fma_f32 v120, 0x3fb8aa3b, v22, -v104
	v_dual_sub_f32 v17, v29, v0 :: v_dual_sub_f32 v29, v99, v5
	v_fma_f32 v121, 0x3fb8aa3b, v23, -v105
	v_fma_f32 v122, 0x3fb8aa3b, v24, -v106
	v_fma_f32 v123, 0x3fb8aa3b, v25, -v107
	s_delay_alu instid0(VALU_DEP_4)
	v_mul_f32_e32 v99, 0x3fb8aa3b, v17
	v_rndne_f32_e32 v134, v102
	v_rndne_f32_e32 v136, v104
	;; [unrolled: 1-line block ×4, first 2 shown]
	s_wait_dscnt 0x0
	v_max_num_f32_e32 v16, v16, v16
	v_fma_f32 v115, 0x3fb8aa3b, v17, -v99
	v_rndne_f32_e32 v131, v99
	v_rndne_f32_e32 v139, v107
	v_dual_fmac_f32 v118, 0x32a5705f, v20 :: v_dual_fmac_f32 v121, 0x32a5705f, v23
	v_max_num_f32_e32 v7, v7, v16
	v_dual_sub_f32 v16, v21, v0 :: v_dual_sub_f32 v21, v31, v2
	v_sub_f32_e32 v27, v27, v6
	v_fmac_f32_e32 v115, 0x32a5705f, v17
	s_delay_alu instid0(VALU_DEP_3)
	v_dual_sub_f32 v31, v101, v7 :: v_dual_mul_f32 v98, 0x3fb8aa3b, v16
	v_sub_f32_e32 v28, v28, v7
	v_mul_f32_e32 v101, 0x3fb8aa3b, v19
	v_sub_f32_e32 v99, v99, v131
	v_mul_f32_e32 v103, 0x3fb8aa3b, v21
	v_fma_f32 v114, 0x3fb8aa3b, v16, -v98
	v_rndne_f32_e32 v130, v98
	v_mul_f32_e32 v113, 0x3fb8aa3b, v31
	v_dual_mul_f32 v109, 0x3fb8aa3b, v29 :: v_dual_mul_f32 v110, 0x3fb8aa3b, v27
	s_delay_alu instid0(VALU_DEP_4) | instskip(NEXT) | instid1(VALU_DEP_4)
	v_fmac_f32_e32 v114, 0x32a5705f, v16
	v_sub_f32_e32 v98, v98, v130
	v_dual_mul_f32 v111, 0x3fb8aa3b, v30 :: v_dual_mul_f32 v112, 0x3fb8aa3b, v28
	v_fma_f32 v117, 0x3fb8aa3b, v19, -v101
	s_delay_alu instid0(VALU_DEP_3)
	v_dual_add_f32 v99, v99, v115 :: v_dual_add_f32 v98, v98, v114
	v_sub_f32_e32 v100, v100, v132
	v_fma_f32 v119, 0x3fb8aa3b, v21, -v103
	v_fma_f32 v125, 0x3fb8aa3b, v29, -v109
	;; [unrolled: 1-line block ×6, first 2 shown]
	v_rndne_f32_e32 v133, v101
	v_rndne_f32_e32 v135, v103
	;; [unrolled: 1-line block ×6, first 2 shown]
	v_dual_fmac_f32 v117, 0x32a5705f, v19 :: v_dual_add_f32 v100, v100, v116
	v_fmac_f32_e32 v119, 0x32a5705f, v21
	v_rndne_f32_e32 v116, v113
	v_exp_f32_e32 v99, v99
	v_dual_fmac_f32 v120, 0x32a5705f, v22 :: v_dual_fmac_f32 v123, 0x32a5705f, v25
	v_dual_fmac_f32 v122, 0x32a5705f, v24 :: v_dual_fmac_f32 v125, 0x32a5705f, v29
	;; [unrolled: 1-line block ×4, first 2 shown]
	v_dual_fmac_f32 v128, 0x32a5705f, v28 :: v_dual_sub_f32 v101, v101, v133
	v_dual_sub_f32 v102, v102, v134 :: v_dual_sub_f32 v103, v103, v135
	v_dual_sub_f32 v104, v104, v136 :: v_dual_sub_f32 v105, v105, v137
	;; [unrolled: 1-line block ×6, first 2 shown]
	v_cvt_i32_f32_e32 v131, v131
	v_dual_add_f32 v101, v101, v117 :: v_dual_add_f32 v102, v102, v118
	v_dual_add_f32 v103, v103, v119 :: v_dual_add_f32 v104, v104, v120
	;; [unrolled: 1-line block ×6, first 2 shown]
	v_ldexp_f32 v99, v99, v131
	v_cmp_ngt_f32_e64 s16, 0xc2ce8ed0, v17
	v_add_f32_e32 v113, v113, v129
	v_exp_f32_e32 v98, v98
	v_exp_f32_e32 v100, v100
	;; [unrolled: 1-line block ×12, first 2 shown]
	v_cndmask_b32_e64 v99, 0, v99, s16
	v_exp_f32_e32 v113, v113
	v_exp_f32_e32 v109, v109
	;; [unrolled: 1-line block ×3, first 2 shown]
	v_cvt_i32_f32_e32 v130, v130
	v_cvt_i32_f32_e32 v132, v132
	;; [unrolled: 1-line block ×15, first 2 shown]
	v_ldexp_f32 v100, v100, v132
	v_cmp_ngt_f32_e32 vcc_lo, 0xc2ce8ed0, v18
	v_ldexp_f32 v101, v101, v133
	v_cmp_ngt_f32_e64 s2, 0xc2ce8ed0, v19
	v_ldexp_f32 v102, v102, v134
	v_cmp_ngt_f32_e64 s3, 0xc2ce8ed0, v20
	;; [unrolled: 2-line block ×7, first 2 shown]
	v_ldexp_f32 v108, v108, v140
	v_ldexp_f32 v110, v110, v142
	v_cmp_ngt_f32_e64 s11, 0xc2ce8ed0, v27
	v_ldexp_f32 v98, v98, v130
	v_cmp_ngt_f32_e64 s12, 0xc2ce8ed0, v16
	;; [unrolled: 2-line block ×6, first 2 shown]
	v_cmp_nlt_f32_e64 s16, 0x42b17218, v17
	v_dual_cndmask_b32 v17, 0, v100, vcc_lo :: v_dual_cndmask_b32 v100, 0, v101, s2
	v_cmp_nlt_f32_e32 vcc_lo, 0x42b17218, v18
	v_dual_cndmask_b32 v101, 0, v102, s3 :: v_dual_cndmask_b32 v102, 0, v103, s4
	v_cmp_nlt_f32_e64 s3, 0x42b17218, v20
	v_cmp_nlt_f32_e64 s4, 0x42b17218, v21
	v_dual_cndmask_b32 v21, 0, v104, s5 :: v_dual_cndmask_b32 v103, 0, v105, s6
	v_cmp_nlt_f32_e64 s5, 0x42b17218, v22
	v_dual_cndmask_b32 v104, 0, v106, s7 :: v_dual_cndmask_b32 v105, 0, v107, s8
	v_cmp_nlt_f32_e64 s7, 0x42b17218, v24
	v_cmp_nlt_f32_e64 s8, 0x42b17218, v25
	v_dual_cndmask_b32 v25, 0, v108, s9 :: v_dual_cndmask_b32 v106, 0, v109, s10
	v_cmp_nlt_f32_e64 s9, 0x42b17218, v26
	v_dual_cndmask_b32 v26, 0, v110, s11 :: v_dual_cndmask_b32 v107, 0, v111, s13
	;; [unrolled: 2-line block ×3, first 2 shown]
	v_cmp_nlt_f32_e64 s12, 0x42b17218, v28
	v_cndmask_b32_e64 v98, 0, v113, s15
	v_cmp_nlt_f32_e64 s15, 0x42b17218, v16
	v_cmp_nlt_f32_e64 s2, 0x42b17218, v19
	;; [unrolled: 1-line block ×6, first 2 shown]
	v_cndmask_b32_e64 v16, 0x7f800000, v18, s15
	v_cndmask_b32_e32 v17, 0x7f800000, v17, vcc_lo
	v_cndmask_b32_e64 v20, 0x7f800000, v101, s3
	v_cndmask_b32_e64 v21, 0x7f800000, v21, s5
	;; [unrolled: 1-line block ×14, first 2 shown]
	v_cvt_pk_f16_f32 v101, v26, v27
	v_cvt_pk_f16_f32 v100, v24, v25
	;; [unrolled: 1-line block ×8, first 2 shown]
	ds_store_b128 v70, v[98:101]
	ds_store_b128 v70, v[102:105] offset:512
	s_wait_loadcnt 0x1
	ds_store_b128 v67, v[8:11]
	s_wait_loadcnt 0x0
	ds_store_b128 v68, v[12:15]
	s_wait_dscnt 0x0
	s_barrier_signal -1
	s_barrier_wait -1
	ds_load_b128 v[8:11], v66
	ds_load_b128 v[12:15], v66 offset:16
	ds_load_b128 v[98:101], v66 offset:32
	;; [unrolled: 1-line block ×5, first 2 shown]
	s_wait_dscnt 0x5
	v_lshrrev_b32_e32 v167, 16, v8
	s_wait_dscnt 0x4
	v_lshrrev_b32_e32 v160, 16, v12
	v_pk_add_f32 v[16:17], v[16:17], v[18:19]
	v_pk_add_f32 v[18:19], v[20:21], v[22:23]
	;; [unrolled: 1-line block ×3, first 2 shown]
	v_sub_f32_e32 v24, v97, v7
	v_pk_add_f32 v[22:23], v[26:27], v[30:31]
	v_dual_lshrrev_b32 v165, 16, v9 :: v_dual_lshrrev_b32 v161, 16, v10
	v_dual_lshrrev_b32 v159, 16, v11 :: v_dual_lshrrev_b32 v156, 16, v13
	s_delay_alu instid0(VALU_DEP_4)
	v_mul_f32_e32 v25, 0x3fb8aa3b, v24
	v_and_b32_e32 v169, 0xffff, v8
	v_and_b32_e32 v166, 0xffff, v10
	;; [unrolled: 1-line block ×4, first 2 shown]
	v_fma_f32 v26, 0x3fb8aa3b, v24, -v25
	v_rndne_f32_e32 v27, v25
	v_and_b32_e32 v163, 0xffff, v13
	s_wait_dscnt 0x3
	v_dual_lshrrev_b32 v145, 16, v100 :: v_dual_lshrrev_b32 v143, 16, v101
	s_delay_alu instid0(VALU_DEP_3)
	v_dual_fmac_f32 v26, 0x32a5705f, v24 :: v_dual_sub_f32 v25, v25, v27
	v_cvt_i32_f32_e32 v27, v27
	v_and_b32_e32 v146, 0xffff, v101
	s_wait_dscnt 0x2
	v_dual_lshrrev_b32 v144, 16, v102 :: v_dual_lshrrev_b32 v129, 16, v103
	v_add_f32_e32 v25, v25, v26
	v_sub_f32_e32 v26, v96, v6
	v_cmp_ngt_f32_e32 vcc_lo, 0xc2ce8ed0, v24
	v_and_b32_e32 v148, 0xffff, v102
	v_and_b32_e32 v147, 0xffff, v103
	s_wait_dscnt 0x1
	v_dual_lshrrev_b32 v112, 16, v118 :: v_dual_lshrrev_b32 v109, 16, v119
	v_mul_f32_e32 v28, 0x3fb8aa3b, v26
	v_cmp_ngt_f32_e64 s2, 0xc2ce8ed0, v26
	v_dual_lshrrev_b32 v103, 16, v120 :: v_dual_lshrrev_b32 v101, 16, v121
	v_and_b32_e32 v115, 0xffff, v118
	s_delay_alu instid0(VALU_DEP_4)
	v_fma_f32 v29, 0x3fb8aa3b, v26, -v28
	v_rndne_f32_e32 v30, v28
	v_and_b32_e32 v114, 0xffff, v119
	v_and_b32_e32 v110, 0xffff, v120
	;; [unrolled: 1-line block ×3, first 2 shown]
	v_fmac_f32_e32 v29, 0x32a5705f, v26
	v_sub_f32_e32 v28, v28, v30
	s_wait_dscnt 0x0
	v_dual_lshrrev_b32 v102, 16, v122 :: v_dual_lshrrev_b32 v11, 16, v123
	v_dual_lshrrev_b32 v10, 16, v124 :: v_dual_lshrrev_b32 v8, 16, v125
	s_delay_alu instid0(VALU_DEP_3)
	v_add_f32_e32 v28, v28, v29
	v_exp_f32_e32 v25, v25
	v_and_b32_e32 v107, 0xffff, v122
	v_and_b32_e32 v108, 0xffff, v123
	;; [unrolled: 1-line block ×3, first 2 shown]
	v_exp_f32_e32 v28, v28
	v_and_b32_e32 v13, 0xffff, v125
	ds_load_b128 v[118:121], v66 offset:96
	ds_load_b128 v[122:125], v66 offset:112
	v_ldexp_f32 v25, v25, v27
	v_cvt_i32_f32_e32 v27, v30
	ds_load_b128 v[170:173], v66 offset:128
	ds_load_b128 v[174:177], v66 offset:144
	v_and_b32_e32 v168, 0xffff, v9
	v_dual_lshrrev_b32 v155, 16, v14 :: v_dual_lshrrev_b32 v153, 16, v15
	v_ldexp_f32 v27, v28, v27
	v_cndmask_b32_e32 v25, 0, v25, vcc_lo
	v_cmp_nlt_f32_e32 vcc_lo, 0x42b17218, v24
	v_and_b32_e32 v158, 0xffff, v14
	v_and_b32_e32 v157, 0xffff, v15
	v_cndmask_b32_e64 v24, 0, v27, s2
	v_cmp_nlt_f32_e64 s2, 0x42b17218, v26
	v_cndmask_b32_e32 v25, 0x7f800000, v25, vcc_lo
	v_and_b32_e32 v152, 0xffff, v99
	v_dual_lshrrev_b32 v151, 16, v98 :: v_dual_lshrrev_b32 v149, 16, v99
	s_delay_alu instid0(VALU_DEP_4) | instskip(SKIP_3) | instid1(VALU_DEP_4)
	v_cndmask_b32_e64 v24, 0x7f800000, v24, s2
	v_and_b32_e32 v154, 0xffff, v98
	v_and_b32_e32 v150, 0xffff, v100
	v_dual_lshrrev_b32 v128, 16, v104 :: v_dual_lshrrev_b32 v116, 16, v105
	v_pk_fma_f32 v[32:33], v[32:33], v[24:25], v[22:23]
	v_sub_f32_e32 v22, v95, v5
	v_and_b32_e32 v131, 0xffff, v104
	v_and_b32_e32 v130, 0xffff, v105
	v_mul_u32_u24_e32 v11, 0x10001, v11
	v_mul_u32_u24_e32 v12, 0x10001, v12
	v_mul_f32_e32 v23, 0x3fb8aa3b, v22
	v_cmp_ngt_f32_e32 vcc_lo, 0xc2ce8ed0, v22
	v_mul_u32_u24_e32 v10, 0x10001, v10
	v_mul_u32_u24_e32 v13, 0x10001, v13
	;; [unrolled: 1-line block ×3, first 2 shown]
	v_fma_f32 v26, 0x3fb8aa3b, v22, -v23
	v_rndne_f32_e32 v27, v23
	s_wait_dscnt 0x3
	v_and_b32_e32 v142, 0xffff, v118
	v_dual_lshrrev_b32 v140, 16, v118 :: v_dual_lshrrev_b32 v138, 16, v119
	s_delay_alu instid0(VALU_DEP_3)
	v_dual_fmac_f32 v26, 0x32a5705f, v22 :: v_dual_sub_f32 v23, v23, v27
	v_cvt_i32_f32_e32 v27, v27
	v_and_b32_e32 v141, 0xffff, v119
	v_and_b32_e32 v139, 0xffff, v120
	v_dual_lshrrev_b32 v134, 16, v120 :: v_dual_lshrrev_b32 v132, 16, v121
	v_dual_add_f32 v23, v23, v26 :: v_dual_sub_f32 v26, v94, v4
	ds_load_2addr_b64 v[94:97], v69 offset0:64 offset1:96
	s_wait_dscnt 0x3
	v_and_b32_e32 v136, 0xffff, v122
	v_and_b32_e32 v137, 0xffff, v123
	;; [unrolled: 1-line block ×3, first 2 shown]
	v_mul_f32_e32 v28, 0x3fb8aa3b, v26
	v_cmp_ngt_f32_e64 s2, 0xc2ce8ed0, v26
	v_exp_f32_e32 v23, v23
	v_dual_lshrrev_b32 v133, 16, v122 :: v_dual_lshrrev_b32 v105, 16, v123
	s_delay_alu instid0(VALU_DEP_3) | instskip(SKIP_2) | instid1(TRANS32_DEP_1)
	v_fma_f32 v29, 0x3fb8aa3b, v26, -v28
	v_rndne_f32_e32 v30, v28
	v_dual_lshrrev_b32 v104, 16, v124 :: v_dual_lshrrev_b32 v14, 16, v125
	v_ldexp_f32 v23, v23, v27
	s_delay_alu instid0(VALU_DEP_4) | instskip(NEXT) | instid1(VALU_DEP_4)
	v_fmac_f32_e32 v29, 0x32a5705f, v26
	v_sub_f32_e32 v28, v28, v30
	v_cvt_i32_f32_e32 v27, v30
	v_and_b32_e32 v113, 0xffff, v125
	v_cndmask_b32_e32 v23, 0, v23, vcc_lo
	v_cmp_nlt_f32_e32 vcc_lo, 0x42b17218, v22
	v_add_f32_e32 v28, v28, v29
	v_and_b32_e32 v111, 0xffff, v124
	s_wait_dscnt 0x2
	v_and_b32_e32 v127, 0xffff, v170
	v_dual_lshrrev_b32 v125, 16, v170 :: v_dual_lshrrev_b32 v123, 16, v171
	v_exp_f32_e32 v28, v28
	v_cndmask_b32_e32 v23, 0x7f800000, v23, vcc_lo
	v_and_b32_e32 v126, 0xffff, v171
	v_and_b32_e32 v124, 0xffff, v172
	v_dual_lshrrev_b32 v119, 16, v172 :: v_dual_lshrrev_b32 v117, 16, v173
	v_and_b32_e32 v120, 0xffff, v173
	s_delay_alu instid0(TRANS32_DEP_1)
	v_ldexp_f32 v27, v28, v27
	s_wait_dscnt 0x1
	v_dual_lshrrev_b32 v118, 16, v174 :: v_dual_lshrrev_b32 v98, 16, v175
	v_and_b32_e32 v122, 0xffff, v175
	v_dual_lshrrev_b32 v15, 16, v176 :: v_dual_lshrrev_b32 v9, 16, v177
	v_cndmask_b32_e64 v22, 0, v27, s2
	v_cmp_nlt_f32_e64 s2, 0x42b17218, v26
	v_and_b32_e32 v99, 0xffff, v176
	v_and_b32_e32 v100, 0xffff, v177
	v_mul_u32_u24_e32 v118, 0x10001, v118
	v_mul_u32_u24_e32 v15, 0x10001, v15
	v_cndmask_b32_e64 v22, 0x7f800000, v22, s2
	v_and_b32_e32 v121, 0xffff, v174
	v_mul_u32_u24_e32 v9, 0x10001, v9
	s_delay_alu instid0(VALU_DEP_3) | instskip(SKIP_1) | instid1(VALU_DEP_1)
	v_pk_fma_f32 v[34:35], v[34:35], v[22:23], v[20:21]
	v_sub_f32_e32 v20, v93, v3
	v_mul_f32_e32 v21, 0x3fb8aa3b, v20
	v_cmp_ngt_f32_e32 vcc_lo, 0xc2ce8ed0, v20
	s_delay_alu instid0(VALU_DEP_2) | instskip(SKIP_1) | instid1(VALU_DEP_1)
	v_fma_f32 v26, 0x3fb8aa3b, v20, -v21
	v_rndne_f32_e32 v27, v21
	v_dual_fmac_f32 v26, 0x32a5705f, v20 :: v_dual_sub_f32 v21, v21, v27
	v_cvt_i32_f32_e32 v27, v27
	s_delay_alu instid0(VALU_DEP_2) | instskip(SKIP_2) | instid1(VALU_DEP_2)
	v_add_f32_e32 v21, v21, v26
	v_sub_f32_e32 v26, v92, v2
	v_mul_u32_u24_e32 v92, 0x10001, v107
	v_mul_f32_e32 v28, 0x3fb8aa3b, v26
	v_cmp_ngt_f32_e64 s2, 0xc2ce8ed0, v26
	s_delay_alu instid0(VALU_DEP_2) | instskip(SKIP_1) | instid1(VALU_DEP_2)
	v_fma_f32 v29, 0x3fb8aa3b, v26, -v28
	v_rndne_f32_e32 v30, v28
	v_fmac_f32_e32 v29, 0x32a5705f, v26
	s_delay_alu instid0(VALU_DEP_2) | instskip(NEXT) | instid1(VALU_DEP_1)
	v_sub_f32_e32 v28, v28, v30
	v_add_f32_e32 v28, v28, v29
	v_exp_f32_e32 v21, v21
	s_delay_alu instid0(VALU_DEP_1) | instskip(NEXT) | instid1(TRANS32_DEP_2)
	v_exp_f32_e32 v28, v28
	v_ldexp_f32 v21, v21, v27
	v_cvt_i32_f32_e32 v27, v30
	s_delay_alu instid0(VALU_DEP_2)
	v_cndmask_b32_e32 v21, 0, v21, vcc_lo
	s_delay_alu instid0(TRANS32_DEP_1) | instid1(VALU_DEP_2)
	v_ldexp_f32 v27, v28, v27
	v_cmp_nlt_f32_e32 vcc_lo, 0x42b17218, v20
	s_delay_alu instid0(VALU_DEP_2) | instskip(SKIP_2) | instid1(VALU_DEP_2)
	v_cndmask_b32_e64 v20, 0, v27, s2
	v_cmp_nlt_f32_e64 s2, 0x42b17218, v26
	v_cndmask_b32_e32 v21, 0x7f800000, v21, vcc_lo
	v_cndmask_b32_e64 v20, 0x7f800000, v20, s2
	s_delay_alu instid0(VALU_DEP_1) | instskip(SKIP_2) | instid1(VALU_DEP_2)
	v_pk_fma_f32 v[36:37], v[36:37], v[20:21], v[18:19]
	v_sub_f32_e32 v18, v91, v1
	v_mul_u32_u24_e32 v91, 0x10001, v115
	v_mul_f32_e32 v19, 0x3fb8aa3b, v18
	v_cmp_ngt_f32_e32 vcc_lo, 0xc2ce8ed0, v18
	s_delay_alu instid0(VALU_DEP_2) | instskip(SKIP_1) | instid1(VALU_DEP_1)
	v_fma_f32 v26, 0x3fb8aa3b, v18, -v19
	v_rndne_f32_e32 v27, v19
	v_dual_fmac_f32 v26, 0x32a5705f, v18 :: v_dual_sub_f32 v19, v19, v27
	v_cvt_i32_f32_e32 v27, v27
	s_delay_alu instid0(VALU_DEP_2) | instskip(NEXT) | instid1(VALU_DEP_1)
	v_dual_add_f32 v19, v19, v26 :: v_dual_sub_f32 v26, v90, v0
	v_mul_f32_e32 v28, 0x3fb8aa3b, v26
	v_cmp_ngt_f32_e64 s2, 0xc2ce8ed0, v26
	s_delay_alu instid0(VALU_DEP_3) | instskip(NEXT) | instid1(VALU_DEP_2)
	v_exp_f32_e32 v19, v19
	v_fma_f32 v29, 0x3fb8aa3b, v26, -v28
	v_rndne_f32_e32 v30, v28
	s_delay_alu instid0(TRANS32_DEP_1) | instskip(NEXT) | instid1(VALU_DEP_3)
	v_ldexp_f32 v19, v19, v27
	v_fmac_f32_e32 v29, 0x32a5705f, v26
	s_delay_alu instid0(VALU_DEP_3) | instskip(SKIP_1) | instid1(VALU_DEP_4)
	v_sub_f32_e32 v28, v28, v30
	v_cvt_i32_f32_e32 v27, v30
	v_cndmask_b32_e32 v19, 0, v19, vcc_lo
	v_cmp_nlt_f32_e32 vcc_lo, 0x42b17218, v18
	s_delay_alu instid0(VALU_DEP_2) | instskip(NEXT) | instid1(VALU_DEP_1)
	v_dual_add_f32 v28, v28, v29 :: v_dual_cndmask_b32 v19, 0x7f800000, v19
	v_exp_f32_e32 v28, v28
	v_nop
	s_delay_alu instid0(TRANS32_DEP_1) | instskip(NEXT) | instid1(VALU_DEP_1)
	v_ldexp_f32 v27, v28, v27
	v_cndmask_b32_e64 v18, 0, v27, s2
	v_cmp_nlt_f32_e64 s2, 0x42b17218, v26
	s_delay_alu instid0(VALU_DEP_1) | instskip(SKIP_1) | instid1(SALU_CYCLE_1)
	v_cndmask_b32_e64 v18, 0x7f800000, v18, s2
	s_or_b32 s2, s18, 32
	s_ashr_i32 s3, s2, 31
	s_delay_alu instid0(VALU_DEP_1)
	v_pk_fma_f32 v[38:39], v[38:39], v[18:19], v[16:17]
	v_cvt_f16_f32_e32 v16, v18
	v_cvt_f16_f32_e32 v17, v19
	;; [unrolled: 1-line block ×5, first 2 shown]
	v_and_b32_e32 v16, 0xffff, v16
	v_cvt_f16_f32_e32 v21, v23
	v_cvt_f16_f32_e32 v22, v24
	;; [unrolled: 1-line block ×3, first 2 shown]
	s_mul_u64 s[2:3], s[2:3], s[22:23]
	v_mul_u32_u24_e32 v16, 0x10001, v16
	s_lshl_b64 s[2:3], s[2:3], 2
	s_delay_alu instid0(SALU_CYCLE_1) | instskip(NEXT) | instid1(VALU_DEP_1)
	s_add_nc_u64 s[2:3], s[44:45], s[2:3]
	v_pk_mul_f16 v24, v88, v16
	v_pk_mul_f16 v25, v89, v16
	v_and_b32_e32 v16, 0xffff, v17
	s_delay_alu instid0(VALU_DEP_1) | instskip(NEXT) | instid1(VALU_DEP_1)
	v_mul_u32_u24_e32 v16, 0x10001, v16
	v_pk_mul_f16 v26, v86, v16
	v_pk_mul_f16 v27, v87, v16
	v_and_b32_e32 v16, 0xffff, v18
	s_delay_alu instid0(VALU_DEP_1) | instskip(NEXT) | instid1(VALU_DEP_1)
	v_mul_u32_u24_e32 v16, 0x10001, v16
	;; [unrolled: 5-line block ×4, first 2 shown]
	v_pk_mul_f16 v20, v80, v16
	v_pk_mul_f16 v80, v81, v16
	v_and_b32_e32 v16, 0xffff, v21
	v_mul_u32_u24_e32 v81, 0x10001, v163
	s_delay_alu instid0(VALU_DEP_2) | instskip(NEXT) | instid1(VALU_DEP_1)
	v_mul_u32_u24_e32 v16, 0x10001, v16
	v_pk_mul_f16 v21, v78, v16
	v_pk_mul_f16 v78, v79, v16
	v_and_b32_e32 v16, 0xffff, v22
	s_delay_alu instid0(VALU_DEP_1) | instskip(NEXT) | instid1(VALU_DEP_1)
	v_mul_u32_u24_e32 v16, 0x10001, v16
	v_pk_mul_f16 v22, v76, v16
	v_pk_mul_f16 v76, v77, v16
	v_and_b32_e32 v16, 0xffff, v23
	s_delay_alu instid0(VALU_DEP_1) | instskip(NEXT) | instid1(VALU_DEP_1)
	v_mul_u32_u24_e32 v16, 0x10001, v16
	v_pk_mul_f16 v23, v74, v16
	v_pk_mul_f16 v74, v75, v16
	ds_load_2addr_b64 v[16:19], v69 offset1:32
	v_mul_u32_u24_e32 v75, 0x10001, v169
	s_wait_dscnt 0x0
	s_delay_alu instid0(VALU_DEP_1) | instskip(SKIP_2) | instid1(VALU_DEP_1)
	v_pk_fma_f16 v24, v16, v75, v24
	v_pk_fma_f16 v25, v17, v75, v25
	v_mul_u32_u24_e32 v75, 0x10001, v167
	v_pk_fma_f16 v26, v16, v75, v26
	v_pk_fma_f16 v27, v17, v75, v27
	v_mul_u32_u24_e32 v75, 0x10001, v168
	s_delay_alu instid0(VALU_DEP_1) | instskip(SKIP_2) | instid1(VALU_DEP_3)
	v_pk_fma_f16 v28, v16, v75, v28
	v_pk_fma_f16 v29, v17, v75, v29
	v_mul_u32_u24_e32 v75, 0x10001, v165
	v_pk_fma_f16 v28, v18, v81, v28
	s_delay_alu instid0(VALU_DEP_3) | instskip(NEXT) | instid1(VALU_DEP_3)
	v_pk_fma_f16 v29, v19, v81, v29
	v_pk_fma_f16 v30, v16, v75, v30
	;; [unrolled: 1-line block ×3, first 2 shown]
	v_mul_u32_u24_e32 v75, 0x10001, v166
	s_delay_alu instid0(VALU_DEP_1) | instskip(SKIP_2) | instid1(VALU_DEP_2)
	v_pk_fma_f16 v77, v16, v75, v20
	v_mul_u32_u24_e32 v20, 0x10001, v161
	v_pk_fma_f16 v75, v17, v75, v80
	v_pk_fma_f16 v79, v16, v20, v21
	;; [unrolled: 1-line block ×3, first 2 shown]
	v_mul_u32_u24_e32 v20, 0x10001, v162
	v_mul_u32_u24_e32 v21, 0x10001, v164
	ds_load_b128 v[164:167], v66 offset:272
	v_pk_fma_f16 v80, v16, v20, v22
	v_pk_fma_f16 v76, v17, v20, v76
	v_mul_u32_u24_e32 v20, 0x10001, v159
	v_mul_u32_u24_e32 v22, 0x10001, v160
	v_pk_fma_f16 v82, v19, v21, v25
	v_mul_u32_u24_e32 v25, 0x10001, v158
	ds_load_b128 v[160:163], v66 offset:208
	v_pk_fma_f16 v17, v17, v20, v74
	v_pk_fma_f16 v74, v18, v21, v24
	;; [unrolled: 1-line block ×4, first 2 shown]
	v_mul_u32_u24_e32 v24, 0x10001, v156
	v_mul_u32_u24_e32 v26, 0x10001, v155
	;; [unrolled: 1-line block ×3, first 2 shown]
	v_pk_fma_f16 v16, v16, v20, v23
	ds_load_b128 v[20:23], v66 offset:160
	v_pk_fma_f16 v81, v18, v24, v30
	v_pk_fma_f16 v31, v19, v24, v31
	;; [unrolled: 1-line block ×8, first 2 shown]
	ds_load_b128 v[24:27], v66 offset:176
	v_mul_u32_u24_e32 v30, 0x10001, v153
	s_delay_alu instid0(VALU_DEP_1)
	v_pk_fma_f16 v88, v18, v30, v16
	v_pk_fma_f16 v17, v19, v30, v17
	v_mul_u32_u24_e32 v19, 0x10001, v154
	s_wait_dscnt 0x1
	v_lshrrev_b32_e32 v156, 16, v20
	v_and_b32_e32 v158, 0xffff, v20
	v_lshrrev_b32_e32 v80, 16, v22
	v_and_b32_e32 v155, 0xffff, v22
	v_dual_lshrrev_b32 v153, 16, v21 :: v_dual_lshrrev_b32 v30, 16, v23
	v_and_b32_e32 v157, 0xffff, v21
	v_and_b32_e32 v84, 0xffff, v23
	v_pk_fma_f16 v21, v94, v19, v74
	s_wait_dscnt 0x0
	v_dual_lshrrev_b32 v76, 16, v24 :: v_dual_lshrrev_b32 v20, 16, v25
	v_and_b32_e32 v93, 0xffff, v25
	v_mul_u32_u24_e32 v25, 0x10001, v152
	v_dual_lshrrev_b32 v18, 16, v26 :: v_dual_lshrrev_b32 v16, 16, v27
	v_and_b32_e32 v22, 0xffff, v26
	v_and_b32_e32 v26, 0xffff, v27
	s_delay_alu instid0(VALU_DEP_4)
	v_pk_fma_f16 v27, v94, v25, v28
	v_mul_u32_u24_e32 v28, 0x10001, v149
	v_pk_fma_f16 v19, v95, v19, v82
	v_mul_u32_u24_e32 v23, 0x10001, v151
	;; [unrolled: 2-line block ×3, first 2 shown]
	v_pk_fma_f16 v29, v94, v28, v81
	v_pk_fma_f16 v28, v95, v28, v31
	v_mul_u32_u24_e32 v31, 0x10001, v150
	ds_load_b128 v[148:151], v66 offset:192
	v_and_b32_e32 v89, 0xffff, v24
	v_pk_fma_f16 v24, v94, v23, v83
	v_pk_fma_f16 v23, v95, v23, v85
	;; [unrolled: 1-line block ×4, first 2 shown]
	v_mul_u32_u24_e32 v75, 0x10001, v145
	v_mul_u32_u24_e32 v81, 0x10001, v143
	;; [unrolled: 1-line block ×5, first 2 shown]
	v_pk_fma_f16 v77, v94, v75, v79
	v_pk_fma_f16 v75, v95, v75, v78
	v_mul_u32_u24_e32 v78, 0x10001, v146
	v_pk_fma_f16 v17, v95, v81, v17
	v_pk_fma_f16 v24, v96, v83, v24
	;; [unrolled: 1-line block ×3, first 2 shown]
	v_mul_u32_u24_e32 v83, 0x10001, v128
	v_pk_fma_f16 v79, v94, v78, v86
	v_pk_fma_f16 v86, v94, v81, v88
	v_pk_fma_f16 v81, v96, v82, v21
	v_pk_fma_f16 v82, v97, v82, v19
	v_mul_u32_u24_e32 v19, 0x10001, v129
	v_pk_fma_f16 v27, v96, v85, v27
	v_pk_fma_f16 v25, v97, v85, v25
	v_mul_u32_u24_e32 v21, 0x10001, v131
	v_mul_u32_u24_e32 v85, 0x10001, v130
	v_pk_fma_f16 v29, v96, v19, v29
	v_pk_fma_f16 v28, v97, v19, v28
	;; [unrolled: 1-line block ×4, first 2 shown]
	v_mul_u32_u24_e32 v19, 0x10001, v116
	s_wait_dscnt 0x0
	v_dual_lshrrev_b32 v143, 16, v148 :: v_dual_lshrrev_b32 v130, 16, v149
	v_dual_lshrrev_b32 v94, 16, v150 :: v_dual_lshrrev_b32 v75, 16, v151
	v_and_b32_e32 v147, 0xffff, v148
	v_and_b32_e32 v145, 0xffff, v149
	;; [unrolled: 1-line block ×4, first 2 shown]
	ds_load_2addr_b64 v[148:151], v69 offset0:128 offset1:160
	v_pk_fma_f16 v78, v95, v78, v87
	v_pk_fma_f16 v87, v96, v21, v74
	;; [unrolled: 1-line block ×7, first 2 shown]
	v_dual_lshrrev_b32 v85, 16, v160 :: v_dual_lshrrev_b32 v21, 16, v161
	v_dual_lshrrev_b32 v19, 16, v162 :: v_dual_lshrrev_b32 v17, 16, v163
	v_and_b32_e32 v128, 0xffff, v160
	v_and_b32_e32 v129, 0xffff, v161
	;; [unrolled: 1-line block ×4, first 2 shown]
	v_mul_u32_u24_e32 v96, 0x10001, v108
	ds_load_b128 v[160:163], v66 offset:240
	v_mul_u32_u24_e32 v95, 0x10001, v102
	v_mul_u32_u24_e32 v102, 0x10001, v133
	s_wait_dscnt 0x1
	v_pk_fma_f16 v81, v148, v91, v81
	v_pk_fma_f16 v82, v149, v91, v82
	v_mul_u32_u24_e32 v91, 0x10001, v112
	v_mul_u32_u24_e32 v84, 0x10001, v84
	;; [unrolled: 1-line block ×4, first 2 shown]
	v_pk_fma_f16 v82, v151, v92, v82
	v_pk_fma_f16 v24, v148, v91, v24
	;; [unrolled: 1-line block ×3, first 2 shown]
	v_mul_u32_u24_e32 v91, 0x10001, v114
	v_mul_u32_u24_e32 v114, 0x10001, v127
	;; [unrolled: 1-line block ×3, first 2 shown]
	v_pk_fma_f16 v24, v150, v95, v24
	v_mul_u32_u24_e32 v89, 0x10001, v89
	v_pk_fma_f16 v27, v148, v91, v27
	v_pk_fma_f16 v25, v149, v91, v25
	v_mul_u32_u24_e32 v91, 0x10001, v109
	v_mul_u32_u24_e32 v18, 0x10001, v18
	v_mul_u32_u24_e32 v131, 0x10001, v131
	v_pk_fma_f16 v97, v150, v96, v27
	s_wait_dscnt 0x0
	v_lshrrev_b32_e32 v27, 16, v161
	v_pk_fma_f16 v29, v148, v91, v29
	v_pk_fma_f16 v28, v149, v91, v28
	v_mul_u32_u24_e32 v91, 0x10001, v110
	v_pk_fma_f16 v25, v151, v96, v25
	v_mul_u32_u24_e32 v94, 0x10001, v94
	v_pk_fma_f16 v29, v150, v11, v29
	v_pk_fma_f16 v11, v151, v11, v28
	;; [unrolled: 1-line block ×4, first 2 shown]
	v_mul_u32_u24_e32 v91, 0x10001, v103
	v_and_b32_e32 v103, 0xffff, v160
	v_mul_u32_u24_e32 v130, 0x10001, v130
	v_pk_fma_f16 v28, v150, v12, v87
	v_pk_fma_f16 v12, v151, v12, v88
	;; [unrolled: 1-line block ×4, first 2 shown]
	v_mul_u32_u24_e32 v91, 0x10001, v106
	ds_load_b128 v[106:109], v66 offset:224
	v_mul_u32_u24_e32 v88, 0x10001, v142
	v_pk_fma_f16 v87, v150, v10, v77
	v_pk_fma_f16 v83, v151, v10, v83
	;; [unrolled: 1-line block ×4, first 2 shown]
	v_mul_u32_u24_e32 v91, 0x10001, v101
	v_lshrrev_b32_e32 v10, 16, v163
	v_and_b32_e32 v77, 0xffff, v162
	v_pk_fma_f16 v79, v150, v13, v79
	v_pk_fma_f16 v13, v151, v13, v78
	;; [unrolled: 1-line block ×6, first 2 shown]
	v_lshrrev_b32_e32 v23, 16, v162
	v_pk_fma_f16 v78, v150, v8, v86
	v_pk_fma_f16 v8, v151, v8, v90
	v_lshrrev_b32_e32 v90, 16, v160
	v_and_b32_e32 v81, 0xffff, v163
	s_wait_dscnt 0x0
	v_dual_lshrrev_b32 v144, 16, v106 :: v_dual_lshrrev_b32 v112, 16, v107
	v_and_b32_e32 v146, 0xffff, v107
	v_and_b32_e32 v107, 0xffff, v161
	ds_load_2addr_b64 v[160:163], v69 offset0:192 offset1:224
	v_and_b32_e32 v148, 0xffff, v106
	v_mul_u32_u24_e32 v106, 0x10001, v137
	v_dual_lshrrev_b32 v95, 16, v108 :: v_dual_lshrrev_b32 v86, 16, v109
	v_and_b32_e32 v101, 0xffff, v109
	v_mul_u32_u24_e32 v75, 0x10001, v75
	v_mul_u32_u24_e32 v85, 0x10001, v85
	;; [unrolled: 1-line block ×3, first 2 shown]
	v_and_b32_e32 v115, 0xffff, v108
	v_mul_u32_u24_e32 v112, 0x10001, v112
	v_mul_u32_u24_e32 v95, 0x10001, v95
	;; [unrolled: 1-line block ×10, first 2 shown]
	s_wait_dscnt 0x0
	v_pk_fma_f16 v91, v160, v88, v91
	v_pk_fma_f16 v82, v161, v88, v82
	v_mul_u32_u24_e32 v88, 0x10001, v140
	v_mul_u32_u24_e32 v23, 0x10001, v23
	;; [unrolled: 1-line block ×4, first 2 shown]
	v_and_b32_e32 v108, 0xffff, v165
	v_pk_fma_f16 v24, v160, v88, v24
	v_pk_fma_f16 v88, v161, v88, v92
	v_mul_u32_u24_e32 v92, 0x10001, v141
	s_delay_alu instid0(VALU_DEP_4) | instskip(NEXT) | instid1(VALU_DEP_4)
	v_mul_u32_u24_e32 v108, 0x10001, v108
	v_pk_fma_f16 v109, v162, v102, v24
	s_delay_alu instid0(VALU_DEP_4) | instskip(NEXT) | instid1(VALU_DEP_4)
	v_pk_fma_f16 v88, v163, v102, v88
	v_pk_fma_f16 v96, v160, v92, v97
	;; [unrolled: 1-line block ×3, first 2 shown]
	v_mul_u32_u24_e32 v92, 0x10001, v138
	v_mul_u32_u24_e32 v97, 0x10001, v136
	;; [unrolled: 1-line block ×3, first 2 shown]
	v_pk_fma_f16 v110, v162, v106, v96
	v_mul_u32_u24_e32 v96, 0x10001, v113
	v_pk_fma_f16 v29, v160, v92, v29
	v_pk_fma_f16 v11, v161, v92, v11
	v_mul_u32_u24_e32 v92, 0x10001, v139
	ds_load_b128 v[136:139], v66 offset:256
	v_pk_fma_f16 v25, v163, v106, v25
	v_pk_fma_f16 v29, v162, v24, v29
	;; [unrolled: 1-line block ×5, first 2 shown]
	v_mul_u32_u24_e32 v92, 0x10001, v134
	v_mul_u32_u24_e32 v11, 0x10001, v14
	v_lshrrev_b32_e32 v24, 16, v166
	s_delay_alu instid0(VALU_DEP_3) | instskip(SKIP_2) | instid1(VALU_DEP_1)
	v_pk_fma_f16 v87, v160, v92, v87
	v_pk_fma_f16 v83, v161, v92, v83
	v_mul_u32_u24_e32 v92, 0x10001, v135
	v_pk_fma_f16 v79, v160, v92, v79
	v_pk_fma_f16 v13, v161, v92, v13
	v_mul_u32_u24_e32 v92, 0x10001, v132
	s_wait_dscnt 0x0
	v_lshrrev_b32_e32 v133, 16, v136
	v_and_b32_e32 v135, 0xffff, v136
	v_pk_fma_f16 v79, v162, v96, v79
	v_pk_fma_f16 v13, v163, v96, v13
	;; [unrolled: 1-line block ×5, first 2 shown]
	v_mul_u32_u24_e32 v91, 0x10001, v104
	v_pk_fma_f16 v97, v163, v97, v82
	v_mul_u32_u24_e32 v82, 0x10001, v111
	v_dual_lshrrev_b32 v111, 16, v137 :: v_dual_lshrrev_b32 v96, 16, v138
	s_delay_alu instid0(VALU_DEP_4)
	v_pk_fma_f16 v113, v162, v91, v87
	v_lshrrev_b32_e32 v87, 16, v139
	v_and_b32_e32 v134, 0xffff, v137
	v_and_b32_e32 v132, 0xffff, v138
	;; [unrolled: 1-line block ×3, first 2 shown]
	ds_load_2addr_b64 v[136:139], v71 offset1:32
	v_pk_fma_f16 v106, v162, v82, v28
	v_pk_fma_f16 v12, v163, v82, v12
	;; [unrolled: 1-line block ×5, first 2 shown]
	v_dual_lshrrev_b32 v91, 16, v164 :: v_dual_lshrrev_b32 v28, 16, v165
	v_mul_u32_u24_e32 v133, 0x10001, v133
	v_mul_u32_u24_e32 v132, 0x10001, v132
	;; [unrolled: 1-line block ×3, first 2 shown]
	s_delay_alu instid0(VALU_DEP_4)
	v_mul_u32_u24_e32 v91, 0x10001, v91
	v_lshrrev_b32_e32 v11, 16, v167
	v_and_b32_e32 v104, 0xffff, v164
	v_and_b32_e32 v82, 0xffff, v167
	v_mul_u32_u24_e32 v135, 0x10001, v135
	v_mul_u32_u24_e32 v134, 0x10001, v134
	;; [unrolled: 1-line block ×5, first 2 shown]
	s_wait_dscnt 0x0
	v_pk_fma_f16 v92, v136, v114, v92
	v_pk_fma_f16 v97, v137, v114, v97
	v_mul_u32_u24_e32 v114, 0x10001, v125
	v_mul_u32_u24_e32 v104, 0x10001, v104
	;; [unrolled: 1-line block ×5, first 2 shown]
	v_pk_fma_f16 v109, v136, v114, v109
	v_pk_fma_f16 v88, v137, v114, v88
	v_mul_u32_u24_e32 v114, 0x10001, v126
	v_and_b32_e32 v78, 0xffff, v166
	v_mul_u32_u24_e32 v24, 0x10001, v24
	s_delay_alu instid0(VALU_DEP_3) | instskip(SKIP_3) | instid1(VALU_DEP_2)
	v_pk_fma_f16 v110, v136, v114, v110
	v_pk_fma_f16 v25, v137, v114, v25
	v_mul_u32_u24_e32 v114, 0x10001, v123
	v_mul_u32_u24_e32 v78, 0x10001, v78
	v_pk_fma_f16 v29, v136, v114, v29
	v_pk_fma_f16 v105, v137, v114, v105
	v_mul_u32_u24_e32 v114, 0x10001, v124
	ds_load_b128 v[124:127], v66 offset:288
	v_pk_fma_f16 v106, v136, v114, v106
	v_pk_fma_f16 v12, v137, v114, v12
	v_mul_u32_u24_e32 v114, 0x10001, v119
	v_mul_u32_u24_e32 v119, 0x10001, v122
	s_delay_alu instid0(VALU_DEP_2) | instskip(SKIP_2) | instid1(VALU_DEP_4)
	v_pk_fma_f16 v113, v136, v114, v113
	v_pk_fma_f16 v83, v137, v114, v83
	v_mul_u32_u24_e32 v114, 0x10001, v120
	v_pk_fma_f16 v110, v138, v119, v110
	s_delay_alu instid0(VALU_DEP_4) | instskip(NEXT) | instid1(VALU_DEP_4)
	v_pk_fma_f16 v141, v138, v15, v113
	v_pk_fma_f16 v142, v139, v15, v83
	s_delay_alu instid0(VALU_DEP_4) | instskip(SKIP_3) | instid1(VALU_DEP_2)
	v_pk_fma_f16 v79, v136, v114, v79
	v_pk_fma_f16 v13, v137, v114, v13
	v_mul_u32_u24_e32 v114, 0x10001, v117
	v_mul_u32_u24_e32 v117, 0x10001, v121
	v_pk_fma_f16 v120, v136, v114, v14
	v_pk_fma_f16 v8, v137, v114, v8
	v_pk_fma_f16 v136, v138, v118, v109
	v_pk_fma_f16 v118, v139, v118, v88
	v_pk_fma_f16 v137, v139, v119, v25
	v_mul_u32_u24_e32 v14, 0x10001, v98
	v_mul_u32_u24_e32 v25, 0x10001, v99
	;; [unrolled: 1-line block ×3, first 2 shown]
	v_pk_fma_f16 v114, v138, v117, v92
	v_pk_fma_f16 v120, v138, v9, v120
	;; [unrolled: 1-line block ×6, first 2 shown]
	ds_load_b128 v[12:15], v66 offset:304
	v_pk_fma_f16 v106, v138, v25, v106
	v_pk_fma_f16 v149, v138, v88, v79
	;; [unrolled: 1-line block ×4, first 2 shown]
	s_wait_dscnt 0x1
	v_dual_lshrrev_b32 v119, 16, v124 :: v_dual_lshrrev_b32 v113, 16, v125
	v_and_b32_e32 v123, 0xffff, v124
	v_mul_u32_u24_e32 v124, 0x10001, v158
	v_dual_lshrrev_b32 v97, 16, v126 :: v_dual_lshrrev_b32 v88, 16, v127
	v_and_b32_e32 v117, 0xffff, v126
	v_mul_u32_u24_e32 v126, 0x10001, v153
	v_and_b32_e32 v121, 0xffff, v125
	v_and_b32_e32 v99, 0xffff, v127
	v_mul_u32_u24_e32 v123, 0x10001, v123
	v_mul_u32_u24_e32 v119, 0x10001, v119
	;; [unrolled: 1-line block ×5, first 2 shown]
	s_wait_dscnt 0x0
	v_dual_lshrrev_b32 v92, 16, v12 :: v_dual_lshrrev_b32 v29, 16, v13
	v_dual_lshrrev_b32 v25, 16, v14 :: v_dual_lshrrev_b32 v9, 16, v15
	v_and_b32_e32 v105, 0xffff, v12
	v_and_b32_e32 v109, 0xffff, v13
	;; [unrolled: 1-line block ×4, first 2 shown]
	ds_load_2addr_b64 v[12:15], v71 offset0:64 offset1:96
	v_mul_u32_u24_e32 v97, 0x10001, v97
	v_mul_u32_u24_e32 v99, 0x10001, v99
	;; [unrolled: 1-line block ×11, first 2 shown]
	s_wait_dscnt 0x0
	v_pk_fma_f16 v114, v12, v124, v114
	v_pk_fma_f16 v122, v13, v124, v122
	v_mul_u32_u24_e32 v124, 0x10001, v156
	v_pk_fma_f16 v98, v12, v126, v98
	v_pk_fma_f16 v100, v13, v126, v100
	v_mul_u32_u24_e32 v126, 0x10001, v155
	v_pk_fma_f16 v138, v12, v84, v149
	v_pk_fma_f16 v125, v12, v124, v136
	;; [unrolled: 1-line block ×3, first 2 shown]
	v_mul_u32_u24_e32 v124, 0x10001, v157
	v_pk_fma_f16 v136, v13, v126, v140
	v_pk_fma_f16 v84, v13, v84, v150
	;; [unrolled: 1-line block ×8, first 2 shown]
	v_mul_u32_u24_e32 v13, 0x10001, v20
	v_pk_fma_f16 v12, v12, v30, v120
	v_pk_fma_f16 v142, v14, v76, v125
	;; [unrolled: 1-line block ×3, first 2 shown]
	ds_load_b128 v[124:127], v66 offset:320
	v_mul_u32_u24_e32 v20, 0x10001, v22
	v_mul_u32_u24_e32 v22, 0x10001, v26
	v_pk_fma_f16 v151, v14, v13, v98
	v_pk_fma_f16 v152, v15, v13, v100
	v_mul_u32_u24_e32 v13, 0x10001, v16
	v_pk_fma_f16 v140, v14, v89, v114
	v_pk_fma_f16 v141, v15, v89, v122
	;; [unrolled: 1-line block ×10, first 2 shown]
	ds_load_b128 v[136:139], v66 offset:336
	v_pk_fma_f16 v16, v14, v13, v12
	v_pk_fma_f16 v156, v15, v13, v8
	ds_load_2addr_b64 v[12:15], v71 offset0:128 offset1:160
	s_wait_dscnt 0x2
	v_dual_lshrrev_b32 v98, 16, v126 :: v_dual_lshrrev_b32 v89, 16, v127
	v_and_b32_e32 v100, 0xffff, v127
	v_mul_u32_u24_e32 v127, 0x10001, v143
	v_dual_lshrrev_b32 v120, 16, v124 :: v_dual_lshrrev_b32 v114, 16, v125
	v_and_b32_e32 v122, 0xffff, v125
	v_mul_u32_u24_e32 v125, 0x10001, v147
	v_and_b32_e32 v118, 0xffff, v126
	s_delay_alu instid0(VALU_DEP_4)
	v_mul_u32_u24_e32 v120, 0x10001, v120
	v_mul_u32_u24_e32 v114, 0x10001, v114
	v_and_b32_e32 v124, 0xffff, v124
	v_mul_u32_u24_e32 v98, 0x10001, v98
	v_mul_u32_u24_e32 v89, 0x10001, v89
	s_wait_dscnt 0x1
	v_dual_lshrrev_b32 v93, 16, v136 :: v_dual_lshrrev_b32 v30, 16, v137
	v_dual_lshrrev_b32 v26, 16, v138 :: v_dual_lshrrev_b32 v8, 16, v139
	v_and_b32_e32 v106, 0xffff, v136
	v_and_b32_e32 v84, 0xffff, v139
	s_wait_dscnt 0x0
	v_pk_fma_f16 v136, v12, v127, v142
	v_pk_fma_f16 v76, v13, v127, v76
	v_mul_u32_u24_e32 v127, 0x10001, v145
	v_pk_fma_f16 v139, v12, v131, v153
	v_pk_fma_f16 v20, v13, v131, v20
	;; [unrolled: 1-line block ×4, first 2 shown]
	v_mul_u32_u24_e32 v94, 0x10001, v116
	v_and_b32_e32 v110, 0xffff, v137
	v_pk_fma_f16 v126, v12, v125, v140
	v_pk_fma_f16 v137, v12, v127, v149
	;; [unrolled: 1-line block ×5, first 2 shown]
	v_mul_u32_u24_e32 v94, 0x10001, v128
	v_mul_u32_u24_e32 v128, 0x10001, v129
	v_and_b32_e32 v80, 0xffff, v138
	v_pk_fma_f16 v125, v13, v125, v141
	v_pk_fma_f16 v138, v12, v130, v151
	v_pk_fma_f16 v140, v14, v94, v126
	v_pk_fma_f16 v142, v14, v128, v137
	v_pk_fma_f16 v143, v15, v128, v127
	ds_load_b128 v[126:129], v66 offset:352
	v_pk_fma_f16 v12, v12, v75, v16
	v_mul_u32_u24_e32 v16, 0x10001, v21
	v_mul_u32_u24_e32 v21, 0x10001, v31
	v_pk_fma_f16 v94, v15, v94, v125
	v_pk_fma_f16 v125, v14, v85, v136
	v_mul_u32_u24_e32 v31, 0x10001, v74
	v_pk_fma_f16 v145, v14, v16, v138
	v_pk_fma_f16 v147, v14, v21, v139
	ds_load_b128 v[136:139], v66 offset:368
	v_pk_fma_f16 v130, v13, v130, v152
	v_pk_fma_f16 v13, v13, v75, v156
	;; [unrolled: 1-line block ×8, first 2 shown]
	v_mul_u32_u24_e32 v16, 0x10001, v17
	v_pk_fma_f16 v131, v14, v19, v131
	s_wait_dscnt 0x1
	v_dual_lshrrev_b32 v75, 16, v126 :: v_dual_lshrrev_b32 v31, 16, v127
	v_dual_lshrrev_b32 v21, 16, v128 :: v_dual_lshrrev_b32 v18, 16, v129
	v_and_b32_e32 v85, 0xffff, v126
	v_and_b32_e32 v76, 0xffff, v127
	;; [unrolled: 1-line block ×4, first 2 shown]
	ds_load_2addr_b64 v[126:129], v71 offset0:192 offset1:224
	s_wait_dscnt 0x1
	v_lshrrev_b32_e32 v17, 16, v136
	v_and_b32_e32 v20, 0xffff, v136
	v_mul_u32_u24_e32 v136, 0x10001, v148
	v_pk_fma_f16 v152, v14, v16, v12
	v_pk_fma_f16 v153, v15, v16, v13
	v_dual_lshrrev_b32 v14, 16, v137 :: v_dual_lshrrev_b32 v13, 16, v138
	v_lshrrev_b32_e32 v12, 16, v139
	v_and_b32_e32 v19, 0xffff, v137
	v_and_b32_e32 v15, 0xffff, v138
	v_mul_u32_u24_e32 v138, 0x10001, v146
	v_and_b32_e32 v16, 0xffff, v139
	v_mul_u32_u24_e32 v124, 0x10001, v124
	v_mul_u32_u24_e32 v93, 0x10001, v93
	;; [unrolled: 1-line block ×7, first 2 shown]
	s_wait_dscnt 0x0
	v_pk_fma_f16 v137, v126, v136, v140
	v_pk_fma_f16 v94, v127, v136, v94
	v_mul_u32_u24_e32 v136, 0x10001, v144
	v_pk_fma_f16 v139, v126, v138, v142
	v_pk_fma_f16 v138, v127, v138, v143
	v_pk_fma_f16 v140, v126, v112, v145
	v_pk_fma_f16 v112, v127, v112, v130
	v_pk_fma_f16 v125, v126, v136, v125
	v_pk_fma_f16 v136, v127, v136, v141
	v_pk_fma_f16 v130, v126, v115, v147
	v_pk_fma_f16 v115, v127, v115, v149
	v_pk_fma_f16 v131, v126, v95, v131
	v_pk_fma_f16 v95, v127, v95, v150
	v_pk_fma_f16 v116, v126, v101, v116
	v_pk_fma_f16 v101, v127, v101, v151
	v_pk_fma_f16 v126, v126, v86, v152
	v_pk_fma_f16 v86, v127, v86, v153
	v_pk_fma_f16 v144, v128, v103, v137
	v_pk_fma_f16 v145, v129, v103, v94
	v_pk_fma_f16 v146, v128, v90, v125
	v_pk_fma_f16 v147, v129, v90, v136
	v_pk_fma_f16 v148, v128, v107, v139
	v_pk_fma_f16 v149, v129, v107, v138
	ds_load_b128 v[136:139], v66 offset:384
	v_pk_fma_f16 v150, v128, v27, v140
	v_pk_fma_f16 v151, v129, v27, v112
	;; [unrolled: 1-line block ×10, first 2 shown]
	ds_load_2addr_b64 v[126:129], v72 offset1:32
	ds_load_b128 v[140:143], v66 offset:400
	v_mul_u32_u24_e32 v75, 0x10001, v75
	v_mul_u32_u24_e32 v76, 0x10001, v76
	v_mul_u32_u24_e32 v31, 0x10001, v31
	v_mul_u32_u24_e32 v21, 0x10001, v21
	v_mul_u32_u24_e32 v22, 0x10001, v22
	v_mul_u32_u24_e32 v17, 0x10001, v17
	v_mul_u32_u24_e32 v14, 0x10001, v14
	s_wait_dscnt 0x2
	v_dual_lshrrev_b32 v115, 16, v136 :: v_dual_lshrrev_b32 v103, 16, v137
	v_and_b32_e32 v116, 0xffff, v137
	v_dual_lshrrev_b32 v101, 16, v138 :: v_dual_lshrrev_b32 v94, 16, v139
	v_and_b32_e32 v125, 0xffff, v136
	v_and_b32_e32 v112, 0xffff, v138
	;; [unrolled: 1-line block ×3, first 2 shown]
	v_mul_u32_u24_e32 v15, 0x10001, v15
	v_mul_u32_u24_e32 v16, 0x10001, v16
	;; [unrolled: 1-line block ×3, first 2 shown]
	s_wait_dscnt 0x1
	v_pk_fma_f16 v137, v126, v133, v146
	v_pk_fma_f16 v133, v127, v133, v147
	s_wait_dscnt 0x0
	v_dual_lshrrev_b32 v86, 16, v140 :: v_dual_lshrrev_b32 v27, 16, v141
	v_dual_lshrrev_b32 v23, 16, v142 :: v_dual_lshrrev_b32 v10, 16, v143
	v_and_b32_e32 v95, 0xffff, v140
	v_and_b32_e32 v90, 0xffff, v141
	;; [unrolled: 1-line block ×3, first 2 shown]
	v_pk_fma_f16 v140, v126, v132, v130
	v_pk_fma_f16 v141, v127, v132, v152
	;; [unrolled: 1-line block ×4, first 2 shown]
	ds_load_b128 v[130:133], v66 offset:416
	v_and_b32_e32 v81, 0xffff, v143
	v_pk_fma_f16 v136, v126, v135, v144
	v_pk_fma_f16 v135, v127, v135, v145
	;; [unrolled: 1-line block ×20, first 2 shown]
	ds_load_b128 v[134:137], v66 offset:432
	v_pk_fma_f16 v152, v128, v11, v126
	v_pk_fma_f16 v153, v129, v11, v87
	s_wait_dscnt 0x1
	v_dual_lshrrev_b32 v91, 16, v130 :: v_dual_lshrrev_b32 v82, 16, v131
	v_dual_lshrrev_b32 v28, 16, v132 :: v_dual_lshrrev_b32 v11, 16, v133
	v_and_b32_e32 v111, 0xffff, v130
	v_and_b32_e32 v108, 0xffff, v131
	;; [unrolled: 1-line block ×4, first 2 shown]
	ds_load_2addr_b64 v[130:133], v72 offset0:64 offset1:96
	v_pk_fma_f16 v140, v128, v78, v140
	v_pk_fma_f16 v141, v129, v78, v141
	;; [unrolled: 1-line block ×4, first 2 shown]
	v_mul_u32_u24_e32 v20, 0x10001, v20
	v_mul_u32_u24_e32 v12, 0x10001, v12
	;; [unrolled: 1-line block ×4, first 2 shown]
	s_wait_dscnt 0x1
	v_dual_lshrrev_b32 v96, 16, v134 :: v_dual_lshrrev_b32 v87, 16, v135
	v_dual_lshrrev_b32 v78, 16, v136 :: v_dual_lshrrev_b32 v24, 16, v137
	v_and_b32_e32 v126, 0xffff, v134
	v_and_b32_e32 v127, 0xffff, v135
	;; [unrolled: 1-line block ×4, first 2 shown]
	v_mul_u32_u24_e32 v23, 0x10001, v23
	v_mul_u32_u24_e32 v10, 0x10001, v10
	;; [unrolled: 1-line block ×3, first 2 shown]
	s_wait_dscnt 0x0
	v_pk_fma_f16 v134, v130, v123, v144
	v_pk_fma_f16 v123, v131, v123, v145
	;; [unrolled: 1-line block ×32, first 2 shown]
	ds_load_2addr_b64 v[130:133], v72 offset0:128 offset1:160
	ds_load_b128 v[134:137], v66 offset:448
	ds_load_b128 v[138:141], v66 offset:464
	v_mul_u32_u24_e32 v28, 0x10001, v28
	v_mul_u32_u24_e32 v11, 0x10001, v11
	;; [unrolled: 1-line block ×5, first 2 shown]
	s_wait_dscnt 0x2
	v_pk_fma_f16 v123, v130, v120, v123
	v_pk_fma_f16 v92, v131, v120, v92
	v_mul_u32_u24_e32 v120, 0x10001, v122
	v_pk_fma_f16 v122, v130, v114, v121
	v_pk_fma_f16 v29, v131, v114, v29
	v_mul_u32_u24_e32 v114, 0x10001, v118
	v_pk_fma_f16 v25, v131, v98, v25
	s_wait_dscnt 0x1
	v_dual_lshrrev_b32 v88, 16, v134 :: v_dual_lshrrev_b32 v143, 16, v135
	v_and_b32_e32 v146, 0xffff, v134
	v_pk_fma_f16 v113, v130, v114, v113
	v_pk_fma_f16 v79, v131, v114, v79
	;; [unrolled: 1-line block ×3, first 2 shown]
	v_mul_u32_u24_e32 v98, 0x10001, v100
	v_pk_fma_f16 v134, v130, v124, v142
	v_pk_fma_f16 v105, v131, v124, v105
	;; [unrolled: 1-line block ×3, first 2 shown]
	v_mul_u32_u24_e32 v100, 0x10001, v110
	v_pk_fma_f16 v97, v130, v98, v97
	v_pk_fma_f16 v83, v131, v98, v83
	v_mul_u32_u24_e32 v98, 0x10001, v106
	v_pk_fma_f16 v109, v131, v120, v109
	v_pk_fma_f16 v99, v130, v89, v99
	;; [unrolled: 1-line block ×8, first 2 shown]
	ds_load_b128 v[118:121], v66 offset:480
	v_dual_lshrrev_b32 v144, 16, v136 :: v_dual_lshrrev_b32 v145, 16, v137
	v_and_b32_e32 v147, 0xffff, v135
	v_and_b32_e32 v148, 0xffff, v136
	;; [unrolled: 1-line block ×3, first 2 shown]
	v_pk_fma_f16 v100, v133, v100, v109
	v_pk_fma_f16 v106, v132, v30, v122
	v_pk_fma_f16 v29, v133, v30, v29
	v_pk_fma_f16 v30, v132, v80, v113
	v_pk_fma_f16 v79, v133, v80, v79
	v_pk_fma_f16 v80, v132, v26, v114
	v_pk_fma_f16 v25, v133, v26, v25
	v_pk_fma_f16 v26, v132, v84, v97
	ds_load_b128 v[134:137], v66 offset:496
	v_pk_fma_f16 v83, v133, v84, v83
	v_pk_fma_f16 v84, v132, v8, v99
	v_pk_fma_f16 v8, v133, v8, v9
	v_mul_u32_u24_e32 v9, 0x10001, v85
	v_mul_u32_u24_e32 v99, 0x10001, v116
	s_wait_dscnt 0x1
	v_dual_lshrrev_b32 v97, 16, v118 :: v_dual_lshrrev_b32 v109, 16, v119
	v_dual_lshrrev_b32 v110, 16, v120 :: v_dual_lshrrev_b32 v113, 16, v121
	v_and_b32_e32 v122, 0xffff, v118
	v_and_b32_e32 v123, 0xffff, v119
	;; [unrolled: 1-line block ×4, first 2 shown]
	ds_load_2addr_b64 v[118:121], v72 offset0:192 offset1:224
	v_dual_lshrrev_b32 v150, 16, v138 :: v_dual_lshrrev_b32 v151, 16, v139
	v_dual_lshrrev_b32 v152, 16, v140 :: v_dual_lshrrev_b32 v153, 16, v141
	v_and_b32_e32 v138, 0xffff, v138
	v_and_b32_e32 v139, 0xffff, v139
	;; [unrolled: 1-line block ×4, first 2 shown]
	v_mul_u32_u24_e32 v88, 0x10001, v88
	s_wait_dscnt 0x1
	v_dual_lshrrev_b32 v131, 16, v134 :: v_dual_lshrrev_b32 v132, 16, v135
	v_dual_lshrrev_b32 v133, 16, v136 :: v_dual_lshrrev_b32 v142, 16, v137
	v_and_b32_e32 v134, 0xffff, v134
	v_and_b32_e32 v135, 0xffff, v135
	v_and_b32_e32 v136, 0xffff, v136
	v_and_b32_e32 v137, 0xffff, v137
	v_mul_u32_u24_e32 v122, 0x10001, v122
	v_mul_u32_u24_e32 v97, 0x10001, v97
	s_wait_dscnt 0x0
	v_pk_fma_f16 v85, v118, v9, v89
	v_pk_fma_f16 v89, v118, v75, v105
	v_pk_fma_f16 v75, v119, v75, v92
	v_pk_fma_f16 v92, v118, v76, v93
	v_pk_fma_f16 v93, v118, v31, v106
	v_pk_fma_f16 v29, v119, v31, v29
	v_mul_u32_u24_e32 v31, 0x10001, v74
	v_pk_fma_f16 v80, v118, v21, v80
	v_pk_fma_f16 v21, v119, v21, v25
	;; [unrolled: 1-line block ×14, first 2 shown]
	ds_load_2addr_b64 v[14:17], v73 offset1:32
	v_pk_fma_f16 v9, v119, v9, v98
	v_pk_fma_f16 v76, v119, v76, v100
	;; [unrolled: 1-line block ×4, first 2 shown]
	v_mul_u32_u24_e32 v18, 0x10001, v19
	v_pk_fma_f16 v84, v120, v20, v85
	v_pk_fma_f16 v85, v121, v20, v9
	;; [unrolled: 1-line block ×6, first 2 shown]
	v_mul_u32_u24_e32 v83, 0x10001, v125
	v_mul_u32_u24_e32 v98, 0x10001, v115
	v_add_nc_u64_e32 v[8:9], s[2:3], v[46:47]
	v_add_nc_u64_e32 v[18:19], s[2:3], v[50:51]
	v_pk_fma_f16 v80, v120, v13, v80
	v_pk_fma_f16 v13, v121, v13, v21
	v_mul_u32_u24_e32 v100, 0x10001, v107
	ds_load_2addr_b64 v[114:117], v73 offset0:128 offset1:160
	s_wait_dscnt 0x1
	v_pk_fma_f16 v84, v14, v83, v84
	v_pk_fma_f16 v83, v15, v83, v85
	;; [unrolled: 1-line block ×5, first 2 shown]
	v_mul_u32_u24_e32 v92, 0x10001, v103
	v_mul_u32_u24_e32 v99, 0x10001, v101
	v_add_nc_u64_e32 v[8:9], v[8:9], v[48:49]
	v_add_nc_u64_e32 v[30:31], v[18:19], v[48:49]
	v_pk_fma_f16 v75, v15, v98, v75
	v_mul_u32_u24_e32 v98, 0x10001, v112
	v_pk_fma_f16 v93, v14, v92, v93
	v_pk_fma_f16 v29, v15, v92, v29
	;; [unrolled: 1-line block ×3, first 2 shown]
	v_mul_u32_u24_e32 v13, 0x10001, v94
	ds_load_2addr_b64 v[18:21], v73 offset0:64 offset1:96
	v_pk_fma_f16 v74, v14, v98, v74
	v_pk_fma_f16 v79, v15, v98, v79
	;; [unrolled: 1-line block ×5, first 2 shown]
	ds_load_2addr_b64 v[98:101], v73 offset0:192 offset1:224
	s_wait_dscnt 0x0
	s_barrier_signal -1
	s_barrier_wait -1
	v_mul_u32_u24_e32 v94, 0x10001, v95
	v_pk_fma_f16 v26, v14, v13, v26
	v_pk_fma_f16 v95, v15, v13, v12
	s_clause 0x1
	global_load_b128 v[12:15], v[8:9], off
	global_load_b128 v[118:121], v[30:31], off
	s_wait_xcnt 0x1
	v_mul_u32_u24_e32 v8, 0x10001, v86
	v_mul_u32_u24_e32 v9, 0x10001, v90
	s_wait_xcnt 0x0
	v_mul_u32_u24_e32 v30, 0x10001, v77
	v_mul_u32_u24_e32 v31, 0x10001, v81
	v_pk_fma_f16 v84, v16, v94, v84
	v_pk_fma_f16 v83, v17, v94, v83
	;; [unrolled: 1-line block ×6, first 2 shown]
	v_mul_u32_u24_e32 v76, 0x10001, v111
	v_mul_u32_u24_e32 v77, 0x10001, v91
	;; [unrolled: 1-line block ×5, first 2 shown]
	v_pk_fma_f16 v93, v16, v27, v93
	v_pk_fma_f16 v27, v17, v27, v29
	v_pk_fma_f16 v29, v16, v30, v74
	v_pk_fma_f16 v30, v17, v30, v79
	v_pk_fma_f16 v74, v16, v23, v80
	v_pk_fma_f16 v23, v17, v23, v92
	v_pk_fma_f16 v25, v16, v31, v25
	v_pk_fma_f16 v22, v17, v31, v22
	v_pk_fma_f16 v16, v16, v10, v26
	v_pk_fma_f16 v10, v17, v10, v95
	v_mul_u32_u24_e32 v90, 0x10001, v126
	v_mul_u32_u24_e32 v91, 0x10001, v96
	;; [unrolled: 1-line block ×5, first 2 shown]
	v_pk_fma_f16 v17, v18, v76, v84
	v_pk_fma_f16 v26, v19, v76, v83
	;; [unrolled: 1-line block ×16, first 2 shown]
	v_mul_u32_u24_e32 v103, 0x10001, v146
	v_mul_u32_u24_e32 v104, 0x10001, v147
	;; [unrolled: 1-line block ×7, first 2 shown]
	v_pk_fma_f16 v11, v20, v90, v17
	v_pk_fma_f16 v17, v20, v91, v31
	;; [unrolled: 1-line block ×16, first 2 shown]
	v_mul_u32_u24_e32 v112, 0x10001, v138
	v_mul_u32_u24_e32 v125, 0x10001, v150
	v_mul_u32_u24_e32 v126, 0x10001, v139
	v_mul_u32_u24_e32 v127, 0x10001, v151
	v_mul_u32_u24_e32 v128, 0x10001, v140
	v_mul_u32_u24_e32 v129, 0x10001, v152
	v_mul_u32_u24_e32 v138, 0x10001, v141
	v_mul_u32_u24_e32 v139, 0x10001, v153
	v_pk_fma_f16 v11, v114, v103, v11
	v_pk_fma_f16 v19, v115, v103, v19
	;; [unrolled: 1-line block ×16, first 2 shown]
	v_mul_u32_u24_e32 v123, 0x10001, v123
	v_mul_u32_u24_e32 v109, 0x10001, v109
	;; [unrolled: 1-line block ×6, first 2 shown]
	v_pk_fma_f16 v11, v116, v112, v11
	v_pk_fma_f16 v17, v116, v125, v17
	;; [unrolled: 1-line block ×16, first 2 shown]
	v_mul_u32_u24_e32 v134, 0x10001, v134
	v_mul_u32_u24_e32 v131, 0x10001, v131
	;; [unrolled: 1-line block ×8, first 2 shown]
	v_pk_fma_f16 v11, v98, v122, v11
	v_pk_fma_f16 v19, v99, v122, v19
	v_pk_fma_f16 v17, v98, v97, v17
	v_pk_fma_f16 v8, v99, v97, v8
	v_pk_fma_f16 v18, v98, v123, v18
	v_pk_fma_f16 v9, v99, v123, v9
	v_pk_fma_f16 v20, v98, v109, v20
	v_pk_fma_f16 v21, v99, v109, v21
	v_pk_fma_f16 v24, v98, v124, v24
	v_pk_fma_f16 v26, v99, v124, v26
	v_pk_fma_f16 v27, v98, v110, v27
	v_pk_fma_f16 v23, v99, v110, v23
	v_pk_fma_f16 v25, v98, v130, v25
	v_pk_fma_f16 v22, v99, v130, v22
	v_pk_fma_f16 v16, v98, v113, v16
	v_pk_fma_f16 v10, v99, v113, v10
	v_pk_fma_f16 v93, v100, v134, v11
	v_pk_fma_f16 v96, v101, v134, v19
	v_pk_fma_f16 v92, v100, v131, v17
	v_pk_fma_f16 v87, v100, v135, v18
	v_pk_fma_f16 v97, v101, v131, v8
	v_pk_fma_f16 v89, v101, v135, v9
	v_pk_fma_f16 v88, v100, v132, v20
	v_pk_fma_f16 v81, v100, v136, v24
	v_pk_fma_f16 v91, v101, v132, v21
	v_pk_fma_f16 v83, v101, v136, v26
	v_pk_fma_f16 v82, v100, v133, v27
	v_pk_fma_f16 v78, v100, v137, v25
	v_pk_fma_f16 v86, v101, v133, v23
	v_pk_fma_f16 v79, v101, v137, v22
	v_pk_fma_f16 v76, v100, v140, v16
	v_pk_fma_f16 v77, v101, v140, v10
	s_wait_loadcnt 0x1
	ds_store_b128 v67, v[12:15]
	s_wait_loadcnt 0x0
	ds_store_b128 v68, v[118:121]
	s_wait_dscnt 0x0
	s_barrier_signal -1
	s_barrier_wait -1
	ds_load_b128 v[12:15], v66 offset:512
	ds_load_b128 v[8:11], v66 offset:528
	;; [unrolled: 1-line block ×11, first 2 shown]
	s_wait_dscnt 0xa
	v_dual_lshrrev_b32 v98, 16, v12 :: v_dual_lshrrev_b32 v106, 16, v13
	v_and_b32_e32 v116, 0xffff, v13
	s_wait_dscnt 0x9
	v_dual_lshrrev_b32 v117, 16, v8 :: v_dual_lshrrev_b32 v118, 16, v9
	v_and_b32_e32 v128, 0xffff, v8
	;; [unrolled: 3-line block ×6, first 2 shown]
	s_wait_dscnt 0x1
	v_dual_lshrrev_b32 v80, 16, v132 :: v_dual_lshrrev_b32 v18, 16, v133
	v_dual_lshrrev_b32 v13, 16, v134 :: v_dual_lshrrev_b32 v8, 16, v135
	v_and_b32_e32 v95, 0xffff, v132
	v_and_b32_e32 v100, 0xffff, v133
	;; [unrolled: 1-line block ×4, first 2 shown]
	ds_load_2addr_b64 v[132:135], v69 offset1:32
	v_dual_lshrrev_b32 v107, 16, v14 :: v_dual_lshrrev_b32 v112, 16, v15
	v_and_b32_e32 v14, 0xffff, v14
	v_and_b32_e32 v113, 0xffff, v12
	;; [unrolled: 1-line block ×4, first 2 shown]
	v_lshrrev_b32_e32 v166, 16, v30
	v_and_b32_e32 v169, 0xffff, v30
	v_mul_u32_u24_e32 v30, 0x10001, v116
	v_mul_u32_u24_e32 v14, 0x10001, v14
	v_and_b32_e32 v150, 0xffff, v19
	v_mul_u32_u24_e32 v19, 0x10001, v113
	v_mul_u32_u24_e32 v15, 0x10001, v15
	;; [unrolled: 1-line block ×3, first 2 shown]
	v_dual_lshrrev_b32 v126, 16, v10 :: v_dual_lshrrev_b32 v127, 16, v11
	v_and_b32_e32 v10, 0xffff, v10
	v_and_b32_e32 v140, 0xffff, v11
	v_dual_lshrrev_b32 v157, 16, v24 :: v_dual_lshrrev_b32 v158, 16, v25
	s_wait_dscnt 0x0
	v_pk_fma_f16 v87, v132, v30, v87
	v_pk_fma_f16 v30, v133, v30, v89
	v_mul_u32_u24_e32 v89, 0x10001, v106
	v_pk_fma_f16 v81, v132, v14, v81
	v_pk_fma_f16 v14, v133, v14, v83
	v_mul_u32_u24_e32 v83, 0x10001, v107
	v_and_b32_e32 v161, 0xffff, v24
	v_and_b32_e32 v162, 0xffff, v25
	v_pk_fma_f16 v24, v132, v19, v93
	v_pk_fma_f16 v19, v133, v19, v96
	v_mul_u32_u24_e32 v25, 0x10001, v98
	v_pk_fma_f16 v88, v132, v89, v88
	v_pk_fma_f16 v89, v133, v89, v91
	v_pk_fma_f16 v82, v132, v83, v82
	v_pk_fma_f16 v83, v133, v83, v86
	v_pk_fma_f16 v78, v132, v15, v78
	v_pk_fma_f16 v15, v133, v15, v79
	v_mul_u32_u24_e32 v79, 0x10001, v112
	v_mul_u32_u24_e32 v86, 0x10001, v128
	v_pk_fma_f16 v87, v134, v9, v87
	v_pk_fma_f16 v30, v135, v9, v30
	v_mul_u32_u24_e32 v9, 0x10001, v118
	v_and_b32_e32 v168, 0xffff, v29
	v_pk_fma_f16 v29, v132, v25, v92
	v_pk_fma_f16 v25, v133, v25, v97
	v_mul_u32_u24_e32 v91, 0x10001, v117
	v_pk_fma_f16 v76, v132, v79, v76
	v_pk_fma_f16 v77, v133, v79, v77
	;; [unrolled: 1-line block ×4, first 2 shown]
	v_mul_u32_u24_e32 v10, 0x10001, v10
	v_mul_u32_u24_e32 v19, 0x10001, v126
	v_mul_u32_u24_e32 v24, 0x10001, v140
	v_pk_fma_f16 v88, v134, v9, v88
	v_pk_fma_f16 v89, v135, v9, v89
	v_mul_u32_u24_e32 v9, 0x10001, v127
	v_pk_fma_f16 v93, v134, v91, v29
	v_pk_fma_f16 v25, v135, v91, v25
	;; [unrolled: 1-line block ×10, first 2 shown]
	ds_load_2addr_b64 v[132:135], v69 offset0:64 offset1:96
	v_dual_lshrrev_b32 v144, 16, v16 :: v_dual_lshrrev_b32 v145, 16, v17
	v_and_b32_e32 v16, 0xffff, v16
	v_and_b32_e32 v148, 0xffff, v17
	v_dual_lshrrev_b32 v151, 16, v20 :: v_dual_lshrrev_b32 v152, 16, v21
	v_and_b32_e32 v20, 0xffff, v20
	s_delay_alu instid0(VALU_DEP_4)
	v_mul_u32_u24_e32 v16, 0x10001, v16
	v_and_b32_e32 v21, 0xffff, v21
	v_and_b32_e32 v155, 0xffff, v22
	v_dual_lshrrev_b32 v99, 16, v102 :: v_dual_lshrrev_b32 v84, 16, v103
	v_and_b32_e32 v124, 0xffff, v102
	v_mul_u32_u24_e32 v102, 0x10001, v151
	v_and_b32_e32 v104, 0xffff, v103
	v_mul_u32_u24_e32 v20, 0x10001, v20
	v_mul_u32_u24_e32 v21, 0x10001, v21
	v_dual_lshrrev_b32 v159, 16, v26 :: v_dual_lshrrev_b32 v160, 16, v27
	s_wait_dscnt 0x0
	v_pk_fma_f16 v79, v132, v16, v79
	v_pk_fma_f16 v16, v133, v16, v92
	v_mul_u32_u24_e32 v92, 0x10001, v144
	v_and_b32_e32 v163, 0xffff, v27
	v_dual_lshrrev_b32 v94, 16, v108 :: v_dual_lshrrev_b32 v22, 16, v109
	v_dual_lshrrev_b32 v17, 16, v110 :: v_dual_lshrrev_b32 v12, 16, v111
	s_delay_alu instid0(VALU_DEP_4)
	v_pk_fma_f16 v93, v132, v92, v93
	v_pk_fma_f16 v25, v133, v92, v25
	v_mul_u32_u24_e32 v92, 0x10001, v148
	v_and_b32_e32 v114, 0xffff, v108
	v_and_b32_e32 v27, 0xffff, v111
	v_dual_lshrrev_b32 v115, 16, v120 :: v_dual_lshrrev_b32 v105, 16, v121
	s_delay_alu instid0(VALU_DEP_4)
	v_pk_fma_f16 v87, v132, v92, v87
	v_pk_fma_f16 v30, v133, v92, v30
	v_mul_u32_u24_e32 v92, 0x10001, v145
	v_pk_fma_f16 v103, v135, v102, v25
	v_mul_u32_u24_e32 v25, 0x10001, v155
	v_and_b32_e32 v125, 0xffff, v120
	v_and_b32_e32 v120, 0xffff, v121
	v_pk_fma_f16 v88, v132, v92, v88
	v_pk_fma_f16 v89, v133, v92, v89
	v_mul_u32_u24_e32 v92, 0x10001, v149
	ds_load_b128 v[140:143], v66 offset:688
	v_dual_lshrrev_b32 v116, 16, v136 :: v_dual_lshrrev_b32 v106, 16, v137
	v_dual_lshrrev_b32 v86, 16, v138 :: v_dual_lshrrev_b32 v76, 16, v139
	v_pk_fma_f16 v97, v132, v92, v97
	v_pk_fma_f16 v10, v133, v92, v10
	v_mul_u32_u24_e32 v92, 0x10001, v146
	v_and_b32_e32 v126, 0xffff, v136
	v_and_b32_e32 v121, 0xffff, v137
	;; [unrolled: 1-line block ×4, first 2 shown]
	v_pk_fma_f16 v82, v132, v92, v82
	v_pk_fma_f16 v83, v133, v92, v83
	v_mul_u32_u24_e32 v92, 0x10001, v150
	v_pk_fma_f16 v79, v134, v20, v79
	v_pk_fma_f16 v16, v135, v20, v16
	v_pk_fma_f16 v108, v134, v21, v87
	v_pk_fma_f16 v21, v135, v21, v30
	v_pk_fma_f16 v78, v132, v92, v78
	v_pk_fma_f16 v15, v133, v92, v15
	v_mul_u32_u24_e32 v92, 0x10001, v147
	ds_load_b128 v[136:139], v66 offset:704
	v_mul_u32_u24_e32 v20, 0x10001, v152
	v_mul_u32_u24_e32 v30, 0x10001, v153
	;; [unrolled: 1-line block ×3, first 2 shown]
	v_pk_fma_f16 v98, v132, v92, v98
	v_pk_fma_f16 v77, v133, v92, v77
	v_pk_fma_f16 v118, v135, v25, v10
	v_mul_u32_u24_e32 v10, 0x10001, v154
	v_dual_lshrrev_b32 v85, 16, v122 :: v_dual_lshrrev_b32 v75, 16, v123
	v_and_b32_e32 v90, 0xffff, v123
	v_pk_fma_f16 v93, v134, v102, v93
	v_pk_fma_f16 v88, v134, v20, v88
	;; [unrolled: 1-line block ×10, first 2 shown]
	ds_load_2addr_b64 v[132:135], v69 offset0:128 offset1:160
	v_and_b32_e32 v26, 0xffff, v26
	v_and_b32_e32 v130, 0xffff, v101
	s_wait_dscnt 0x2
	v_dual_lshrrev_b32 v81, 16, v140 :: v_dual_lshrrev_b32 v19, 16, v141
	v_dual_lshrrev_b32 v14, 16, v142 :: v_dual_lshrrev_b32 v9, 16, v143
	v_and_b32_e32 v96, 0xffff, v140
	v_and_b32_e32 v101, 0xffff, v141
	;; [unrolled: 1-line block ×4, first 2 shown]
	ds_load_b128 v[140:143], v66 offset:720
	s_wait_dscnt 0x2
	v_dual_lshrrev_b32 v117, 16, v136 :: v_dual_lshrrev_b32 v107, 16, v137
	v_and_b32_e32 v127, 0xffff, v136
	v_mul_u32_u24_e32 v136, 0x10001, v161
	v_mul_u32_u24_e32 v26, 0x10001, v26
	v_lshrrev_b32_e32 v11, 16, v31
	v_and_b32_e32 v31, 0xffff, v31
	v_and_b32_e32 v74, 0xffff, v110
	s_wait_dscnt 0x1
	v_pk_fma_f16 v79, v132, v136, v79
	v_pk_fma_f16 v16, v133, v136, v16
	v_mul_u32_u24_e32 v136, 0x10001, v157
	v_pk_fma_f16 v113, v132, v26, v113
	v_pk_fma_f16 v26, v133, v26, v118
	v_mul_u32_u24_e32 v118, 0x10001, v159
	v_and_b32_e32 v110, 0xffff, v122
	v_pk_fma_f16 v93, v132, v136, v93
	v_pk_fma_f16 v103, v133, v136, v103
	v_mul_u32_u24_e32 v136, 0x10001, v162
	v_pk_fma_f16 v123, v132, v118, v123
	v_pk_fma_f16 v83, v133, v118, v83
	v_mul_u32_u24_e32 v118, 0x10001, v163
	v_dual_lshrrev_b32 v87, 16, v138 :: v_dual_lshrrev_b32 v77, 16, v139
	v_pk_fma_f16 v108, v132, v136, v108
	v_pk_fma_f16 v21, v133, v136, v21
	v_mul_u32_u24_e32 v136, 0x10001, v158
	v_and_b32_e32 v122, 0xffff, v137
	v_and_b32_e32 v112, 0xffff, v138
	v_pk_fma_f16 v78, v132, v118, v78
	v_pk_fma_f16 v118, v133, v118, v128
	;; [unrolled: 1-line block ×4, first 2 shown]
	v_mul_u32_u24_e32 v128, 0x10001, v160
	v_mul_u32_u24_e32 v136, 0x10001, v167
	;; [unrolled: 1-line block ×5, first 2 shown]
	v_pk_fma_f16 v98, v132, v128, v98
	v_pk_fma_f16 v128, v133, v128, v144
	;; [unrolled: 1-line block ×5, first 2 shown]
	v_mul_u32_u24_e32 v16, 0x10001, v165
	v_mul_u32_u24_e32 v21, 0x10001, v169
	;; [unrolled: 1-line block ×4, first 2 shown]
	v_and_b32_e32 v92, 0xffff, v139
	v_pk_fma_f16 v79, v134, v136, v79
	v_pk_fma_f16 v146, v135, v137, v103
	;; [unrolled: 1-line block ×3, first 2 shown]
	ds_load_b128 v[136:139], v66 offset:736
	v_pk_fma_f16 v149, v134, v16, v88
	v_pk_fma_f16 v89, v135, v16, v89
	;; [unrolled: 1-line block ×10, first 2 shown]
	ds_load_2addr_b64 v[132:135], v69 offset0:192 offset1:224
	s_wait_dscnt 0x2
	v_dual_lshrrev_b32 v82, 16, v140 :: v_dual_lshrrev_b32 v20, 16, v141
	v_dual_lshrrev_b32 v15, 16, v142 :: v_dual_lshrrev_b32 v10, 16, v143
	v_and_b32_e32 v97, 0xffff, v140
	v_and_b32_e32 v102, 0xffff, v141
	;; [unrolled: 1-line block ×4, first 2 shown]
	ds_load_b128 v[140:143], v66 offset:752
	v_and_b32_e32 v109, 0xffff, v109
	v_mul_u32_u24_e32 v131, 0x10001, v131
	v_mul_u32_u24_e32 v130, 0x10001, v130
	;; [unrolled: 1-line block ×3, first 2 shown]
	s_wait_dscnt 0x2
	v_dual_lshrrev_b32 v118, 16, v136 :: v_dual_lshrrev_b32 v108, 16, v137
	v_dual_lshrrev_b32 v88, 16, v138 :: v_dual_lshrrev_b32 v78, 16, v139
	v_and_b32_e32 v123, 0xffff, v137
	v_and_b32_e32 v113, 0xffff, v138
	s_wait_dscnt 0x1
	v_pk_fma_f16 v79, v132, v131, v79
	v_pk_fma_f16 v131, v133, v131, v144
	v_mul_u32_u24_e32 v129, 0x10001, v129
	v_pk_fma_f16 v137, v132, v130, v147
	v_pk_fma_f16 v130, v133, v130, v148
	;; [unrolled: 1-line block ×4, first 2 shown]
	v_mul_u32_u24_e32 v119, 0x10001, v124
	v_mul_u32_u24_e32 v99, 0x10001, v99
	;; [unrolled: 1-line block ×6, first 2 shown]
	v_and_b32_e32 v128, 0xffff, v136
	v_and_b32_e32 v93, 0xffff, v139
	s_wait_dscnt 0x0
	v_dual_lshrrev_b32 v83, 16, v140 :: v_dual_lshrrev_b32 v21, 16, v141
	v_dual_lshrrev_b32 v16, 16, v142 :: v_dual_lshrrev_b32 v11, 16, v143
	v_and_b32_e32 v98, 0xffff, v140
	v_and_b32_e32 v103, 0xffff, v141
	;; [unrolled: 1-line block ×3, first 2 shown]
	v_pk_fma_f16 v136, v132, v129, v145
	v_pk_fma_f16 v129, v133, v129, v146
	;; [unrolled: 1-line block ×12, first 2 shown]
	ds_load_b128 v[130:133], v66 offset:768
	v_mul_u32_u24_e32 v94, 0x10001, v94
	v_mul_u32_u24_e32 v22, 0x10001, v22
	;; [unrolled: 1-line block ×4, first 2 shown]
	v_and_b32_e32 v26, 0xffff, v142
	v_pk_fma_f16 v142, v134, v114, v79
	v_pk_fma_f16 v144, v134, v94, v136
	;; [unrolled: 1-line block ×9, first 2 shown]
	ds_load_b128 v[136:139], v66 offset:784
	v_mul_u32_u24_e32 v27, 0x10001, v27
	v_mul_u32_u24_e32 v12, 0x10001, v12
	v_pk_fma_f16 v153, v135, v17, v99
	v_mul_u32_u24_e32 v125, 0x10001, v125
	s_wait_dscnt 0x1
	v_dual_lshrrev_b32 v119, 16, v130 :: v_dual_lshrrev_b32 v109, 16, v131
	v_dual_lshrrev_b32 v89, 16, v132 :: v_dual_lshrrev_b32 v79, 16, v133
	v_and_b32_e32 v129, 0xffff, v130
	v_and_b32_e32 v124, 0xffff, v131
	;; [unrolled: 1-line block ×4, first 2 shown]
	ds_load_2addr_b64 v[130:133], v71 offset1:32
	v_pk_fma_f16 v140, v134, v27, v140
	v_pk_fma_f16 v154, v135, v27, v104
	;; [unrolled: 1-line block ×4, first 2 shown]
	v_mul_u32_u24_e32 v115, 0x10001, v115
	v_mul_u32_u24_e32 v120, 0x10001, v120
	;; [unrolled: 1-line block ×7, first 2 shown]
	s_wait_dscnt 0x1
	v_dual_lshrrev_b32 v84, 16, v136 :: v_dual_lshrrev_b32 v22, 16, v137
	v_dual_lshrrev_b32 v17, 16, v138 :: v_dual_lshrrev_b32 v12, 16, v139
	v_and_b32_e32 v99, 0xffff, v136
	v_and_b32_e32 v104, 0xffff, v137
	;; [unrolled: 1-line block ×4, first 2 shown]
	s_wait_dscnt 0x0
	v_pk_fma_f16 v136, v130, v125, v142
	v_pk_fma_f16 v125, v131, v125, v143
	;; [unrolled: 1-line block ×14, first 2 shown]
	v_mul_u32_u24_e32 v95, 0x10001, v95
	v_mul_u32_u24_e32 v80, 0x10001, v80
	v_mul_u32_u24_e32 v100, 0x10001, v100
	v_pk_fma_f16 v130, v130, v75, v134
	v_pk_fma_f16 v75, v131, v75, v135
	v_mul_u32_u24_e32 v18, 0x10001, v18
	v_mul_u32_u24_e32 v23, 0x10001, v23
	;; [unrolled: 1-line block ×5, first 2 shown]
	v_pk_fma_f16 v143, v132, v95, v136
	v_pk_fma_f16 v144, v133, v95, v125
	;; [unrolled: 1-line block ×6, first 2 shown]
	ds_load_b128 v[134:137], v66 offset:800
	v_pk_fma_f16 v149, v132, v18, v139
	v_pk_fma_f16 v150, v133, v18, v105
	v_pk_fma_f16 v151, v132, v23, v141
	v_pk_fma_f16 v152, v133, v23, v110
	v_pk_fma_f16 v142, v132, v13, v142
	v_pk_fma_f16 v153, v133, v13, v85
	v_pk_fma_f16 v154, v132, v28, v140
	v_pk_fma_f16 v155, v133, v28, v90
	ds_load_b128 v[138:141], v66 offset:816
	v_pk_fma_f16 v156, v132, v8, v130
	v_pk_fma_f16 v157, v133, v8, v75
	ds_load_2addr_b64 v[130:133], v71 offset0:64 offset1:96
	v_mul_u32_u24_e32 v126, 0x10001, v126
	v_mul_u32_u24_e32 v116, 0x10001, v116
	;; [unrolled: 1-line block ×8, first 2 shown]
	s_wait_dscnt 0x2
	v_dual_lshrrev_b32 v115, 16, v134 :: v_dual_lshrrev_b32 v105, 16, v135
	v_dual_lshrrev_b32 v85, 16, v136 :: v_dual_lshrrev_b32 v75, 16, v137
	v_and_b32_e32 v125, 0xffff, v134
	v_and_b32_e32 v120, 0xffff, v135
	;; [unrolled: 1-line block ×3, first 2 shown]
	v_mul_u32_u24_e32 v96, 0x10001, v96
	s_wait_dscnt 0x1
	v_dual_lshrrev_b32 v80, 16, v138 :: v_dual_lshrrev_b32 v18, 16, v139
	v_dual_lshrrev_b32 v13, 16, v140 :: v_dual_lshrrev_b32 v8, 16, v141
	v_and_b32_e32 v95, 0xffff, v138
	v_and_b32_e32 v100, 0xffff, v139
	;; [unrolled: 1-line block ×4, first 2 shown]
	s_wait_dscnt 0x0
	v_pk_fma_f16 v134, v130, v126, v143
	v_pk_fma_f16 v126, v131, v126, v144
	;; [unrolled: 1-line block ×14, first 2 shown]
	v_mul_u32_u24_e32 v81, 0x10001, v81
	v_mul_u32_u24_e32 v101, 0x10001, v101
	v_pk_fma_f16 v130, v130, v76, v156
	v_pk_fma_f16 v76, v131, v76, v157
	v_mul_u32_u24_e32 v19, 0x10001, v19
	v_mul_u32_u24_e32 v24, 0x10001, v24
	v_mul_u32_u24_e32 v14, 0x10001, v14
	v_mul_u32_u24_e32 v29, 0x10001, v29
	v_mul_u32_u24_e32 v9, 0x10001, v9
	v_and_b32_e32 v90, 0xffff, v137
	v_pk_fma_f16 v142, v132, v96, v134
	v_pk_fma_f16 v143, v133, v96, v126
	;; [unrolled: 1-line block ×6, first 2 shown]
	ds_load_b128 v[134:137], v66 offset:832
	v_pk_fma_f16 v148, v132, v19, v138
	v_pk_fma_f16 v149, v133, v19, v106
	v_pk_fma_f16 v150, v132, v24, v139
	v_pk_fma_f16 v151, v133, v24, v111
	v_pk_fma_f16 v152, v132, v14, v140
	v_pk_fma_f16 v153, v133, v14, v86
	v_pk_fma_f16 v154, v132, v29, v141
	v_pk_fma_f16 v155, v133, v29, v91
	ds_load_b128 v[138:141], v66 offset:848
	v_pk_fma_f16 v156, v132, v9, v130
	v_pk_fma_f16 v157, v133, v9, v76
	ds_load_2addr_b64 v[130:133], v71 offset0:128 offset1:160
	v_mul_u32_u24_e32 v127, 0x10001, v127
	v_mul_u32_u24_e32 v117, 0x10001, v117
	v_mul_u32_u24_e32 v122, 0x10001, v122
	v_mul_u32_u24_e32 v107, 0x10001, v107
	v_mul_u32_u24_e32 v112, 0x10001, v112
	v_mul_u32_u24_e32 v87, 0x10001, v87
	v_mul_u32_u24_e32 v92, 0x10001, v92
	v_mul_u32_u24_e32 v77, 0x10001, v77
	s_wait_dscnt 0x2
	v_dual_lshrrev_b32 v116, 16, v134 :: v_dual_lshrrev_b32 v106, 16, v135
	v_dual_lshrrev_b32 v86, 16, v136 :: v_dual_lshrrev_b32 v76, 16, v137
	v_and_b32_e32 v126, 0xffff, v134
	v_and_b32_e32 v121, 0xffff, v135
	;; [unrolled: 1-line block ×3, first 2 shown]
	v_mul_u32_u24_e32 v97, 0x10001, v97
	s_wait_dscnt 0x1
	v_dual_lshrrev_b32 v81, 16, v138 :: v_dual_lshrrev_b32 v19, 16, v139
	v_dual_lshrrev_b32 v14, 16, v140 :: v_dual_lshrrev_b32 v9, 16, v141
	v_and_b32_e32 v96, 0xffff, v138
	v_and_b32_e32 v101, 0xffff, v139
	v_and_b32_e32 v24, 0xffff, v140
	v_and_b32_e32 v29, 0xffff, v141
	s_wait_dscnt 0x0
	v_pk_fma_f16 v134, v130, v127, v142
	v_pk_fma_f16 v127, v131, v127, v143
	;; [unrolled: 1-line block ×14, first 2 shown]
	v_mul_u32_u24_e32 v82, 0x10001, v82
	v_mul_u32_u24_e32 v102, 0x10001, v102
	v_pk_fma_f16 v130, v130, v77, v156
	v_pk_fma_f16 v77, v131, v77, v157
	v_mul_u32_u24_e32 v20, 0x10001, v20
	v_mul_u32_u24_e32 v25, 0x10001, v25
	v_mul_u32_u24_e32 v15, 0x10001, v15
	v_mul_u32_u24_e32 v30, 0x10001, v30
	v_mul_u32_u24_e32 v10, 0x10001, v10
	v_and_b32_e32 v91, 0xffff, v137
	v_pk_fma_f16 v142, v132, v97, v134
	v_pk_fma_f16 v143, v133, v97, v127
	;; [unrolled: 1-line block ×6, first 2 shown]
	ds_load_b128 v[134:137], v66 offset:864
	v_pk_fma_f16 v148, v132, v20, v138
	v_pk_fma_f16 v149, v133, v20, v107
	;; [unrolled: 1-line block ×8, first 2 shown]
	ds_load_b128 v[138:141], v66 offset:880
	v_pk_fma_f16 v156, v132, v10, v130
	v_pk_fma_f16 v157, v133, v10, v77
	ds_load_2addr_b64 v[130:133], v71 offset0:192 offset1:224
	v_mul_u32_u24_e32 v128, 0x10001, v128
	v_mul_u32_u24_e32 v118, 0x10001, v118
	;; [unrolled: 1-line block ×8, first 2 shown]
	s_wait_dscnt 0x2
	v_dual_lshrrev_b32 v117, 16, v134 :: v_dual_lshrrev_b32 v107, 16, v135
	v_dual_lshrrev_b32 v87, 16, v136 :: v_dual_lshrrev_b32 v25, 16, v137
	v_and_b32_e32 v127, 0xffff, v134
	v_and_b32_e32 v122, 0xffff, v135
	;; [unrolled: 1-line block ×3, first 2 shown]
	v_mul_u32_u24_e32 v98, 0x10001, v98
	s_wait_dscnt 0x1
	v_dual_lshrrev_b32 v82, 16, v138 :: v_dual_lshrrev_b32 v20, 16, v139
	v_dual_lshrrev_b32 v15, 16, v140 :: v_dual_lshrrev_b32 v10, 16, v141
	v_and_b32_e32 v97, 0xffff, v138
	v_and_b32_e32 v102, 0xffff, v139
	;; [unrolled: 1-line block ×4, first 2 shown]
	s_wait_dscnt 0x0
	v_pk_fma_f16 v134, v130, v128, v142
	v_pk_fma_f16 v128, v131, v128, v143
	;; [unrolled: 1-line block ×14, first 2 shown]
	v_mul_u32_u24_e32 v83, 0x10001, v83
	v_mul_u32_u24_e32 v103, 0x10001, v103
	v_pk_fma_f16 v130, v130, v78, v156
	v_pk_fma_f16 v78, v131, v78, v157
	v_mul_u32_u24_e32 v21, 0x10001, v21
	v_mul_u32_u24_e32 v26, 0x10001, v26
	;; [unrolled: 1-line block ×5, first 2 shown]
	v_and_b32_e32 v92, 0xffff, v137
	v_pk_fma_f16 v142, v132, v98, v134
	v_pk_fma_f16 v143, v133, v98, v128
	;; [unrolled: 1-line block ×6, first 2 shown]
	ds_load_b128 v[134:137], v66 offset:896
	v_pk_fma_f16 v148, v132, v21, v138
	v_pk_fma_f16 v149, v133, v21, v108
	;; [unrolled: 1-line block ×8, first 2 shown]
	ds_load_b128 v[138:141], v66 offset:912
	v_pk_fma_f16 v156, v132, v11, v130
	v_pk_fma_f16 v157, v133, v11, v78
	ds_load_2addr_b64 v[130:133], v72 offset1:32
	v_mul_u32_u24_e32 v129, 0x10001, v129
	v_mul_u32_u24_e32 v119, 0x10001, v119
	v_mul_u32_u24_e32 v124, 0x10001, v124
	v_mul_u32_u24_e32 v109, 0x10001, v109
	v_mul_u32_u24_e32 v114, 0x10001, v114
	v_mul_u32_u24_e32 v89, 0x10001, v89
	v_mul_u32_u24_e32 v94, 0x10001, v94
	v_mul_u32_u24_e32 v79, 0x10001, v79
	s_wait_dscnt 0x2
	v_dual_lshrrev_b32 v118, 16, v134 :: v_dual_lshrrev_b32 v31, 16, v135
	v_dual_lshrrev_b32 v21, 16, v136 :: v_dual_lshrrev_b32 v11, 16, v137
	v_and_b32_e32 v128, 0xffff, v134
	v_and_b32_e32 v123, 0xffff, v135
	;; [unrolled: 1-line block ×3, first 2 shown]
	v_mul_u32_u24_e32 v99, 0x10001, v99
	s_wait_dscnt 0x1
	v_dual_lshrrev_b32 v83, 16, v138 :: v_dual_lshrrev_b32 v78, 16, v139
	v_dual_lshrrev_b32 v26, 16, v140 :: v_dual_lshrrev_b32 v16, 16, v141
	v_and_b32_e32 v98, 0xffff, v138
	v_and_b32_e32 v103, 0xffff, v139
	;; [unrolled: 1-line block ×4, first 2 shown]
	s_wait_dscnt 0x0
	v_pk_fma_f16 v134, v130, v129, v142
	v_pk_fma_f16 v129, v131, v129, v143
	;; [unrolled: 1-line block ×14, first 2 shown]
	v_mul_u32_u24_e32 v84, 0x10001, v84
	v_mul_u32_u24_e32 v104, 0x10001, v104
	v_pk_fma_f16 v130, v130, v79, v156
	v_pk_fma_f16 v79, v131, v79, v157
	v_mul_u32_u24_e32 v22, 0x10001, v22
	v_mul_u32_u24_e32 v27, 0x10001, v27
	;; [unrolled: 1-line block ×5, first 2 shown]
	v_and_b32_e32 v88, 0xffff, v137
	v_pk_fma_f16 v142, v132, v99, v134
	v_pk_fma_f16 v99, v133, v99, v129
	;; [unrolled: 1-line block ×6, first 2 shown]
	ds_load_b128 v[134:137], v66 offset:928
	v_pk_fma_f16 v124, v132, v22, v138
	v_pk_fma_f16 v22, v133, v22, v109
	;; [unrolled: 1-line block ×10, first 2 shown]
	ds_load_2addr_b64 v[130:133], v72 offset0:64 offset1:96
	v_mul_u32_u24_e32 v125, 0x10001, v125
	v_mul_u32_u24_e32 v115, 0x10001, v115
	ds_load_b128 v[138:141], v66 offset:944
	v_mul_u32_u24_e32 v105, 0x10001, v105
	v_mul_u32_u24_e32 v85, 0x10001, v85
	;; [unrolled: 1-line block ×5, first 2 shown]
	s_wait_dscnt 0x2
	v_dual_lshrrev_b32 v79, 16, v134 :: v_dual_lshrrev_b32 v143, 16, v135
	v_and_b32_e32 v146, 0xffff, v134
	v_mul_u32_u24_e32 v23, 0x10001, v23
	v_mul_u32_u24_e32 v13, 0x10001, v13
	;; [unrolled: 1-line block ×8, first 2 shown]
	s_wait_dscnt 0x1
	v_pk_fma_f16 v134, v130, v125, v142
	v_pk_fma_f16 v99, v131, v125, v99
	;; [unrolled: 1-line block ×4, first 2 shown]
	v_mul_u32_u24_e32 v115, 0x10001, v120
	v_pk_fma_f16 v22, v131, v105, v22
	v_pk_fma_f16 v17, v131, v85, v17
	;; [unrolled: 1-line block ×7, first 2 shown]
	v_mul_u32_u24_e32 v105, 0x10001, v110
	v_mul_u32_u24_e32 v9, 0x10001, v9
	;; [unrolled: 1-line block ×5, first 2 shown]
	v_pk_fma_f16 v109, v130, v105, v109
	v_pk_fma_f16 v27, v131, v105, v27
	;; [unrolled: 1-line block ×3, first 2 shown]
	v_mul_u32_u24_e32 v85, 0x10001, v90
	v_mul_u32_u24_e32 v90, 0x10001, v100
	v_dual_lshrrev_b32 v144, 16, v136 :: v_dual_lshrrev_b32 v145, 16, v137
	v_and_b32_e32 v147, 0xffff, v135
	s_delay_alu instid0(VALU_DEP_4)
	v_pk_fma_f16 v89, v130, v85, v89
	v_pk_fma_f16 v74, v131, v85, v74
	v_mul_u32_u24_e32 v85, 0x10001, v95
	v_pk_fma_f16 v95, v132, v80, v125
	v_pk_fma_f16 v80, v133, v80, v84
	;; [unrolled: 1-line block ×16, first 2 shown]
	ds_load_2addr_b64 v[130:133], v72 offset0:128 offset1:160
	v_mul_u32_u24_e32 v12, 0x10001, v126
	v_and_b32_e32 v148, 0xffff, v136
	v_and_b32_e32 v149, 0xffff, v137
	ds_load_b128 v[134:137], v66 offset:960
	s_wait_dscnt 0x2
	v_dual_lshrrev_b32 v150, 16, v138 :: v_dual_lshrrev_b32 v151, 16, v139
	v_dual_lshrrev_b32 v152, 16, v140 :: v_dual_lshrrev_b32 v153, 16, v141
	v_and_b32_e32 v154, 0xffff, v138
	v_and_b32_e32 v155, 0xffff, v139
	;; [unrolled: 1-line block ×4, first 2 shown]
	ds_load_b128 v[138:141], v66 offset:976
	v_mul_u32_u24_e32 v15, 0x10001, v15
	v_mul_u32_u24_e32 v10, 0x10001, v10
	;; [unrolled: 1-line block ×6, first 2 shown]
	s_wait_dscnt 0x2
	v_pk_fma_f16 v75, v130, v12, v75
	v_pk_fma_f16 v12, v131, v12, v85
	v_mul_u32_u24_e32 v85, 0x10001, v116
	v_pk_fma_f16 v74, v130, v76, v74
	v_pk_fma_f16 v8, v131, v76, v8
	;; [unrolled: 1-line block ×6, first 2 shown]
	v_mul_u32_u24_e32 v85, 0x10001, v121
	v_mul_u32_u24_e32 v86, 0x10001, v91
	v_pk_fma_f16 v13, v133, v14, v13
	v_pk_fma_f16 v76, v132, v81, v94
	;; [unrolled: 1-line block ×5, first 2 shown]
	v_mul_u32_u24_e32 v90, 0x10001, v106
	v_pk_fma_f16 v17, v130, v86, v17
	v_pk_fma_f16 v28, v131, v86, v28
	v_mul_u32_u24_e32 v86, 0x10001, v96
	v_pk_fma_f16 v8, v133, v9, v8
	v_pk_fma_f16 v95, v130, v90, v99
	;; [unrolled: 1-line block ×3, first 2 shown]
	v_mul_u32_u24_e32 v90, 0x10001, v111
	v_pk_fma_f16 v75, v132, v86, v75
	v_pk_fma_f16 v12, v133, v86, v12
	s_wait_dscnt 0x1
	v_dual_lshrrev_b32 v89, 16, v134 :: v_dual_lshrrev_b32 v100, 16, v135
	v_pk_fma_f16 v22, v130, v90, v22
	v_pk_fma_f16 v23, v131, v90, v23
	v_mul_u32_u24_e32 v90, 0x10001, v101
	v_pk_fma_f16 v18, v133, v19, v18
	v_dual_lshrrev_b32 v104, 16, v136 :: v_dual_lshrrev_b32 v105, 16, v137
	v_and_b32_e32 v109, 0xffff, v134
	s_delay_alu instid0(VALU_DEP_4)
	v_pk_fma_f16 v81, v132, v90, v84
	v_pk_fma_f16 v84, v133, v90, v85
	;; [unrolled: 1-line block ×6, first 2 shown]
	v_mul_u32_u24_e32 v74, 0x10001, v127
	ds_load_2addr_b64 v[124:127], v72 offset0:192 offset1:224
	v_pk_fma_f16 v23, v132, v14, v27
	v_pk_fma_f16 v14, v132, v29, v17
	;; [unrolled: 1-line block ×3, first 2 shown]
	v_and_b32_e32 v110, 0xffff, v135
	v_and_b32_e32 v114, 0xffff, v136
	;; [unrolled: 1-line block ×3, first 2 shown]
	ds_load_b128 v[134:137], v66 offset:992
	v_mul_u32_u24_e32 v11, 0x10001, v11
	s_wait_dscnt 0x2
	v_dual_lshrrev_b32 v119, 16, v138 :: v_dual_lshrrev_b32 v120, 16, v139
	v_dual_lshrrev_b32 v129, 16, v140 :: v_dual_lshrrev_b32 v142, 16, v141
	v_and_b32_e32 v158, 0xffff, v138
	v_and_b32_e32 v159, 0xffff, v139
	;; [unrolled: 1-line block ×4, first 2 shown]
	ds_load_b128 v[138:141], v66 offset:1008
	v_mul_u32_u24_e32 v98, 0x10001, v98
	v_mul_u32_u24_e32 v83, 0x10001, v83
	s_wait_dscnt 0x2
	v_pk_fma_f16 v75, v124, v74, v75
	v_pk_fma_f16 v12, v125, v74, v12
	v_mul_u32_u24_e32 v74, 0x10001, v117
	v_mul_u32_u24_e32 v78, 0x10001, v78
	;; [unrolled: 1-line block ×5, first 2 shown]
	v_pk_fma_f16 v76, v124, v74, v76
	v_pk_fma_f16 v74, v125, v74, v80
	v_mul_u32_u24_e32 v80, 0x10001, v122
	v_mul_u32_u24_e32 v117, 0x10001, v147
	;; [unrolled: 1-line block ×3, first 2 shown]
	s_wait_dscnt 0x1
	v_dual_lshrrev_b32 v9, 16, v134 :: v_dual_lshrrev_b32 v27, 16, v135
	v_pk_fma_f16 v81, v124, v80, v81
	v_pk_fma_f16 v80, v125, v80, v84
	v_mul_u32_u24_e32 v84, 0x10001, v107
	v_dual_lshrrev_b32 v28, 16, v136 :: v_dual_lshrrev_b32 v29, 16, v137
	v_and_b32_e32 v86, 0xffff, v134
	v_and_b32_e32 v90, 0xffff, v135
	s_delay_alu instid0(VALU_DEP_4)
	v_pk_fma_f16 v85, v124, v84, v85
	v_pk_fma_f16 v18, v125, v84, v18
	v_mul_u32_u24_e32 v84, 0x10001, v112
	v_and_b32_e32 v91, 0xffff, v136
	v_and_b32_e32 v99, 0xffff, v137
	v_mul_u32_u24_e32 v133, 0x10001, v151
	v_mul_u32_u24_e32 v134, 0x10001, v156
	v_pk_fma_f16 v19, v124, v84, v19
	v_pk_fma_f16 v84, v125, v84, v22
	v_mul_u32_u24_e32 v22, 0x10001, v87
	v_mul_u32_u24_e32 v135, 0x10001, v152
	;; [unrolled: 1-line block ×5, first 2 shown]
	v_pk_fma_f16 v87, v124, v22, v23
	v_pk_fma_f16 v13, v125, v22, v13
	v_mul_u32_u24_e32 v22, 0x10001, v92
	v_mul_u32_u24_e32 v23, 0x10001, v97
	;; [unrolled: 1-line block ×5, first 2 shown]
	v_pk_fma_f16 v14, v124, v22, v14
	v_pk_fma_f16 v17, v125, v22, v17
	v_mul_u32_u24_e32 v22, 0x10001, v25
	v_mul_u32_u24_e32 v25, 0x10001, v82
	v_pk_fma_f16 v94, v126, v23, v75
	v_pk_fma_f16 v95, v127, v23, v12
	v_mul_u32_u24_e32 v82, 0x10001, v102
	v_pk_fma_f16 v92, v124, v22, v24
	v_pk_fma_f16 v8, v125, v22, v8
	;; [unrolled: 1-line block ×4, first 2 shown]
	ds_load_2addr_b64 v[22:25], v73 offset1:32
	v_mul_u32_u24_e32 v12, 0x10001, v20
	v_mul_u32_u24_e32 v20, 0x10001, v30
	;; [unrolled: 1-line block ×3, first 2 shown]
	v_pk_fma_f16 v81, v126, v82, v81
	v_pk_fma_f16 v80, v127, v82, v80
	;; [unrolled: 1-line block ×9, first 2 shown]
	ds_load_2addr_b64 v[12:15], v73 offset0:64 offset1:96
	v_pk_fma_f16 v17, v127, v30, v17
	v_pk_fma_f16 v30, v126, v10, v92
	;; [unrolled: 1-line block ×3, first 2 shown]
	v_mul_u32_u24_e32 v10, 0x10001, v128
	v_mul_u32_u24_e32 v92, 0x10001, v118
	;; [unrolled: 1-line block ×3, first 2 shown]
	ds_load_2addr_b64 v[74:77], v73 offset0:128 offset1:160
	s_wait_dscnt 0x2
	v_pk_fma_f16 v82, v22, v31, v82
	v_pk_fma_f16 v107, v22, v10, v94
	;; [unrolled: 1-line block ×7, first 2 shown]
	v_mul_u32_u24_e32 v102, 0x10001, v103
	v_mul_u32_u24_e32 v103, 0x10001, v108
	;; [unrolled: 1-line block ×3, first 2 shown]
	v_pk_fma_f16 v18, v23, v31, v18
	v_pk_fma_f16 v19, v22, v93, v19
	;; [unrolled: 1-line block ×9, first 2 shown]
	v_mul_u32_u24_e32 v113, 0x10001, v146
	v_mul_u32_u24_e32 v118, 0x10001, v143
	v_mul_u32_u24_e32 v123, 0x10001, v144
	v_mul_u32_u24_e32 v124, 0x10001, v149
	v_mul_u32_u24_e32 v125, 0x10001, v145
	v_pk_fma_f16 v11, v24, v98, v107
	v_pk_fma_f16 v10, v25, v98, v10
	;; [unrolled: 1-line block ×16, first 2 shown]
	ds_load_2addr_b64 v[94:97], v73 offset0:192 offset1:224
	v_mul_u32_u24_e32 v126, 0x10001, v154
	v_mul_u32_u24_e32 v127, 0x10001, v150
	;; [unrolled: 1-line block ×3, first 2 shown]
	s_wait_dscnt 0x2
	v_pk_fma_f16 v11, v12, v113, v11
	v_pk_fma_f16 v10, v13, v113, v10
	;; [unrolled: 1-line block ×16, first 2 shown]
	s_wait_dscnt 0x0
	s_barrier_signal -1
	s_barrier_wait -1
	s_load_b32 s2, s[46:47], 0x4
	v_mul_u32_u24_e32 v114, 0x10001, v114
	v_mul_u32_u24_e32 v104, 0x10001, v104
	;; [unrolled: 1-line block ×4, first 2 shown]
	v_pk_fma_f16 v11, v14, v126, v11
	v_pk_fma_f16 v10, v15, v126, v10
	;; [unrolled: 1-line block ×16, first 2 shown]
	v_dual_lshrrev_b32 v101, 16, v138 :: v_dual_lshrrev_b32 v106, 16, v139
	v_dual_lshrrev_b32 v111, 16, v140 :: v_dual_lshrrev_b32 v116, 16, v141
	v_and_b32_e32 v121, 0xffff, v138
	v_and_b32_e32 v130, 0xffff, v139
	;; [unrolled: 1-line block ×4, first 2 shown]
	v_mul_u32_u24_e32 v138, 0x10001, v158
	v_mul_u32_u24_e32 v119, 0x10001, v119
	v_mul_u32_u24_e32 v139, 0x10001, v159
	v_mul_u32_u24_e32 v120, 0x10001, v120
	v_mul_u32_u24_e32 v140, 0x10001, v160
	v_mul_u32_u24_e32 v129, 0x10001, v129
	v_mul_u32_u24_e32 v141, 0x10001, v161
	v_mul_u32_u24_e32 v142, 0x10001, v142
	v_pk_fma_f16 v11, v74, v109, v11
	v_pk_fma_f16 v10, v75, v109, v10
	v_pk_fma_f16 v13, v74, v89, v13
	v_pk_fma_f16 v14, v75, v89, v16
	v_pk_fma_f16 v15, v74, v110, v22
	v_pk_fma_f16 v16, v75, v110, v23
	v_pk_fma_f16 v22, v74, v100, v24
	v_pk_fma_f16 v18, v75, v100, v18
	v_pk_fma_f16 v19, v74, v114, v19
	v_pk_fma_f16 v20, v75, v114, v20
	v_pk_fma_f16 v23, v74, v104, v25
	v_pk_fma_f16 v21, v75, v104, v21
	v_pk_fma_f16 v24, v74, v115, v26
	v_pk_fma_f16 v17, v75, v115, v17
	v_pk_fma_f16 v12, v74, v105, v12
	v_pk_fma_f16 v8, v75, v105, v8
	v_mul_u32_u24_e32 v86, 0x10001, v86
	v_mul_u32_u24_e32 v9, 0x10001, v9
	v_mul_u32_u24_e32 v90, 0x10001, v90
	v_mul_u32_u24_e32 v27, 0x10001, v27
	v_mul_u32_u24_e32 v91, 0x10001, v91
	v_mul_u32_u24_e32 v28, 0x10001, v28
	v_mul_u32_u24_e32 v99, 0x10001, v99
	v_mul_u32_u24_e32 v29, 0x10001, v29
	v_pk_fma_f16 v11, v76, v138, v11
	v_pk_fma_f16 v13, v76, v119, v13
	v_pk_fma_f16 v15, v76, v139, v15
	v_pk_fma_f16 v10, v77, v138, v10
	v_pk_fma_f16 v14, v77, v119, v14
	v_pk_fma_f16 v16, v77, v139, v16
	v_pk_fma_f16 v22, v76, v120, v22
	v_pk_fma_f16 v19, v76, v140, v19
	v_pk_fma_f16 v23, v76, v129, v23
	v_pk_fma_f16 v24, v76, v141, v24
	v_pk_fma_f16 v18, v77, v120, v18
	v_pk_fma_f16 v20, v77, v140, v20
	v_pk_fma_f16 v21, v77, v129, v21
	v_pk_fma_f16 v17, v77, v141, v17
	v_pk_fma_f16 v12, v76, v142, v12
	v_pk_fma_f16 v8, v77, v142, v8
	;; [unrolled: 24-line block ×3, first 2 shown]
	s_wait_kmcnt 0x0
	s_lshl_b32 s2, s2, 6
	v_pk_fma_f16 v88, v96, v121, v11
	v_pk_fma_f16 v86, v96, v101, v13
	;; [unrolled: 1-line block ×16, first 2 shown]
	s_add_co_i32 s18, s2, s18
	s_delay_alu instid0(SALU_CYCLE_1)
	s_cmp_ge_i32 s18, s38
	s_cbranch_scc0 .LBB0_9
; %bb.10:
	v_dual_mov_b32 v8, 32 :: v_dual_mov_b32 v9, v60
.LBB0_11:
	s_delay_alu instid0(VALU_DEP_1)
	v_cmp_lt_i32_e32 vcc_lo, v61, v8
	s_cmp_lg_u64 s[20:21], 0
	s_cselect_b32 s2, -1, 0
	s_cmp_eq_u32 s33, 0
	v_cndmask_b32_e32 v10, v9, v61, vcc_lo
	v_cmp_lt_i32_e32 vcc_lo, v59, v8
	s_cselect_b32 s3, -1, 0
	s_delay_alu instid0(SALU_CYCLE_1) | instskip(SKIP_2) | instid1(VALU_DEP_2)
	s_and_b32 s2, s3, s2
	v_cndmask_b32_e32 v18, v9, v59, vcc_lo
	v_cmp_lt_i32_e32 vcc_lo, v58, v8
	v_lshlrev_b32_e32 v25, 2, v18
	v_cndmask_b32_e32 v26, v9, v58, vcc_lo
	v_cmp_lt_i32_e32 vcc_lo, v57, v8
	v_lshlrev_b32_e32 v17, 2, v10
	s_delay_alu instid0(VALU_DEP_3)
	v_lshlrev_b32_e32 v26, 2, v26
	ds_bpermute_b32 v10, v17, v38
	ds_bpermute_b32 v11, v17, v39
	;; [unrolled: 1-line block ×8, first 2 shown]
	s_wait_dscnt 0x6
	v_pk_add_f32 v[10:11], v[38:39], v[10:11]
	s_wait_dscnt 0x4
	v_pk_add_f32 v[12:13], v[36:37], v[12:13]
	;; [unrolled: 2-line block ×3, first 2 shown]
	ds_bpermute_b32 v18, v25, v10
	s_wait_dscnt 0x1
	v_pk_add_f32 v[16:17], v[32:33], v[16:17]
	ds_bpermute_b32 v19, v25, v11
	ds_bpermute_b32 v20, v25, v12
	;; [unrolled: 1-line block ×7, first 2 shown]
	s_wait_dscnt 0x6
	v_pk_add_f32 v[10:11], v[10:11], v[18:19]
	s_wait_dscnt 0x4
	v_pk_add_f32 v[12:13], v[12:13], v[20:21]
	;; [unrolled: 2-line block ×3, first 2 shown]
	ds_bpermute_b32 v18, v26, v10
	s_wait_dscnt 0x1
	v_pk_add_f32 v[16:17], v[16:17], v[24:25]
	ds_bpermute_b32 v19, v26, v11
	ds_bpermute_b32 v20, v26, v12
	;; [unrolled: 1-line block ×7, first 2 shown]
	v_cndmask_b32_e32 v26, v9, v57, vcc_lo
	v_cmp_lt_i32_e32 vcc_lo, v56, v8
	s_delay_alu instid0(VALU_DEP_2)
	v_dual_lshlrev_b32 v26, 2, v26 :: v_dual_cndmask_b32 v8, v9, v56, vcc_lo
	s_and_b32 vcc_lo, exec_lo, s2
	s_wait_dscnt 0x6
	v_pk_add_f32 v[10:11], v[10:11], v[18:19]
	s_wait_dscnt 0x4
	v_pk_add_f32 v[12:13], v[12:13], v[20:21]
	;; [unrolled: 2-line block ×3, first 2 shown]
	ds_bpermute_b32 v18, v26, v10
	s_wait_dscnt 0x1
	v_pk_add_f32 v[16:17], v[16:17], v[24:25]
	ds_bpermute_b32 v19, v26, v11
	ds_bpermute_b32 v20, v26, v12
	;; [unrolled: 1-line block ×7, first 2 shown]
	v_lshlrev_b32_e32 v26, 2, v8
	s_wait_dscnt 0x6
	v_pk_add_f32 v[8:9], v[10:11], v[18:19]
	s_wait_dscnt 0x4
	v_pk_add_f32 v[10:11], v[12:13], v[20:21]
	;; [unrolled: 2-line block ×3, first 2 shown]
	ds_bpermute_b32 v12, v26, v8
	s_wait_dscnt 0x1
	v_pk_add_f32 v[16:17], v[16:17], v[24:25]
	ds_bpermute_b32 v13, v26, v9
	ds_bpermute_b32 v20, v26, v10
	;; [unrolled: 1-line block ×7, first 2 shown]
	s_wait_dscnt 0x6
	v_pk_add_f32 v[14:15], v[8:9], v[12:13]
	s_wait_dscnt 0x4
	v_pk_add_f32 v[12:13], v[10:11], v[20:21]
	;; [unrolled: 2-line block ×4, first 2 shown]
	s_cbranch_vccz .LBB0_13
; %bb.12:
	s_ashr_i32 s37, s36, 31
	v_dual_mov_b32 v16, 0 :: v_dual_max_num_f32 v17, v1, v1
	s_lshl_b64 s[2:3], s[36:37], 2
	v_dual_max_num_f32 v19, v3, v3 :: v_dual_max_num_f32 v20, v4, v4
	s_add_nc_u64 s[2:3], s[20:21], s[2:3]
	s_clause 0x1
	global_load_b128 v[24:27], v16, s[2:3]
	global_load_b128 v[28:31], v16, s[2:3] offset:16
	s_wait_xcnt 0x0
	v_dual_max_num_f32 v16, v0, v0 :: v_dual_max_num_f32 v18, v2, v2
	v_dual_max_num_f32 v23, v7, v7 :: v_dual_max_num_f32 v21, v5, v5
	s_wait_loadcnt 0x1
	v_dual_max_num_f32 v22, v6, v6 :: v_dual_max_num_f32 v32, v24, v24
	v_dual_max_num_f32 v33, v25, v25 :: v_dual_max_num_f32 v34, v26, v26
	s_wait_loadcnt 0x0
	v_dual_max_num_f32 v35, v27, v27 :: v_dual_max_num_f32 v36, v28, v28
	s_delay_alu instid0(VALU_DEP_3) | instskip(NEXT) | instid1(VALU_DEP_3)
	v_dual_max_num_f32 v39, v31, v31 :: v_dual_max_num_f32 v16, v16, v32
	v_dual_max_num_f32 v17, v17, v33 :: v_dual_max_num_f32 v18, v18, v34
	s_delay_alu instid0(VALU_DEP_3) | instskip(NEXT) | instid1(VALU_DEP_3)
	v_dual_max_num_f32 v19, v19, v35 :: v_dual_max_num_f32 v20, v20, v36
	v_dual_max_num_f32 v23, v23, v39 :: v_dual_sub_f32 v0, v0, v16
	s_delay_alu instid0(VALU_DEP_3) | instskip(NEXT) | instid1(VALU_DEP_4)
	v_dual_sub_f32 v24, v24, v16 :: v_dual_sub_f32 v1, v1, v17
	v_dual_sub_f32 v25, v25, v17 :: v_dual_sub_f32 v32, v2, v18
	s_delay_alu instid0(VALU_DEP_4) | instskip(NEXT) | instid1(VALU_DEP_4)
	v_dual_sub_f32 v27, v27, v19 :: v_dual_sub_f32 v34, v4, v20
	v_dual_sub_f32 v31, v31, v23 :: v_dual_mul_f32 v2, 0x3fb8aa3b, v0
	v_dual_max_num_f32 v37, v29, v29 :: v_dual_max_num_f32 v38, v30, v30
	v_dual_sub_f32 v26, v26, v18 :: v_dual_sub_f32 v33, v3, v19
	v_dual_mul_f32 v3, 0x3fb8aa3b, v24 :: v_dual_mul_f32 v4, 0x3fb8aa3b, v1
	v_dual_mul_f32 v39, 0x3fb8aa3b, v27 :: v_dual_mul_f32 v40, 0x3fb8aa3b, v34
	v_fma_f32 v48, 0x3fb8aa3b, v0, -v2
	v_rndne_f32_e32 v49, v2
	v_dual_max_num_f32 v21, v21, v37 :: v_dual_max_num_f32 v22, v22, v38
	v_mul_f32_e32 v47, 0x3fb8aa3b, v31
	v_rndne_f32_e32 v51, v3
	v_fma_f32 v67, 0x3fb8aa3b, v34, -v40
	v_fmac_f32_e32 v48, 0x32a5705f, v0
	v_dual_sub_f32 v2, v2, v49 :: v_dual_sub_f32 v28, v28, v20
	v_sub_f32_e32 v35, v5, v21
	v_fma_f32 v50, 0x3fb8aa3b, v24, -v3
	v_sub_f32_e32 v3, v3, v51
	s_delay_alu instid0(VALU_DEP_4)
	v_dual_fmac_f32 v67, 0x32a5705f, v34 :: v_dual_add_f32 v2, v2, v48
	v_dual_sub_f32 v29, v29, v21 :: v_dual_sub_f32 v36, v6, v22
	v_dual_sub_f32 v30, v30, v22 :: v_dual_sub_f32 v37, v7, v23
	v_dual_mul_f32 v7, 0x3fb8aa3b, v26 :: v_dual_mul_f32 v38, 0x3fb8aa3b, v33
	v_dual_mul_f32 v41, 0x3fb8aa3b, v28 :: v_dual_mul_f32 v42, 0x3fb8aa3b, v35
	v_exp_f32_e32 v2, v2
	v_dual_mul_f32 v5, 0x3fb8aa3b, v25 :: v_dual_mul_f32 v6, 0x3fb8aa3b, v32
	v_dual_mul_f32 v43, 0x3fb8aa3b, v29 :: v_dual_mul_f32 v44, 0x3fb8aa3b, v36
	;; [unrolled: 1-line block ×3, first 2 shown]
	v_fma_f32 v63, 0x3fb8aa3b, v33, -v38
	v_fma_f32 v65, 0x3fb8aa3b, v27, -v39
	v_rndne_f32_e32 v66, v39
	v_fma_f32 v71, 0x3fb8aa3b, v35, -v42
	v_rndne_f32_e32 v72, v42
	v_cvt_i32_f32_e32 v49, v49
	v_fma_f32 v55, 0x3fb8aa3b, v1, -v4
	v_rndne_f32_e32 v56, v4
	v_fma_f32 v57, 0x3fb8aa3b, v25, -v5
	v_rndne_f32_e32 v58, v5
	v_rndne_f32_e32 v92, v44
	v_fma_f32 v93, 0x3fb8aa3b, v30, -v45
	v_rndne_f32_e32 v94, v45
	v_rndne_f32_e32 v96, v46
	v_dual_fmac_f32 v50, 0x32a5705f, v24 :: v_dual_fmac_f32 v55, 0x32a5705f, v1
	v_dual_fmac_f32 v63, 0x32a5705f, v33 :: v_dual_sub_f32 v42, v42, v72
	v_fmac_f32_e32 v65, 0x32a5705f, v27
	v_sub_f32_e32 v39, v39, v66
	v_ldexp_f32 v2, v2, v49
	v_cmp_ngt_f32_e32 vcc_lo, 0xc2ce8ed0, v0
	v_fmac_f32_e32 v71, 0x32a5705f, v35
	v_fma_f32 v59, 0x3fb8aa3b, v32, -v6
	v_rndne_f32_e32 v60, v6
	v_rndne_f32_e32 v90, v43
	v_fma_f32 v91, 0x3fb8aa3b, v36, -v44
	v_fma_f32 v95, 0x3fb8aa3b, v37, -v46
	v_dual_sub_f32 v4, v4, v56 :: v_dual_fmac_f32 v57, 0x32a5705f, v25
	v_dual_sub_f32 v5, v5, v58 :: v_dual_sub_f32 v6, v6, v60
	v_sub_f32_e32 v44, v44, v92
	v_dual_sub_f32 v46, v46, v96 :: v_dual_sub_f32 v45, v45, v94
	v_dual_add_f32 v39, v39, v65 :: v_dual_cndmask_b32 v2, 0, v2
	v_dual_fmac_f32 v93, 0x32a5705f, v30 :: v_dual_add_f32 v42, v42, v71
	v_add_f32_e32 v3, v3, v50
	v_fma_f32 v73, 0x3fb8aa3b, v29, -v43
	v_dual_fmac_f32 v59, 0x32a5705f, v32 :: v_dual_add_f32 v4, v4, v55
	v_dual_sub_f32 v43, v43, v90 :: v_dual_add_f32 v5, v5, v57
	v_add_f32_e32 v45, v45, v93
	v_exp_f32_e32 v3, v3
	v_cvt_i32_f32_e32 v51, v51
	v_fma_f32 v61, 0x3fb8aa3b, v26, -v7
	v_rndne_f32_e32 v62, v7
	v_fma_f32 v69, 0x3fb8aa3b, v28, -v41
	v_exp_f32_e32 v4, v4
	v_exp_f32_e32 v5, v5
	v_cvt_i32_f32_e32 v56, v56
	v_cvt_i32_f32_e32 v58, v58
	v_ldexp_f32 v3, v3, v51
	v_cmp_ngt_f32_e32 vcc_lo, 0xc2ce8ed0, v24
	v_rndne_f32_e32 v64, v38
	v_rndne_f32_e32 v68, v40
	;; [unrolled: 1-line block ×3, first 2 shown]
	v_fmac_f32_e32 v61, 0x32a5705f, v26
	v_sub_f32_e32 v7, v7, v62
	v_dual_fmac_f32 v69, 0x32a5705f, v28 :: v_dual_add_f32 v6, v6, v59
	v_fma_f32 v97, 0x3fb8aa3b, v31, -v47
	v_ldexp_f32 v4, v4, v56
	v_ldexp_f32 v5, v5, v58
	v_cndmask_b32_e32 v3, 0, v3, vcc_lo
	v_cmp_ngt_f32_e32 vcc_lo, 0xc2ce8ed0, v1
	v_sub_f32_e32 v38, v38, v64
	v_dual_sub_f32 v40, v40, v68 :: v_dual_sub_f32 v41, v41, v70
	v_add_f32_e32 v7, v7, v61
	v_exp_f32_e32 v6, v6
	v_rndne_f32_e32 v98, v47
	v_cvt_i32_f32_e32 v60, v60
	v_dual_fmac_f32 v97, 0x32a5705f, v31 :: v_dual_cndmask_b32 v4, 0, v4
	v_cmp_ngt_f32_e32 vcc_lo, 0xc2ce8ed0, v25
	v_dual_fmac_f32 v73, 0x32a5705f, v29 :: v_dual_add_f32 v38, v38, v63
	v_exp_f32_e32 v7, v7
	v_cvt_i32_f32_e32 v62, v62
	v_dual_sub_f32 v47, v47, v98 :: v_dual_add_f32 v41, v41, v69
	v_ldexp_f32 v6, v6, v60
	v_cndmask_b32_e32 v5, 0, v5, vcc_lo
	v_cmp_ngt_f32_e32 vcc_lo, 0xc2ce8ed0, v32
	v_exp_f32_e32 v38, v38
	v_cvt_i32_f32_e32 v64, v64
	v_add_f32_e32 v47, v47, v97
	v_ldexp_f32 v7, v7, v62
	v_cndmask_b32_e32 v6, 0, v6, vcc_lo
	v_cmp_ngt_f32_e32 vcc_lo, 0xc2ce8ed0, v26
	v_dual_fmac_f32 v91, 0x32a5705f, v36 :: v_dual_add_f32 v40, v40, v67
	v_exp_f32_e32 v39, v39
	v_cvt_i32_f32_e32 v66, v66
	v_ldexp_f32 v38, v38, v64
	v_cndmask_b32_e32 v7, 0, v7, vcc_lo
	v_cmp_ngt_f32_e32 vcc_lo, 0xc2ce8ed0, v33
	v_exp_f32_e32 v40, v40
	v_cvt_i32_f32_e32 v68, v68
	v_ldexp_f32 v39, v39, v66
	v_exp_f32_e32 v41, v41
	v_cndmask_b32_e32 v38, 0, v38, vcc_lo
	v_cmp_ngt_f32_e32 vcc_lo, 0xc2ce8ed0, v27
	v_cvt_i32_f32_e32 v70, v70
	v_ldexp_f32 v40, v40, v68
	v_dual_fmac_f32 v95, 0x32a5705f, v37 :: v_dual_add_f32 v44, v44, v91
	v_cndmask_b32_e32 v39, 0, v39, vcc_lo
	v_cmp_ngt_f32_e32 vcc_lo, 0xc2ce8ed0, v34
	s_delay_alu instid0(VALU_DEP_3)
	v_dual_add_f32 v43, v43, v73 :: v_dual_add_f32 v46, v46, v95
	v_exp_f32_e32 v42, v42
	v_cvt_i32_f32_e32 v72, v72
	v_ldexp_f32 v41, v41, v70
	v_cndmask_b32_e32 v40, 0, v40, vcc_lo
	v_cmp_ngt_f32_e32 vcc_lo, 0xc2ce8ed0, v28
	v_exp_f32_e32 v43, v43
	v_cvt_i32_f32_e32 v90, v90
	v_ldexp_f32 v42, v42, v72
	v_exp_f32_e32 v44, v44
	v_cndmask_b32_e32 v41, 0, v41, vcc_lo
	v_cmp_ngt_f32_e32 vcc_lo, 0xc2ce8ed0, v35
	v_cvt_i32_f32_e32 v92, v92
	v_ldexp_f32 v43, v43, v90
	v_exp_f32_e32 v45, v45
	v_cvt_i32_f32_e32 v94, v94
	v_cndmask_b32_e32 v42, 0, v42, vcc_lo
	v_cmp_ngt_f32_e32 vcc_lo, 0xc2ce8ed0, v29
	v_ldexp_f32 v44, v44, v92
	v_exp_f32_e32 v46, v46
	v_cvt_i32_f32_e32 v96, v96
	v_ldexp_f32 v45, v45, v94
	v_cndmask_b32_e32 v43, 0, v43, vcc_lo
	v_cmp_ngt_f32_e32 vcc_lo, 0xc2ce8ed0, v36
	v_exp_f32_e32 v47, v47
	v_cvt_i32_f32_e32 v98, v98
	v_ldexp_f32 v46, v46, v96
	v_cndmask_b32_e32 v44, 0, v44, vcc_lo
	v_cmp_ngt_f32_e32 vcc_lo, 0xc2ce8ed0, v30
	s_delay_alu instid0(TRANS32_DEP_1) | instid1(VALU_DEP_4)
	v_ldexp_f32 v47, v47, v98
	v_cndmask_b32_e32 v45, 0, v45, vcc_lo
	v_cmp_ngt_f32_e32 vcc_lo, 0xc2ce8ed0, v37
	v_cndmask_b32_e32 v46, 0, v46, vcc_lo
	v_cmp_ngt_f32_e32 vcc_lo, 0xc2ce8ed0, v31
	v_cndmask_b32_e32 v47, 0, v47, vcc_lo
	v_cmp_nlt_f32_e32 vcc_lo, 0x42b17218, v0
	v_cndmask_b32_e32 v0, 0x7f800000, v2, vcc_lo
	v_cmp_nlt_f32_e32 vcc_lo, 0x42b17218, v24
	;; [unrolled: 2-line block ×5, first 2 shown]
	v_cvt_f16_f32_e32 v32, v0
	s_delay_alu instid0(VALU_DEP_3) | instskip(SKIP_2) | instid1(VALU_DEP_4)
	v_pk_fma_f32 v[14:15], v[14:15], v[0:1], v[2:3]
	v_cndmask_b32_e32 v4, 0x7f800000, v6, vcc_lo
	v_cmp_nlt_f32_e32 vcc_lo, 0x42b17218, v26
	v_and_b32_e32 v0, 0xffff, v32
	v_cndmask_b32_e32 v6, 0x7f800000, v7, vcc_lo
	v_cmp_nlt_f32_e32 vcc_lo, 0x42b17218, v33
	v_cvt_f16_f32_e32 v33, v1
	s_delay_alu instid0(VALU_DEP_4) | instskip(SKIP_2) | instid1(VALU_DEP_4)
	v_mul_u32_u24_e32 v0, 0x10001, v0
	v_cndmask_b32_e32 v5, 0x7f800000, v38, vcc_lo
	v_cmp_nlt_f32_e32 vcc_lo, 0x42b17218, v27
	v_and_b32_e32 v1, 0xffff, v33
	s_delay_alu instid0(VALU_DEP_4)
	v_pk_mul_f16 v88, v88, v0
	v_pk_mul_f16 v89, v89, v0
	v_cndmask_b32_e32 v7, 0x7f800000, v39, vcc_lo
	v_cmp_nlt_f32_e32 vcc_lo, 0x42b17218, v34
	v_cvt_f16_f32_e32 v34, v4
	v_mul_u32_u24_e32 v1, 0x10001, v1
	s_delay_alu instid0(VALU_DEP_4)
	v_pk_fma_f32 v[12:13], v[12:13], v[4:5], v[6:7]
	v_cndmask_b32_e32 v24, 0x7f800000, v40, vcc_lo
	v_cmp_nlt_f32_e32 vcc_lo, 0x42b17218, v28
	v_and_b32_e32 v2, 0xffff, v34
	v_pk_mul_f16 v86, v86, v1
	v_pk_mul_f16 v87, v87, v1
	v_cndmask_b32_e32 v26, 0x7f800000, v41, vcc_lo
	v_cmp_nlt_f32_e32 vcc_lo, 0x42b17218, v35
	v_cvt_f16_f32_e32 v35, v5
	v_mul_u32_u24_e32 v2, 0x10001, v2
	v_cndmask_b32_e32 v25, 0x7f800000, v42, vcc_lo
	v_cmp_nlt_f32_e32 vcc_lo, 0x42b17218, v29
	s_delay_alu instid0(VALU_DEP_4) | instskip(NEXT) | instid1(VALU_DEP_4)
	v_and_b32_e32 v3, 0xffff, v35
	v_pk_mul_f16 v84, v84, v2
	v_pk_mul_f16 v85, v85, v2
	v_cndmask_b32_e32 v27, 0x7f800000, v43, vcc_lo
	v_cmp_nlt_f32_e32 vcc_lo, 0x42b17218, v36
	v_cvt_f16_f32_e32 v36, v24
	v_mul_u32_u24_e32 v3, 0x10001, v3
	s_delay_alu instid0(VALU_DEP_4)
	v_pk_fma_f32 v[10:11], v[10:11], v[24:25], v[26:27]
	v_cndmask_b32_e32 v28, 0x7f800000, v44, vcc_lo
	v_cmp_nlt_f32_e32 vcc_lo, 0x42b17218, v30
	v_and_b32_e32 v4, 0xffff, v36
	v_pk_mul_f16 v82, v82, v3
	v_pk_mul_f16 v83, v83, v3
	v_cvt_f16_f32_e32 v38, v28
	v_cndmask_b32_e32 v30, 0x7f800000, v45, vcc_lo
	v_cmp_nlt_f32_e32 vcc_lo, 0x42b17218, v37
	v_cvt_f16_f32_e32 v37, v25
	v_mul_u32_u24_e32 v4, 0x10001, v4
	v_and_b32_e32 v6, 0xffff, v38
	v_cndmask_b32_e32 v29, 0x7f800000, v46, vcc_lo
	s_delay_alu instid0(VALU_DEP_4) | instskip(SKIP_1) | instid1(VALU_DEP_4)
	v_and_b32_e32 v5, 0xffff, v37
	v_cmp_nlt_f32_e32 vcc_lo, 0x42b17218, v31
	v_mul_u32_u24_e32 v6, 0x10001, v6
	v_pk_mul_f16 v80, v80, v4
	v_cvt_f16_f32_e32 v39, v29
	v_mul_u32_u24_e32 v5, 0x10001, v5
	v_cndmask_b32_e32 v31, 0x7f800000, v47, vcc_lo
	v_pk_mul_f16 v81, v81, v4
	v_pk_mul_f16 v76, v76, v6
	v_and_b32_e32 v7, 0xffff, v39
	v_pk_mul_f16 v78, v78, v5
	v_pk_mul_f16 v79, v79, v5
	;; [unrolled: 1-line block ×3, first 2 shown]
	v_pk_fma_f32 v[8:9], v[8:9], v[28:29], v[30:31]
	v_mul_u32_u24_e32 v7, 0x10001, v7
	s_delay_alu instid0(VALU_DEP_1)
	v_pk_mul_f16 v74, v74, v7
	v_pk_mul_f16 v75, v75, v7
	v_mov_b64_e32 v[0:1], v[16:17]
	v_mov_b64_e32 v[2:3], v[18:19]
	;; [unrolled: 1-line block ×4, first 2 shown]
.LBB0_13:
	s_mov_b32 s2, exec_lo
	v_cmpx_gt_i32_e64 s30, v54
	s_cbranch_execz .LBB0_46
; %bb.14:
	s_load_b32 s0, s[0:1], 0xd4
	v_mov_b32_e32 v16, 1.0
	s_wait_kmcnt 0x0
	s_cmp_lg_u32 s0, 1
	s_cselect_b32 s1, -1, 0
	s_cmp_eq_u32 s0, 1
	s_cselect_b32 s2, -1, 0
	s_and_b32 vcc_lo, exec_lo, s1
	s_cbranch_vccnz .LBB0_16
; %bb.15:
	v_div_scale_f32 v16, null, v14, v14, 1.0
	s_delay_alu instid0(VALU_DEP_1) | instskip(SKIP_1) | instid1(TRANS32_DEP_1)
	v_rcp_f32_e32 v17, v16
	v_nop
	v_fma_f32 v18, -v16, v17, 1.0
	s_delay_alu instid0(VALU_DEP_1) | instskip(SKIP_1) | instid1(VALU_DEP_1)
	v_fmac_f32_e32 v17, v18, v17
	v_div_scale_f32 v18, vcc_lo, 1.0, v14, 1.0
	v_mul_f32_e32 v19, v18, v17
	s_delay_alu instid0(VALU_DEP_1) | instskip(NEXT) | instid1(VALU_DEP_1)
	v_fma_f32 v20, -v16, v19, v18
	v_fmac_f32_e32 v19, v20, v17
	s_delay_alu instid0(VALU_DEP_1) | instskip(NEXT) | instid1(VALU_DEP_1)
	v_fma_f32 v16, -v16, v19, v18
	v_div_fmas_f32 v16, v16, v17, v19
	s_delay_alu instid0(VALU_DEP_1)
	v_div_fixup_f32 v16, v16, v14, 1.0
.LBB0_16:
	v_mad_u32 v17, s34, s30, v54
	v_dual_lshrrev_b32 v19, 16, v88 :: v_dual_mov_b32 v21, 0
	v_lshrrev_b32_e32 v23, 16, v89
	v_cvt_f32_f16_e32 v18, v88
	v_cvt_f32_f16_e32 v22, v89
	s_delay_alu instid0(VALU_DEP_4) | instskip(SKIP_4) | instid1(VALU_DEP_1)
	v_cvt_f32_f16_e32 v19, v19
	v_cmp_eq_u32_e32 vcc_lo, 0, v53
	v_cvt_f32_f16_e32 v23, v23
	v_mad_u32 v17, v17, s31, s36
	s_and_b32 s1, vcc_lo, s1
	v_mad_u32 v17, s0, v17, s33
	s_delay_alu instid0(VALU_DEP_1) | instskip(SKIP_1) | instid1(VALU_DEP_2)
	v_lshl_add_u32 v20, v17, 7, v52
	v_pk_mul_f32 v[18:19], v[16:17], v[18:19] op_sel_hi:[0,1]
	v_lshl_add_u64 v[24:25], v[20:21], 2, s[24:25]
	v_pk_mul_f32 v[20:21], v[16:17], v[22:23] op_sel_hi:[0,1]
	global_store_b128 v[24:25], v[18:21], off
	s_wait_xcnt 0x0
	s_and_saveexec_b32 s3, s1
	s_cbranch_execz .LBB0_18
; %bb.17:
	v_dual_mov_b32 v18, v0 :: v_dual_mov_b32 v19, v14
	global_store_b64 v17, v[18:19], s[26:27] scale_offset
.LBB0_18:
	s_wait_xcnt 0x0
	s_or_b32 exec_lo, exec_lo, s3
	v_cndmask_b32_e64 v16, 0, 1, s2
	v_mov_b32_e32 v0, 1.0
	s_and_not1_b32 vcc_lo, exec_lo, s2
	s_cbranch_vccnz .LBB0_20
; %bb.19:
	v_div_scale_f32 v0, null, v15, v15, 1.0
	s_delay_alu instid0(VALU_DEP_1) | instskip(SKIP_1) | instid1(TRANS32_DEP_1)
	v_rcp_f32_e32 v14, v0
	v_nop
	v_fma_f32 v18, -v0, v14, 1.0
	s_delay_alu instid0(VALU_DEP_1) | instskip(SKIP_1) | instid1(VALU_DEP_1)
	v_fmac_f32_e32 v14, v18, v14
	v_div_scale_f32 v18, vcc_lo, 1.0, v15, 1.0
	v_mul_f32_e32 v19, v18, v14
	s_delay_alu instid0(VALU_DEP_1) | instskip(NEXT) | instid1(VALU_DEP_1)
	v_fma_f32 v20, -v0, v19, v18
	v_fmac_f32_e32 v19, v20, v14
	s_delay_alu instid0(VALU_DEP_1) | instskip(NEXT) | instid1(VALU_DEP_1)
	v_fma_f32 v0, -v0, v19, v18
	v_div_fmas_f32 v0, v0, v14, v19
	s_delay_alu instid0(VALU_DEP_1)
	v_div_fixup_f32 v0, v0, v15, 1.0
.LBB0_20:
	v_dual_add_nc_u32 v17, s0, v17 :: v_dual_lshrrev_b32 v14, 16, v86
	v_dual_mov_b32 v19, 0 :: v_dual_lshrrev_b32 v23, 16, v87
	v_cvt_f32_f16_e32 v20, v86
	s_delay_alu instid0(VALU_DEP_3) | instskip(NEXT) | instid1(VALU_DEP_4)
	v_lshl_add_u32 v18, v17, 7, v52
	v_cvt_f32_f16_e32 v21, v14
	v_cvt_f32_f16_e32 v22, v87
	;; [unrolled: 1-line block ×3, first 2 shown]
	s_delay_alu instid0(VALU_DEP_4) | instskip(NEXT) | instid1(VALU_DEP_4)
	v_lshl_add_u64 v[24:25], v[18:19], 2, s[24:25]
	v_pk_mul_f32 v[18:19], v[0:1], v[20:21] op_sel_hi:[0,1]
	s_delay_alu instid0(VALU_DEP_3)
	v_pk_mul_f32 v[20:21], v[0:1], v[22:23] op_sel_hi:[0,1]
	global_store_b128 v[24:25], v[18:21], off
	s_wait_xcnt 0x0
	s_and_saveexec_b32 s2, s1
	s_cbranch_execz .LBB0_22
; %bb.21:
	v_mov_b32_e32 v14, v1
	global_store_b64 v17, v[14:15], s[26:27] scale_offset
.LBB0_22:
	s_wait_xcnt 0x0
	s_or_b32 exec_lo, exec_lo, s2
	v_cmp_ne_u32_e32 vcc_lo, 1, v16
	v_mov_b32_e32 v0, 1.0
	s_cbranch_vccnz .LBB0_24
; %bb.23:
	v_div_scale_f32 v0, null, v12, v12, 1.0
	s_delay_alu instid0(VALU_DEP_1) | instskip(SKIP_1) | instid1(TRANS32_DEP_1)
	v_rcp_f32_e32 v1, v0
	v_nop
	v_fma_f32 v14, -v0, v1, 1.0
	s_delay_alu instid0(VALU_DEP_1) | instskip(SKIP_1) | instid1(VALU_DEP_1)
	v_fmac_f32_e32 v1, v14, v1
	v_div_scale_f32 v14, vcc_lo, 1.0, v12, 1.0
	v_mul_f32_e32 v15, v14, v1
	s_delay_alu instid0(VALU_DEP_1) | instskip(NEXT) | instid1(VALU_DEP_1)
	v_fma_f32 v18, -v0, v15, v14
	v_fmac_f32_e32 v15, v18, v1
	s_delay_alu instid0(VALU_DEP_1) | instskip(NEXT) | instid1(VALU_DEP_1)
	v_fma_f32 v0, -v0, v15, v14
	v_div_fmas_f32 v0, v0, v1, v15
	s_delay_alu instid0(VALU_DEP_1)
	v_div_fixup_f32 v0, v0, v12, 1.0
.LBB0_24:
	v_dual_add_nc_u32 v1, s0, v17 :: v_dual_lshrrev_b32 v17, 16, v84
	v_dual_mov_b32 v15, 0 :: v_dual_lshrrev_b32 v21, 16, v85
	v_cvt_f32_f16_e32 v18, v84
	s_delay_alu instid0(VALU_DEP_3) | instskip(NEXT) | instid1(VALU_DEP_4)
	v_lshl_add_u32 v14, v1, 7, v52
	v_cvt_f32_f16_e32 v19, v17
	v_cvt_f32_f16_e32 v20, v85
	;; [unrolled: 1-line block ×3, first 2 shown]
	s_delay_alu instid0(VALU_DEP_4) | instskip(NEXT) | instid1(VALU_DEP_4)
	v_lshl_add_u64 v[14:15], v[14:15], 2, s[24:25]
	v_pk_mul_f32 v[18:19], v[0:1], v[18:19] op_sel_hi:[0,1]
	s_delay_alu instid0(VALU_DEP_3)
	v_pk_mul_f32 v[20:21], v[0:1], v[20:21] op_sel_hi:[0,1]
	global_store_b128 v[14:15], v[18:21], off
	s_wait_xcnt 0x0
	s_and_saveexec_b32 s2, s1
	s_cbranch_execz .LBB0_26
; %bb.25:
	v_dual_mov_b32 v14, v2 :: v_dual_mov_b32 v15, v12
	global_store_b64 v1, v[14:15], s[26:27] scale_offset
.LBB0_26:
	s_wait_xcnt 0x0
	s_or_b32 exec_lo, exec_lo, s2
	v_cmp_ne_u32_e32 vcc_lo, 1, v16
	v_mov_b32_e32 v0, 1.0
	s_cbranch_vccnz .LBB0_28
; %bb.27:
	v_div_scale_f32 v0, null, v13, v13, 1.0
	s_delay_alu instid0(VALU_DEP_1) | instskip(SKIP_1) | instid1(TRANS32_DEP_1)
	v_rcp_f32_e32 v2, v0
	v_nop
	v_fma_f32 v12, -v0, v2, 1.0
	s_delay_alu instid0(VALU_DEP_1) | instskip(SKIP_1) | instid1(VALU_DEP_1)
	v_fmac_f32_e32 v2, v12, v2
	v_div_scale_f32 v12, vcc_lo, 1.0, v13, 1.0
	v_mul_f32_e32 v14, v12, v2
	s_delay_alu instid0(VALU_DEP_1) | instskip(NEXT) | instid1(VALU_DEP_1)
	v_fma_f32 v15, -v0, v14, v12
	v_fmac_f32_e32 v14, v15, v2
	s_delay_alu instid0(VALU_DEP_1) | instskip(NEXT) | instid1(VALU_DEP_1)
	v_fma_f32 v0, -v0, v14, v12
	v_div_fmas_f32 v0, v0, v2, v14
	s_delay_alu instid0(VALU_DEP_1)
	v_div_fixup_f32 v0, v0, v13, 1.0
.LBB0_28:
	v_dual_add_nc_u32 v1, s0, v1 :: v_dual_lshrrev_b32 v2, 16, v82
	v_dual_mov_b32 v15, 0 :: v_dual_lshrrev_b32 v12, 16, v83
	v_cvt_f32_f16_e32 v18, v82
	s_delay_alu instid0(VALU_DEP_3) | instskip(NEXT) | instid1(VALU_DEP_4)
	v_lshl_add_u32 v14, v1, 7, v52
	v_cvt_f32_f16_e32 v19, v2
	v_cvt_f32_f16_e32 v20, v83
	;; [unrolled: 1-line block ×3, first 2 shown]
	s_delay_alu instid0(VALU_DEP_4) | instskip(NEXT) | instid1(VALU_DEP_4)
	v_lshl_add_u64 v[14:15], v[14:15], 2, s[24:25]
	v_pk_mul_f32 v[18:19], v[0:1], v[18:19] op_sel_hi:[0,1]
	s_delay_alu instid0(VALU_DEP_3)
	v_pk_mul_f32 v[20:21], v[0:1], v[20:21] op_sel_hi:[0,1]
	global_store_b128 v[14:15], v[18:21], off
	s_wait_xcnt 0x0
	s_and_saveexec_b32 s2, s1
	s_cbranch_execz .LBB0_30
; %bb.29:
	v_mov_b32_e32 v12, v3
	global_store_b64 v1, v[12:13], s[26:27] scale_offset
.LBB0_30:
	s_wait_xcnt 0x0
	s_or_b32 exec_lo, exec_lo, s2
	v_cmp_ne_u32_e32 vcc_lo, 1, v16
	v_mov_b32_e32 v0, 1.0
	s_cbranch_vccnz .LBB0_32
; %bb.31:
	v_div_scale_f32 v0, null, v10, v10, 1.0
	s_delay_alu instid0(VALU_DEP_1) | instskip(SKIP_1) | instid1(TRANS32_DEP_1)
	v_rcp_f32_e32 v2, v0
	v_nop
	v_fma_f32 v3, -v0, v2, 1.0
	s_delay_alu instid0(VALU_DEP_1) | instskip(SKIP_1) | instid1(VALU_DEP_1)
	v_fmac_f32_e32 v2, v3, v2
	v_div_scale_f32 v3, vcc_lo, 1.0, v10, 1.0
	v_mul_f32_e32 v12, v3, v2
	s_delay_alu instid0(VALU_DEP_1) | instskip(NEXT) | instid1(VALU_DEP_1)
	v_fma_f32 v13, -v0, v12, v3
	v_fmac_f32_e32 v12, v13, v2
	s_delay_alu instid0(VALU_DEP_1) | instskip(NEXT) | instid1(VALU_DEP_1)
	v_fma_f32 v0, -v0, v12, v3
	v_div_fmas_f32 v0, v0, v2, v12
	s_delay_alu instid0(VALU_DEP_1)
	v_div_fixup_f32 v0, v0, v10, 1.0
.LBB0_32:
	v_dual_add_nc_u32 v1, s0, v1 :: v_dual_lshrrev_b32 v12, 16, v80
	v_dual_mov_b32 v3, 0 :: v_dual_lshrrev_b32 v15, 16, v81
	v_cvt_f32_f16_e32 v14, v81
	s_delay_alu instid0(VALU_DEP_3) | instskip(NEXT) | instid1(VALU_DEP_4)
	v_lshl_add_u32 v2, v1, 7, v52
	v_cvt_f32_f16_e32 v13, v12
	v_cvt_f32_f16_e32 v12, v80
	;; [unrolled: 1-line block ×3, first 2 shown]
	s_delay_alu instid0(VALU_DEP_4) | instskip(NEXT) | instid1(VALU_DEP_3)
	v_lshl_add_u64 v[2:3], v[2:3], 2, s[24:25]
	v_pk_mul_f32 v[12:13], v[0:1], v[12:13] op_sel_hi:[0,1]
	s_delay_alu instid0(VALU_DEP_3)
	v_pk_mul_f32 v[14:15], v[0:1], v[14:15] op_sel_hi:[0,1]
	global_store_b128 v[2:3], v[12:15], off
	s_wait_xcnt 0x0
	s_and_saveexec_b32 s2, s1
	s_cbranch_execz .LBB0_34
; %bb.33:
	v_dual_mov_b32 v2, v4 :: v_dual_mov_b32 v3, v10
	global_store_b64 v1, v[2:3], s[26:27] scale_offset
.LBB0_34:
	s_wait_xcnt 0x0
	s_or_b32 exec_lo, exec_lo, s2
	v_cmp_ne_u32_e32 vcc_lo, 1, v16
	v_mov_b32_e32 v0, 1.0
	s_cbranch_vccnz .LBB0_36
; %bb.35:
	v_div_scale_f32 v0, null, v11, v11, 1.0
	s_delay_alu instid0(VALU_DEP_1) | instskip(SKIP_1) | instid1(TRANS32_DEP_1)
	v_rcp_f32_e32 v2, v0
	v_nop
	v_fma_f32 v3, -v0, v2, 1.0
	s_delay_alu instid0(VALU_DEP_1) | instskip(SKIP_1) | instid1(VALU_DEP_1)
	v_fmac_f32_e32 v2, v3, v2
	v_div_scale_f32 v3, vcc_lo, 1.0, v11, 1.0
	v_mul_f32_e32 v4, v3, v2
	s_delay_alu instid0(VALU_DEP_1) | instskip(NEXT) | instid1(VALU_DEP_1)
	v_fma_f32 v10, -v0, v4, v3
	v_fmac_f32_e32 v4, v10, v2
	s_delay_alu instid0(VALU_DEP_1) | instskip(NEXT) | instid1(VALU_DEP_1)
	v_fma_f32 v0, -v0, v4, v3
	v_div_fmas_f32 v0, v0, v2, v4
	s_delay_alu instid0(VALU_DEP_1)
	v_div_fixup_f32 v0, v0, v11, 1.0
.LBB0_36:
	v_dual_add_nc_u32 v1, s0, v1 :: v_dual_lshrrev_b32 v4, 16, v78
	v_dual_mov_b32 v3, 0 :: v_dual_lshrrev_b32 v10, 16, v79
	v_cvt_f32_f16_e32 v12, v78
	s_delay_alu instid0(VALU_DEP_3) | instskip(NEXT) | instid1(VALU_DEP_4)
	v_lshl_add_u32 v2, v1, 7, v52
	v_cvt_f32_f16_e32 v13, v4
	v_cvt_f32_f16_e32 v14, v79
	;; [unrolled: 1-line block ×3, first 2 shown]
	s_delay_alu instid0(VALU_DEP_4) | instskip(NEXT) | instid1(VALU_DEP_4)
	v_lshl_add_u64 v[2:3], v[2:3], 2, s[24:25]
	v_pk_mul_f32 v[12:13], v[0:1], v[12:13] op_sel_hi:[0,1]
	s_delay_alu instid0(VALU_DEP_3)
	v_pk_mul_f32 v[14:15], v[0:1], v[14:15] op_sel_hi:[0,1]
	global_store_b128 v[2:3], v[12:15], off
	s_wait_xcnt 0x0
	s_and_saveexec_b32 s2, s1
	s_cbranch_execz .LBB0_38
; %bb.37:
	v_mov_b32_e32 v10, v5
	global_store_b64 v1, v[10:11], s[26:27] scale_offset
.LBB0_38:
	s_wait_xcnt 0x0
	s_or_b32 exec_lo, exec_lo, s2
	v_cmp_ne_u32_e32 vcc_lo, 1, v16
	v_mov_b32_e32 v0, 1.0
	s_cbranch_vccnz .LBB0_40
; %bb.39:
	v_div_scale_f32 v0, null, v8, v8, 1.0
	s_delay_alu instid0(VALU_DEP_1) | instskip(SKIP_1) | instid1(TRANS32_DEP_1)
	v_rcp_f32_e32 v2, v0
	v_nop
	v_fma_f32 v3, -v0, v2, 1.0
	s_delay_alu instid0(VALU_DEP_1) | instskip(SKIP_1) | instid1(VALU_DEP_1)
	v_fmac_f32_e32 v2, v3, v2
	v_div_scale_f32 v3, vcc_lo, 1.0, v8, 1.0
	v_mul_f32_e32 v4, v3, v2
	s_delay_alu instid0(VALU_DEP_1) | instskip(NEXT) | instid1(VALU_DEP_1)
	v_fma_f32 v5, -v0, v4, v3
	v_fmac_f32_e32 v4, v5, v2
	s_delay_alu instid0(VALU_DEP_1) | instskip(NEXT) | instid1(VALU_DEP_1)
	v_fma_f32 v0, -v0, v4, v3
	v_div_fmas_f32 v0, v0, v2, v4
	s_delay_alu instid0(VALU_DEP_1)
	v_div_fixup_f32 v0, v0, v8, 1.0
.LBB0_40:
	v_dual_add_nc_u32 v1, s0, v1 :: v_dual_lshrrev_b32 v4, 16, v76
	v_dual_mov_b32 v3, 0 :: v_dual_lshrrev_b32 v11, 16, v77
	v_cvt_f32_f16_e32 v10, v77
	s_delay_alu instid0(VALU_DEP_3) | instskip(NEXT) | instid1(VALU_DEP_4)
	v_lshl_add_u32 v2, v1, 7, v52
	v_cvt_f32_f16_e32 v5, v4
	v_cvt_f32_f16_e32 v4, v76
	;; [unrolled: 1-line block ×3, first 2 shown]
	s_delay_alu instid0(VALU_DEP_4) | instskip(NEXT) | instid1(VALU_DEP_3)
	v_lshl_add_u64 v[12:13], v[2:3], 2, s[24:25]
	v_pk_mul_f32 v[2:3], v[0:1], v[4:5] op_sel_hi:[0,1]
	s_delay_alu instid0(VALU_DEP_3)
	v_pk_mul_f32 v[4:5], v[0:1], v[10:11] op_sel_hi:[0,1]
	global_store_b128 v[12:13], v[2:5], off
	s_wait_xcnt 0x0
	s_and_saveexec_b32 s2, s1
	s_cbranch_execz .LBB0_42
; %bb.41:
	v_dual_mov_b32 v2, v6 :: v_dual_mov_b32 v3, v8
	global_store_b64 v1, v[2:3], s[26:27] scale_offset
.LBB0_42:
	s_wait_xcnt 0x0
	s_or_b32 exec_lo, exec_lo, s2
	v_cmp_ne_u32_e32 vcc_lo, 1, v16
	v_mov_b32_e32 v0, 1.0
	s_cbranch_vccnz .LBB0_44
; %bb.43:
	v_div_scale_f32 v0, null, v9, v9, 1.0
	s_delay_alu instid0(VALU_DEP_1) | instskip(SKIP_1) | instid1(TRANS32_DEP_1)
	v_rcp_f32_e32 v2, v0
	v_nop
	v_fma_f32 v3, -v0, v2, 1.0
	s_delay_alu instid0(VALU_DEP_1) | instskip(SKIP_1) | instid1(VALU_DEP_1)
	v_fmac_f32_e32 v2, v3, v2
	v_div_scale_f32 v3, vcc_lo, 1.0, v9, 1.0
	v_mul_f32_e32 v4, v3, v2
	s_delay_alu instid0(VALU_DEP_1) | instskip(NEXT) | instid1(VALU_DEP_1)
	v_fma_f32 v5, -v0, v4, v3
	v_fmac_f32_e32 v4, v5, v2
	s_delay_alu instid0(VALU_DEP_1) | instskip(NEXT) | instid1(VALU_DEP_1)
	v_fma_f32 v0, -v0, v4, v3
	v_div_fmas_f32 v0, v0, v2, v4
	s_delay_alu instid0(VALU_DEP_1)
	v_div_fixup_f32 v0, v0, v9, 1.0
.LBB0_44:
	v_dual_add_nc_u32 v1, s0, v1 :: v_dual_lshrrev_b32 v4, 16, v74
	v_dual_mov_b32 v3, 0 :: v_dual_lshrrev_b32 v6, 16, v75
	v_cvt_f32_f16_e32 v10, v75
	s_delay_alu instid0(VALU_DEP_3) | instskip(NEXT) | instid1(VALU_DEP_4)
	v_lshl_add_u32 v2, v1, 7, v52
	v_cvt_f32_f16_e32 v5, v4
	v_cvt_f32_f16_e32 v4, v74
	v_cvt_f32_f16_e32 v11, v6
	s_delay_alu instid0(VALU_DEP_4) | instskip(NEXT) | instid1(VALU_DEP_3)
	v_lshl_add_u64 v[12:13], v[2:3], 2, s[24:25]
	v_pk_mul_f32 v[2:3], v[0:1], v[4:5] op_sel_hi:[0,1]
	s_delay_alu instid0(VALU_DEP_3)
	v_pk_mul_f32 v[4:5], v[0:1], v[10:11] op_sel_hi:[0,1]
	global_store_b128 v[12:13], v[2:5], off
	s_wait_xcnt 0x0
	s_and_b32 exec_lo, exec_lo, s1
	s_cbranch_execz .LBB0_46
; %bb.45:
	v_mov_b32_e32 v8, v7
	global_store_b64 v1, v[8:9], s[26:27] scale_offset
.LBB0_46:
	s_sendmsg sendmsg(MSG_DEALLOC_VGPRS)
	s_endpgm
	.section	.rodata,"a",@progbits
	.p2align	6, 0x0
	.amdhsa_kernel _ZL15flash_attn_tileILi128ELi128ELi8ELi8ELb0EEvPKcS1_S1_S1_S1_PKiPfP15HIP_vector_typeIfLj2EEffffjfiS5_IjLj3EEiiiiiiiiiiiliiliiiiil
		.amdhsa_group_segment_fixed_size 33792
		.amdhsa_private_segment_fixed_size 0
		.amdhsa_kernarg_size 464
		.amdhsa_user_sgpr_count 2
		.amdhsa_user_sgpr_dispatch_ptr 0
		.amdhsa_user_sgpr_queue_ptr 0
		.amdhsa_user_sgpr_kernarg_segment_ptr 1
		.amdhsa_user_sgpr_dispatch_id 0
		.amdhsa_user_sgpr_kernarg_preload_length 0
		.amdhsa_user_sgpr_kernarg_preload_offset 0
		.amdhsa_user_sgpr_private_segment_size 0
		.amdhsa_wavefront_size32 1
		.amdhsa_uses_dynamic_stack 0
		.amdhsa_enable_private_segment 0
		.amdhsa_system_sgpr_workgroup_id_x 1
		.amdhsa_system_sgpr_workgroup_id_y 1
		.amdhsa_system_sgpr_workgroup_id_z 1
		.amdhsa_system_sgpr_workgroup_info 0
		.amdhsa_system_vgpr_workitem_id 1
		.amdhsa_next_free_vgpr 178
		.amdhsa_next_free_sgpr 48
		.amdhsa_named_barrier_count 0
		.amdhsa_reserve_vcc 1
		.amdhsa_float_round_mode_32 0
		.amdhsa_float_round_mode_16_64 0
		.amdhsa_float_denorm_mode_32 3
		.amdhsa_float_denorm_mode_16_64 3
		.amdhsa_fp16_overflow 0
		.amdhsa_memory_ordered 1
		.amdhsa_forward_progress 1
		.amdhsa_inst_pref_size 241
		.amdhsa_round_robin_scheduling 0
		.amdhsa_exception_fp_ieee_invalid_op 0
		.amdhsa_exception_fp_denorm_src 0
		.amdhsa_exception_fp_ieee_div_zero 0
		.amdhsa_exception_fp_ieee_overflow 0
		.amdhsa_exception_fp_ieee_underflow 0
		.amdhsa_exception_fp_ieee_inexact 0
		.amdhsa_exception_int_div_zero 0
	.end_amdhsa_kernel
	.section	.text._ZL15flash_attn_tileILi128ELi128ELi8ELi8ELb0EEvPKcS1_S1_S1_S1_PKiPfP15HIP_vector_typeIfLj2EEffffjfiS5_IjLj3EEiiiiiiiiiiiliiliiiiil,"axG",@progbits,_ZL15flash_attn_tileILi128ELi128ELi8ELi8ELb0EEvPKcS1_S1_S1_S1_PKiPfP15HIP_vector_typeIfLj2EEffffjfiS5_IjLj3EEiiiiiiiiiiiliiliiiiil,comdat
.Lfunc_end0:
	.size	_ZL15flash_attn_tileILi128ELi128ELi8ELi8ELb0EEvPKcS1_S1_S1_S1_PKiPfP15HIP_vector_typeIfLj2EEffffjfiS5_IjLj3EEiiiiiiiiiiiliiliiiiil, .Lfunc_end0-_ZL15flash_attn_tileILi128ELi128ELi8ELi8ELb0EEvPKcS1_S1_S1_S1_PKiPfP15HIP_vector_typeIfLj2EEffffjfiS5_IjLj3EEiiiiiiiiiiiliiliiiiil
                                        ; -- End function
	.set _ZL15flash_attn_tileILi128ELi128ELi8ELi8ELb0EEvPKcS1_S1_S1_S1_PKiPfP15HIP_vector_typeIfLj2EEffffjfiS5_IjLj3EEiiiiiiiiiiiliiliiiiil.num_vgpr, 178
	.set _ZL15flash_attn_tileILi128ELi128ELi8ELi8ELb0EEvPKcS1_S1_S1_S1_PKiPfP15HIP_vector_typeIfLj2EEffffjfiS5_IjLj3EEiiiiiiiiiiiliiliiiiil.num_agpr, 0
	.set _ZL15flash_attn_tileILi128ELi128ELi8ELi8ELb0EEvPKcS1_S1_S1_S1_PKiPfP15HIP_vector_typeIfLj2EEffffjfiS5_IjLj3EEiiiiiiiiiiiliiliiiiil.numbered_sgpr, 48
	.set _ZL15flash_attn_tileILi128ELi128ELi8ELi8ELb0EEvPKcS1_S1_S1_S1_PKiPfP15HIP_vector_typeIfLj2EEffffjfiS5_IjLj3EEiiiiiiiiiiiliiliiiiil.num_named_barrier, 0
	.set _ZL15flash_attn_tileILi128ELi128ELi8ELi8ELb0EEvPKcS1_S1_S1_S1_PKiPfP15HIP_vector_typeIfLj2EEffffjfiS5_IjLj3EEiiiiiiiiiiiliiliiiiil.private_seg_size, 0
	.set _ZL15flash_attn_tileILi128ELi128ELi8ELi8ELb0EEvPKcS1_S1_S1_S1_PKiPfP15HIP_vector_typeIfLj2EEffffjfiS5_IjLj3EEiiiiiiiiiiiliiliiiiil.uses_vcc, 1
	.set _ZL15flash_attn_tileILi128ELi128ELi8ELi8ELb0EEvPKcS1_S1_S1_S1_PKiPfP15HIP_vector_typeIfLj2EEffffjfiS5_IjLj3EEiiiiiiiiiiiliiliiiiil.uses_flat_scratch, 0
	.set _ZL15flash_attn_tileILi128ELi128ELi8ELi8ELb0EEvPKcS1_S1_S1_S1_PKiPfP15HIP_vector_typeIfLj2EEffffjfiS5_IjLj3EEiiiiiiiiiiiliiliiiiil.has_dyn_sized_stack, 0
	.set _ZL15flash_attn_tileILi128ELi128ELi8ELi8ELb0EEvPKcS1_S1_S1_S1_PKiPfP15HIP_vector_typeIfLj2EEffffjfiS5_IjLj3EEiiiiiiiiiiiliiliiiiil.has_recursion, 0
	.set _ZL15flash_attn_tileILi128ELi128ELi8ELi8ELb0EEvPKcS1_S1_S1_S1_PKiPfP15HIP_vector_typeIfLj2EEffffjfiS5_IjLj3EEiiiiiiiiiiiliiliiiiil.has_indirect_call, 0
	.section	.AMDGPU.csdata,"",@progbits
; Kernel info:
; codeLenInByte = 30808
; TotalNumSgprs: 50
; NumVgprs: 178
; ScratchSize: 0
; MemoryBound: 0
; FloatMode: 240
; IeeeMode: 1
; LDSByteSize: 33792 bytes/workgroup (compile time only)
; SGPRBlocks: 0
; VGPRBlocks: 11
; NumSGPRsForWavesPerEU: 50
; NumVGPRsForWavesPerEU: 178
; NamedBarCnt: 0
; Occupancy: 5
; WaveLimiterHint : 1
; COMPUTE_PGM_RSRC2:SCRATCH_EN: 0
; COMPUTE_PGM_RSRC2:USER_SGPR: 2
; COMPUTE_PGM_RSRC2:TRAP_HANDLER: 0
; COMPUTE_PGM_RSRC2:TGID_X_EN: 1
; COMPUTE_PGM_RSRC2:TGID_Y_EN: 1
; COMPUTE_PGM_RSRC2:TGID_Z_EN: 1
; COMPUTE_PGM_RSRC2:TIDIG_COMP_CNT: 1
	.section	.text._ZL25flash_attn_mask_to_KV_maxILi8EEvPK7__half2Piiii,"axG",@progbits,_ZL25flash_attn_mask_to_KV_maxILi8EEvPK7__half2Piiii,comdat
	.globl	_ZL25flash_attn_mask_to_KV_maxILi8EEvPK7__half2Piiii ; -- Begin function _ZL25flash_attn_mask_to_KV_maxILi8EEvPK7__half2Piiii
	.p2align	8
	.type	_ZL25flash_attn_mask_to_KV_maxILi8EEvPK7__half2Piiii,@function
_ZL25flash_attn_mask_to_KV_maxILi8EEvPK7__half2Piiii: ; @_ZL25flash_attn_mask_to_KV_maxILi8EEvPK7__half2Piiii
; %bb.0:
	s_load_b128 s[4:7], s[0:1], 0x0
	s_mov_b32 s2, exec_lo
	v_cmpx_gt_u32_e32 32, v0
; %bb.1:
	v_dual_mov_b32 v2, 1 :: v_dual_lshlrev_b32 v1, 2, v0
	ds_store_b32 v1, v2
; %bb.2:
	s_or_b32 exec_lo, exec_lo, s2
	s_clause 0x1
	s_load_b96 s[8:10], s[0:1], 0x10
	s_load_b32 s11, s[0:1], 0x20
	s_wait_xcnt 0x0
	s_bfe_u32 s1, ttmp6, 0x4000c
	s_bfe_u32 s2, ttmp6, 0x40010
	s_add_co_i32 s1, s1, 1
	s_add_co_i32 s2, s2, 1
	s_and_b32 s0, ttmp6, 15
	s_bfe_u32 s3, ttmp6, 0x40004
	s_mul_i32 s1, ttmp9, s1
	s_mul_i32 s2, ttmp7, s2
	s_getreg_b32 s12, hwreg(HW_REG_IB_STS2, 6, 4)
	s_add_co_i32 s0, s0, s1
	s_add_co_i32 s3, s3, s2
	s_cmp_eq_u32 s12, 0
	v_dual_lshrrev_b32 v1, 3, v0 :: v_dual_bitop2_b32 v2, 31, v0 bitop3:0x40
	s_cselect_b32 s1, ttmp9, s0
	s_cselect_b32 s12, ttmp7, s3
	s_wait_dscnt 0x0
	s_barrier_signal -1
	s_wait_kmcnt 0x0
	s_mul_i32 s0, s1, s9
	s_mul_i32 s2, s10, s12
	s_lshl_b32 s0, s0, 3
	s_barrier_wait -1
	s_add_co_i32 s2, s2, s0
	v_cmp_eq_u32_e64 s0, 0, v2
	s_ashr_i32 s3, s2, 31
	v_lshlrev_b32_e32 v2, 2, v2
	s_lshl_b64 s[2:3], s[2:3], 2
	s_delay_alu instid0(SALU_CYCLE_1)
	s_add_nc_u64 s[2:3], s[4:5], s[2:3]
	s_lshl_b32 s5, s8, 8
	s_branch .LBB1_4
.LBB1_3:                                ;   in Loop: Header=BB1_4 Depth=1
	s_or_b32 exec_lo, exec_lo, s8
	s_wait_dscnt 0x0
	s_barrier_signal -1
	s_barrier_wait -1
	ds_load_b32 v3, v2
	s_wait_dscnt 0x0
	s_barrier_signal -1
	s_barrier_wait -1
	v_cmp_ne_u32_e32 vcc_lo, 0, v3
	s_cmp_lg_u32 vcc_lo, exec_lo
	s_cselect_b32 s8, -1, 0
	s_delay_alu instid0(SALU_CYCLE_1)
	s_and_b32 vcc_lo, exec_lo, s8
	s_cbranch_vccnz .LBB1_36
.LBB1_4:                                ; =>This Inner Loop Header: Depth=1
	s_mov_b32 s4, s5
	s_addk_co_i32 s5, 0xff00
	s_delay_alu instid0(SALU_CYCLE_1)
	s_cmp_lt_i32 s5, 0
	s_cbranch_scc1 .LBB1_35
; %bb.5:                                ;   in Loop: Header=BB1_4 Depth=1
	s_lshr_b32 s8, s5, 1
	s_delay_alu instid0(SALU_CYCLE_1) | instskip(SKIP_4) | instid1(VALU_DEP_2)
	v_add_nc_u32_e32 v3, s8, v0
	global_load_b32 v4, v3, s[2:3] scale_offset
	s_wait_loadcnt 0x0
	v_lshrrev_b32_e32 v5, 16, v4
	v_cmp_class_f16_e64 s8, v4, 0x204
	v_cmp_class_f16_e64 s10, v5, 0x204
	s_and_b32 s13, s8, s10
	s_mov_b32 s10, 0
	s_and_saveexec_b32 s8, s13
	s_cbranch_execz .LBB1_33
; %bb.6:                                ;   in Loop: Header=BB1_4 Depth=1
	v_add_nc_u32_e32 v3, s9, v3
	s_mov_b32 s13, 0
	global_load_b32 v4, v3, s[2:3] scale_offset
	s_wait_loadcnt 0x0
	v_cmp_class_f16_e64 s14, v4, 0x204
	s_and_saveexec_b32 s10, s14
	s_cbranch_execz .LBB1_32
; %bb.7:                                ;   in Loop: Header=BB1_4 Depth=1
	v_lshrrev_b32_e32 v4, 16, v4
	s_mov_b32 s14, 0
	s_delay_alu instid0(VALU_DEP_1)
	v_cmp_class_f16_e64 s15, v4, 0x204
	s_and_saveexec_b32 s13, s15
	s_cbranch_execz .LBB1_31
; %bb.8:                                ;   in Loop: Header=BB1_4 Depth=1
	v_add_nc_u32_e32 v3, s9, v3
	s_mov_b32 s15, 0
	global_load_b32 v4, v3, s[2:3] scale_offset
	s_wait_loadcnt 0x0
	v_cmp_class_f16_e64 s16, v4, 0x204
	s_and_saveexec_b32 s14, s16
	s_cbranch_execz .LBB1_30
; %bb.9:                                ;   in Loop: Header=BB1_4 Depth=1
	v_lshrrev_b32_e32 v4, 16, v4
	s_mov_b32 s16, 0
	s_delay_alu instid0(VALU_DEP_1)
	v_cmp_class_f16_e64 s17, v4, 0x204
	s_and_saveexec_b32 s15, s17
	s_cbranch_execz .LBB1_29
; %bb.10:                               ;   in Loop: Header=BB1_4 Depth=1
	v_add_nc_u32_e32 v3, s9, v3
	s_mov_b32 s17, 0
	global_load_b32 v4, v3, s[2:3] scale_offset
	s_wait_loadcnt 0x0
	v_cmp_class_f16_e64 s18, v4, 0x204
	s_and_saveexec_b32 s16, s18
	s_cbranch_execz .LBB1_28
; %bb.11:                               ;   in Loop: Header=BB1_4 Depth=1
	v_lshrrev_b32_e32 v4, 16, v4
	s_mov_b32 s18, 0
	s_delay_alu instid0(VALU_DEP_1)
	v_cmp_class_f16_e64 s19, v4, 0x204
	s_and_saveexec_b32 s17, s19
	s_cbranch_execz .LBB1_27
; %bb.12:                               ;   in Loop: Header=BB1_4 Depth=1
	v_add_nc_u32_e32 v3, s9, v3
	s_mov_b32 s19, 0
	global_load_b32 v4, v3, s[2:3] scale_offset
	s_wait_loadcnt 0x0
	v_cmp_class_f16_e64 s20, v4, 0x204
	s_and_saveexec_b32 s18, s20
	s_cbranch_execz .LBB1_26
; %bb.13:                               ;   in Loop: Header=BB1_4 Depth=1
	v_lshrrev_b32_e32 v4, 16, v4
	s_mov_b32 s20, 0
	s_delay_alu instid0(VALU_DEP_1)
	v_cmp_class_f16_e64 s21, v4, 0x204
	s_and_saveexec_b32 s19, s21
	s_cbranch_execz .LBB1_25
; %bb.14:                               ;   in Loop: Header=BB1_4 Depth=1
	v_add_nc_u32_e32 v3, s9, v3
	s_mov_b32 s21, 0
	global_load_b32 v4, v3, s[2:3] scale_offset
	s_wait_loadcnt 0x0
	v_cmp_class_f16_e64 s22, v4, 0x204
	s_and_saveexec_b32 s20, s22
	s_cbranch_execz .LBB1_24
; %bb.15:                               ;   in Loop: Header=BB1_4 Depth=1
	v_lshrrev_b32_e32 v4, 16, v4
	s_mov_b32 s22, 0
	s_delay_alu instid0(VALU_DEP_1)
	v_cmp_class_f16_e64 s23, v4, 0x204
	s_and_saveexec_b32 s21, s23
	s_cbranch_execz .LBB1_23
; %bb.16:                               ;   in Loop: Header=BB1_4 Depth=1
	v_add_nc_u32_e32 v3, s9, v3
	s_mov_b32 s23, 0
	global_load_b32 v4, v3, s[2:3] scale_offset
	s_wait_loadcnt 0x0
	v_cmp_class_f16_e64 s24, v4, 0x204
	s_and_saveexec_b32 s22, s24
	s_cbranch_execz .LBB1_22
; %bb.17:                               ;   in Loop: Header=BB1_4 Depth=1
	v_lshrrev_b32_e32 v4, 16, v4
	s_mov_b32 s24, 0
	s_delay_alu instid0(VALU_DEP_1)
	v_cmp_class_f16_e64 s25, v4, 0x204
	s_and_saveexec_b32 s23, s25
	s_cbranch_execz .LBB1_21
; %bb.18:                               ;   in Loop: Header=BB1_4 Depth=1
	v_add_nc_u32_e32 v3, s9, v3
	global_load_b32 v3, v3, s[2:3] scale_offset
	s_wait_loadcnt 0x0
	v_cmp_class_f16_e64 s26, v3, 0x204
	s_and_saveexec_b32 s25, s26
; %bb.19:                               ;   in Loop: Header=BB1_4 Depth=1
	v_lshrrev_b32_e32 v3, 16, v3
	s_delay_alu instid0(VALU_DEP_1)
	v_cmp_class_f16_e64 s24, v3, 0x204
	s_and_b32 s24, s24, exec_lo
; %bb.20:                               ;   in Loop: Header=BB1_4 Depth=1
	s_or_b32 exec_lo, exec_lo, s25
	s_delay_alu instid0(SALU_CYCLE_1)
	s_and_b32 s24, s24, exec_lo
.LBB1_21:                               ;   in Loop: Header=BB1_4 Depth=1
	s_or_b32 exec_lo, exec_lo, s23
	s_delay_alu instid0(SALU_CYCLE_1)
	s_and_b32 s23, s24, exec_lo
.LBB1_22:                               ;   in Loop: Header=BB1_4 Depth=1
	s_or_b32 exec_lo, exec_lo, s22
	s_delay_alu instid0(SALU_CYCLE_1)
	s_and_b32 s22, s23, exec_lo
.LBB1_23:                               ;   in Loop: Header=BB1_4 Depth=1
	s_or_b32 exec_lo, exec_lo, s21
	s_delay_alu instid0(SALU_CYCLE_1)
	s_and_b32 s21, s22, exec_lo
.LBB1_24:                               ;   in Loop: Header=BB1_4 Depth=1
	s_or_b32 exec_lo, exec_lo, s20
	s_delay_alu instid0(SALU_CYCLE_1)
	s_and_b32 s20, s21, exec_lo
.LBB1_25:                               ;   in Loop: Header=BB1_4 Depth=1
	s_or_b32 exec_lo, exec_lo, s19
	s_delay_alu instid0(SALU_CYCLE_1)
	s_and_b32 s19, s20, exec_lo
.LBB1_26:                               ;   in Loop: Header=BB1_4 Depth=1
	s_or_b32 exec_lo, exec_lo, s18
	s_delay_alu instid0(SALU_CYCLE_1)
	s_and_b32 s18, s19, exec_lo
.LBB1_27:                               ;   in Loop: Header=BB1_4 Depth=1
	s_or_b32 exec_lo, exec_lo, s17
	s_delay_alu instid0(SALU_CYCLE_1)
	s_and_b32 s17, s18, exec_lo
.LBB1_28:                               ;   in Loop: Header=BB1_4 Depth=1
	s_or_b32 exec_lo, exec_lo, s16
	s_delay_alu instid0(SALU_CYCLE_1)
	s_and_b32 s16, s17, exec_lo
.LBB1_29:                               ;   in Loop: Header=BB1_4 Depth=1
	s_or_b32 exec_lo, exec_lo, s15
	s_delay_alu instid0(SALU_CYCLE_1)
	s_and_b32 s15, s16, exec_lo
.LBB1_30:                               ;   in Loop: Header=BB1_4 Depth=1
	s_or_b32 exec_lo, exec_lo, s14
	s_delay_alu instid0(SALU_CYCLE_1)
	s_and_b32 s14, s15, exec_lo
.LBB1_31:                               ;   in Loop: Header=BB1_4 Depth=1
	s_or_b32 exec_lo, exec_lo, s13
	s_delay_alu instid0(SALU_CYCLE_1)
	s_and_b32 s13, s14, exec_lo
.LBB1_32:                               ;   in Loop: Header=BB1_4 Depth=1
	s_or_b32 exec_lo, exec_lo, s10
	s_delay_alu instid0(SALU_CYCLE_1)
	s_and_b32 s10, s13, exec_lo
.LBB1_33:                               ;   in Loop: Header=BB1_4 Depth=1
	s_or_b32 exec_lo, exec_lo, s8
	v_cndmask_b32_e64 v3, 0, 1, s10
	s_mov_b32 s13, exec_lo
	s_delay_alu instid0(VALU_DEP_1)
	v_cmp_ne_u32_e32 vcc_lo, 0, v3
	s_and_saveexec_b32 s8, s0
	s_cbranch_execz .LBB1_3
; %bb.34:                               ;   in Loop: Header=BB1_4 Depth=1
	s_cmp_eq_u32 vcc_lo, s13
	s_cselect_b32 s10, -1, 0
	s_delay_alu instid0(SALU_CYCLE_1)
	v_cndmask_b32_e64 v3, 0, 1, s10
	ds_store_b32 v1, v3
	s_branch .LBB1_3
.LBB1_35:                               ;   in Loop: Header=BB1_4 Depth=1
	s_cbranch_execz .LBB1_4
.LBB1_36:
	s_mov_b32 s0, exec_lo
	v_cmpx_eq_u32_e32 0, v0
	s_cbranch_execz .LBB1_38
; %bb.37:
	s_mul_i32 s0, s11, s12
	v_mov_b32_e32 v1, s4
	s_add_co_i32 s0, s0, s1
	s_delay_alu instid0(SALU_CYCLE_1)
	v_mov_b32_e32 v0, s0
	global_store_b32 v0, v1, s[6:7] scale_offset
.LBB1_38:
	s_endpgm
	.section	.rodata,"a",@progbits
	.p2align	6, 0x0
	.amdhsa_kernel _ZL25flash_attn_mask_to_KV_maxILi8EEvPK7__half2Piiii
		.amdhsa_group_segment_fixed_size 128
		.amdhsa_private_segment_fixed_size 0
		.amdhsa_kernarg_size 288
		.amdhsa_user_sgpr_count 2
		.amdhsa_user_sgpr_dispatch_ptr 0
		.amdhsa_user_sgpr_queue_ptr 0
		.amdhsa_user_sgpr_kernarg_segment_ptr 1
		.amdhsa_user_sgpr_dispatch_id 0
		.amdhsa_user_sgpr_kernarg_preload_length 0
		.amdhsa_user_sgpr_kernarg_preload_offset 0
		.amdhsa_user_sgpr_private_segment_size 0
		.amdhsa_wavefront_size32 1
		.amdhsa_uses_dynamic_stack 0
		.amdhsa_enable_private_segment 0
		.amdhsa_system_sgpr_workgroup_id_x 1
		.amdhsa_system_sgpr_workgroup_id_y 1
		.amdhsa_system_sgpr_workgroup_id_z 0
		.amdhsa_system_sgpr_workgroup_info 0
		.amdhsa_system_vgpr_workitem_id 0
		.amdhsa_next_free_vgpr 6
		.amdhsa_next_free_sgpr 27
		.amdhsa_named_barrier_count 0
		.amdhsa_reserve_vcc 1
		.amdhsa_float_round_mode_32 0
		.amdhsa_float_round_mode_16_64 0
		.amdhsa_float_denorm_mode_32 3
		.amdhsa_float_denorm_mode_16_64 3
		.amdhsa_fp16_overflow 0
		.amdhsa_memory_ordered 1
		.amdhsa_forward_progress 1
		.amdhsa_inst_pref_size 9
		.amdhsa_round_robin_scheduling 0
		.amdhsa_exception_fp_ieee_invalid_op 0
		.amdhsa_exception_fp_denorm_src 0
		.amdhsa_exception_fp_ieee_div_zero 0
		.amdhsa_exception_fp_ieee_overflow 0
		.amdhsa_exception_fp_ieee_underflow 0
		.amdhsa_exception_fp_ieee_inexact 0
		.amdhsa_exception_int_div_zero 0
	.end_amdhsa_kernel
	.section	.text._ZL25flash_attn_mask_to_KV_maxILi8EEvPK7__half2Piiii,"axG",@progbits,_ZL25flash_attn_mask_to_KV_maxILi8EEvPK7__half2Piiii,comdat
.Lfunc_end1:
	.size	_ZL25flash_attn_mask_to_KV_maxILi8EEvPK7__half2Piiii, .Lfunc_end1-_ZL25flash_attn_mask_to_KV_maxILi8EEvPK7__half2Piiii
                                        ; -- End function
	.set _ZL25flash_attn_mask_to_KV_maxILi8EEvPK7__half2Piiii.num_vgpr, 6
	.set _ZL25flash_attn_mask_to_KV_maxILi8EEvPK7__half2Piiii.num_agpr, 0
	.set _ZL25flash_attn_mask_to_KV_maxILi8EEvPK7__half2Piiii.numbered_sgpr, 27
	.set _ZL25flash_attn_mask_to_KV_maxILi8EEvPK7__half2Piiii.num_named_barrier, 0
	.set _ZL25flash_attn_mask_to_KV_maxILi8EEvPK7__half2Piiii.private_seg_size, 0
	.set _ZL25flash_attn_mask_to_KV_maxILi8EEvPK7__half2Piiii.uses_vcc, 1
	.set _ZL25flash_attn_mask_to_KV_maxILi8EEvPK7__half2Piiii.uses_flat_scratch, 0
	.set _ZL25flash_attn_mask_to_KV_maxILi8EEvPK7__half2Piiii.has_dyn_sized_stack, 0
	.set _ZL25flash_attn_mask_to_KV_maxILi8EEvPK7__half2Piiii.has_recursion, 0
	.set _ZL25flash_attn_mask_to_KV_maxILi8EEvPK7__half2Piiii.has_indirect_call, 0
	.section	.AMDGPU.csdata,"",@progbits
; Kernel info:
; codeLenInByte = 1148
; TotalNumSgprs: 29
; NumVgprs: 6
; ScratchSize: 0
; MemoryBound: 0
; FloatMode: 240
; IeeeMode: 1
; LDSByteSize: 128 bytes/workgroup (compile time only)
; SGPRBlocks: 0
; VGPRBlocks: 0
; NumSGPRsForWavesPerEU: 29
; NumVGPRsForWavesPerEU: 6
; NamedBarCnt: 0
; Occupancy: 16
; WaveLimiterHint : 0
; COMPUTE_PGM_RSRC2:SCRATCH_EN: 0
; COMPUTE_PGM_RSRC2:USER_SGPR: 2
; COMPUTE_PGM_RSRC2:TRAP_HANDLER: 0
; COMPUTE_PGM_RSRC2:TGID_X_EN: 1
; COMPUTE_PGM_RSRC2:TGID_Y_EN: 1
; COMPUTE_PGM_RSRC2:TGID_Z_EN: 0
; COMPUTE_PGM_RSRC2:TIDIG_COMP_CNT: 0
	.section	.text._ZL33flash_attn_stream_k_fixup_uniformILi128ELi8ELi8EEvPfPK15HIP_vector_typeIfLj2EEiiiiiiS1_IjLj3EES5_S5_,"axG",@progbits,_ZL33flash_attn_stream_k_fixup_uniformILi128ELi8ELi8EEvPfPK15HIP_vector_typeIfLj2EEiiiiiiS1_IjLj3EES5_S5_,comdat
	.globl	_ZL33flash_attn_stream_k_fixup_uniformILi128ELi8ELi8EEvPfPK15HIP_vector_typeIfLj2EEiiiiiiS1_IjLj3EES5_S5_ ; -- Begin function _ZL33flash_attn_stream_k_fixup_uniformILi128ELi8ELi8EEvPfPK15HIP_vector_typeIfLj2EEiiiiiiS1_IjLj3EES5_S5_
	.p2align	8
	.type	_ZL33flash_attn_stream_k_fixup_uniformILi128ELi8ELi8EEvPfPK15HIP_vector_typeIfLj2EEiiiiiiS1_IjLj3EES5_S5_,@function
_ZL33flash_attn_stream_k_fixup_uniformILi128ELi8ELi8EEvPfPK15HIP_vector_typeIfLj2EEiiiiiiS1_IjLj3EES5_S5_: ; @_ZL33flash_attn_stream_k_fixup_uniformILi128ELi8ELi8EEvPfPK15HIP_vector_typeIfLj2EEiiiiiiS1_IjLj3EES5_S5_
; %bb.0:
	s_load_b256 s[4:11], s[0:1], 0x1c
	s_bfe_u32 s2, ttmp6, 0x40014
	s_lshr_b32 s3, ttmp7, 16
	s_add_co_i32 s2, s2, 1
	s_bfe_u32 s13, ttmp6, 0x40010
	s_mul_i32 s2, s3, s2
	s_bfe_u32 s12, ttmp6, 0x40008
	s_and_b32 s15, ttmp7, 0xffff
	s_add_co_i32 s13, s13, 1
	s_bfe_u32 s14, ttmp6, 0x4000c
	s_add_co_i32 s12, s12, s2
	s_mul_i32 s2, s15, s13
	s_bfe_u32 s13, ttmp6, 0x40004
	s_add_co_i32 s14, s14, 1
	s_add_co_i32 s13, s13, s2
	s_and_b32 s2, ttmp6, 15
	s_mul_i32 s14, ttmp9, s14
	s_getreg_b32 s20, hwreg(HW_REG_IB_STS2, 6, 4)
	s_add_co_i32 s2, s2, s14
	s_load_b128 s[16:19], s[0:1], 0x3c
	s_cmp_eq_u32 s20, 0
	s_cselect_b32 s14, ttmp9, s2
	s_cselect_b32 s13, s15, s13
	s_wait_kmcnt 0x0
	s_mul_hi_u32 s2, s7, s14
	s_cselect_b32 s12, s3, s12
	s_add_co_i32 s2, s14, s2
	s_delay_alu instid0(SALU_CYCLE_1) | instskip(NEXT) | instid1(SALU_CYCLE_1)
	s_lshr_b32 s7, s2, s8
	s_mul_i32 s2, s7, s9
	s_delay_alu instid0(SALU_CYCLE_1) | instskip(NEXT) | instid1(SALU_CYCLE_1)
	s_sub_co_i32 s8, s14, s2
	s_mul_hi_u32 s2, s8, s10
	s_delay_alu instid0(SALU_CYCLE_1) | instskip(SKIP_2) | instid1(SALU_CYCLE_1)
	s_add_co_i32 s9, s8, s2
	s_load_b64 s[2:3], s[0:1], 0x10
	s_lshr_b32 s15, s9, s11
	s_mul_i32 s9, s15, s16
	s_delay_alu instid0(SALU_CYCLE_1) | instskip(NEXT) | instid1(SALU_CYCLE_1)
	s_sub_co_i32 s8, s8, s9
	s_mul_hi_u32 s9, s8, s17
	s_delay_alu instid0(SALU_CYCLE_1) | instskip(NEXT) | instid1(SALU_CYCLE_1)
	s_add_co_i32 s9, s8, s9
	s_lshr_b32 s9, s9, s18
	s_delay_alu instid0(SALU_CYCLE_1) | instskip(SKIP_2) | instid1(SALU_CYCLE_1)
	s_mul_i32 s10, s9, s19
	s_lshl_b32 s17, s9, 3
	s_sub_co_i32 s16, s8, s10
	s_lshl_b32 s8, s16, 3
	s_delay_alu instid0(SALU_CYCLE_1) | instskip(SKIP_4) | instid1(SALU_CYCLE_1)
	s_add_co_i32 s8, s8, s13
	s_wait_kmcnt 0x0
	s_cmp_lt_i32 s8, s2
	s_cselect_b32 s8, -1, 0
	s_add_co_i32 s9, s17, s12
	s_cmp_lt_i32 s9, s5
	s_cselect_b32 s9, -1, 0
	s_delay_alu instid0(SALU_CYCLE_1) | instskip(NEXT) | instid1(SALU_CYCLE_1)
	s_and_b32 s8, s8, s9
	s_and_not1_b32 vcc_lo, exec_lo, s8
	s_cbranch_vccnz .LBB2_6
; %bb.1:
	s_mul_i32 s2, s7, s2
	s_load_b128 s[8:11], s[0:1], 0x0
	s_wait_xcnt 0x0
	s_add_co_i32 s0, s2, s13
	s_mul_i32 s15, s15, s5
	s_mul_i32 s0, s0, s3
	s_mul_i32 s1, s3, s16
	s_add_co_i32 s0, s0, s12
	s_lshl_b32 s1, s1, 10
	s_add_co_i32 s0, s0, s15
	s_mul_i32 s7, s6, s14
	s_add_co_i32 s0, s0, s17
	s_lshl_b32 s5, s13, 3
	s_lshl_b32 s0, s0, 7
	s_add_co_i32 s15, s7, s6
	s_add_co_i32 s1, s1, s0
	;; [unrolled: 1-line block ×3, first 2 shown]
	v_or_b32_e32 v4, s1, v0
	s_lshl_b32 s1, s15, 6
	s_add_co_i32 s2, s15, -2
	s_add_co_i32 s0, s0, s1
	s_delay_alu instid0(SALU_CYCLE_1)
	s_sub_co_i32 s0, s0, 64
	s_wait_kmcnt 0x0
	global_load_b32 v3, v4, s[8:9] scale_offset
	s_ashr_i32 s1, s0, 31
	v_ashrrev_i32_e32 v5, 31, v4
	s_lshl_b64 s[0:1], s[0:1], 3
	s_cmp_lt_i32 s2, s7
	s_add_nc_u64 s[0:1], s[10:11], s[0:1]
	s_load_b32 s16, s[0:1], 0x4
	s_cbranch_scc1 .LBB2_4
; %bb.2:
	s_wait_xcnt 0x0
	s_load_b32 s0, s[0:1], 0x0
	s_add_co_i32 s14, s14, 1
	s_lshl_b32 s3, s13, 10
	s_wait_xcnt 0x0
	s_mul_i32 s1, s6, s14
	s_lshl_b32 s6, s12, 7
	s_lshl_b32 s13, s1, 13
	s_add_co_i32 s6, s6, s3
	s_lshl_b32 s1, s1, 6
	s_add_co_i32 s6, s6, s13
	s_lshl_b32 s2, s4, 8
	s_wait_kmcnt 0x0
	v_dual_mov_b32 v2, s16 :: v_dual_bitop2_b32 v0, s6, v0 bitop3:0x54
	s_add_co_i32 s1, s12, s1
	s_lshl_b32 s4, s4, 6
	s_ashr_i32 s3, s2, 31
	s_add_co_i32 s1, s1, s4
	v_add_nc_u32_e32 v0, 0xffffc000, v0
	s_lshl_b64 s[2:3], s[2:3], 2
	s_add_co_i32 s4, s1, s5
	s_add_nc_u64 s[2:3], s[10:11], s[2:3]
	s_add_co_i32 s1, s15, -1
	s_addk_co_i32 s4, 0xff80
.LBB2_3:                                ; =>This Inner Loop Header: Depth=1
	global_load_b32 v7, v0, s[2:3] scale_offset
	s_ashr_i32 s5, s4, 31
	v_max_num_f32_e64 v1, s0, s0
	s_lshl_b64 s[12:13], s[4:5], 3
	s_delay_alu instid0(SALU_CYCLE_1) | instskip(SKIP_1) | instid1(VALU_DEP_1)
	s_add_nc_u64 s[12:13], s[10:11], s[12:13]
	s_load_b64 s[12:13], s[12:13], 0x0
	v_readfirstlane_b32 s5, v1
	v_add_nc_u32_e32 v0, 0xffffe000, v0
	s_wait_kmcnt 0x0
	v_max_num_f32_e64 v1, s12, s12
	s_delay_alu instid0(VALU_DEP_1) | instskip(SKIP_1) | instid1(SALU_CYCLE_3)
	v_readfirstlane_b32 s6, v1
	s_max_num_f32 s5, s5, s6
	s_sub_f32 s0, s0, s5
	s_sub_f32 s6, s12, s5
	s_delay_alu instid0(SALU_CYCLE_2) | instskip(NEXT) | instid1(SALU_CYCLE_2)
	s_mul_f32 s12, s0, 0x3fb8aa3b
	s_mul_f32 s14, s6, 0x3fb8aa3b
	s_delay_alu instid0(SALU_CYCLE_2)
	s_xor_b32 s15, s12, 0x80000000
	s_rndne_f32 s16, s12
	s_fmamk_f32 s15, s0, 0x3fb8aa3b, s15
	s_cmp_nlt_f32 s0, 0xc2ce8ed0
	s_rndne_f32 s17, s14
	s_sub_f32 s12, s12, s16
	s_fmamk_f32 s15, s0, 0x32a5705f, s15
	s_cselect_b32 vcc_lo, -1, 0
	s_cmp_ngt_f32 s0, 0x42b17218
	s_delay_alu instid0(SALU_CYCLE_1) | instskip(SKIP_2) | instid1(SALU_CYCLE_1)
	s_add_f32 s12, s12, s15
	s_cvt_i32_f32 s15, s16
	s_sub_f32 s16, s14, s17
	v_s_exp_f32 s12, s12
	v_nop
	s_delay_alu instid0(TRANS32_DEP_1) | instskip(SKIP_1) | instid1(VALU_DEP_1)
	v_ldexp_f32 v1, s12, s15
	s_cvt_i32_f32 s12, s17
	v_cndmask_b32_e32 v1, 0, v1, vcc_lo
	s_cselect_b32 vcc_lo, -1, 0
	s_cmp_ge_f32 s0, 0xc1a00000
	s_delay_alu instid0(VALU_DEP_1)
	v_cndmask_b32_e32 v1, 0x7f800000, v1, vcc_lo
	s_cselect_b32 vcc_lo, -1, 0
	s_xor_b32 s0, s14, 0x80000000
	s_cmp_nlt_f32 s6, 0xc2ce8ed0
	s_fmamk_f32 s0, s6, 0x3fb8aa3b, s0
	v_cndmask_b32_e32 v10, 0, v1, vcc_lo
	s_delay_alu instid0(SALU_CYCLE_2) | instskip(NEXT) | instid1(SALU_CYCLE_3)
	s_fmamk_f32 s0, s6, 0x32a5705f, s0
	s_add_f32 s0, s16, s0
	s_delay_alu instid0(SALU_CYCLE_3) | instskip(SKIP_1) | instid1(TRANS32_DEP_1)
	v_s_exp_f32 s0, s0
	v_nop
	v_ldexp_f32 v6, s0, s12
	s_cselect_b32 s0, -1, 0
	s_cmp_ngt_f32 s6, 0x42b17218
	s_delay_alu instid0(VALU_DEP_1) | instskip(SKIP_2) | instid1(VALU_DEP_1)
	v_cndmask_b32_e64 v6, 0, v6, s0
	s_cselect_b32 s0, -1, 0
	s_cmp_ge_f32 s6, 0xc1a00000
	v_cndmask_b32_e64 v8, 0x7f800000, v6, s0
	s_cselect_b32 s0, -1, 0
	v_mov_b32_e32 v6, s13
	s_add_co_i32 s1, s1, -1
	s_sub_co_i32 s4, s4, 64
	v_cndmask_b32_e64 v8, 0, v8, s0
	s_cmp_le_i32 s1, s7
	s_mov_b32 s0, s5
	s_wait_loadcnt 0x0
	s_delay_alu instid0(VALU_DEP_1) | instskip(NEXT) | instid1(VALU_DEP_1)
	v_pk_mul_f32 v[6:7], v[6:7], v[8:9] op_sel_hi:[1,0]
	v_pk_fma_f32 v[2:3], v[2:3], v[10:11], v[6:7] op_sel_hi:[1,0,1]
	s_cbranch_scc0 .LBB2_3
	s_branch .LBB2_5
.LBB2_4:
	s_wait_kmcnt 0x0
	v_mov_b32_e32 v2, s16
.LBB2_5:
	v_lshl_add_u64 v[0:1], v[4:5], 2, s[8:9]
	s_wait_loadcnt 0x0
	s_delay_alu instid0(VALU_DEP_2) | instskip(NEXT) | instid1(VALU_DEP_1)
	v_div_scale_f32 v4, null, v2, v2, v3
	v_rcp_f32_e32 v5, v4
	v_nop
	s_delay_alu instid0(TRANS32_DEP_1) | instskip(NEXT) | instid1(VALU_DEP_1)
	v_fma_f32 v6, -v4, v5, 1.0
	v_fmac_f32_e32 v5, v6, v5
	v_div_scale_f32 v6, vcc_lo, v3, v2, v3
	s_delay_alu instid0(VALU_DEP_1) | instskip(NEXT) | instid1(VALU_DEP_1)
	v_mul_f32_e32 v7, v6, v5
	v_fma_f32 v8, -v4, v7, v6
	s_delay_alu instid0(VALU_DEP_1) | instskip(NEXT) | instid1(VALU_DEP_1)
	v_fmac_f32_e32 v7, v8, v5
	v_fma_f32 v4, -v4, v7, v6
	s_delay_alu instid0(VALU_DEP_1) | instskip(NEXT) | instid1(VALU_DEP_1)
	v_div_fmas_f32 v4, v4, v5, v7
	v_div_fixup_f32 v2, v4, v2, v3
	global_store_b32 v[0:1], v2, off
.LBB2_6:
	s_endpgm
	.section	.rodata,"a",@progbits
	.p2align	6, 0x0
	.amdhsa_kernel _ZL33flash_attn_stream_k_fixup_uniformILi128ELi8ELi8EEvPfPK15HIP_vector_typeIfLj2EEiiiiiiS1_IjLj3EES5_S5_
		.amdhsa_group_segment_fixed_size 0
		.amdhsa_private_segment_fixed_size 0
		.amdhsa_kernarg_size 76
		.amdhsa_user_sgpr_count 2
		.amdhsa_user_sgpr_dispatch_ptr 0
		.amdhsa_user_sgpr_queue_ptr 0
		.amdhsa_user_sgpr_kernarg_segment_ptr 1
		.amdhsa_user_sgpr_dispatch_id 0
		.amdhsa_user_sgpr_kernarg_preload_length 0
		.amdhsa_user_sgpr_kernarg_preload_offset 0
		.amdhsa_user_sgpr_private_segment_size 0
		.amdhsa_wavefront_size32 1
		.amdhsa_uses_dynamic_stack 0
		.amdhsa_enable_private_segment 0
		.amdhsa_system_sgpr_workgroup_id_x 1
		.amdhsa_system_sgpr_workgroup_id_y 1
		.amdhsa_system_sgpr_workgroup_id_z 1
		.amdhsa_system_sgpr_workgroup_info 0
		.amdhsa_system_vgpr_workitem_id 0
		.amdhsa_next_free_vgpr 12
		.amdhsa_next_free_sgpr 21
		.amdhsa_named_barrier_count 0
		.amdhsa_reserve_vcc 1
		.amdhsa_float_round_mode_32 0
		.amdhsa_float_round_mode_16_64 0
		.amdhsa_float_denorm_mode_32 3
		.amdhsa_float_denorm_mode_16_64 3
		.amdhsa_fp16_overflow 0
		.amdhsa_memory_ordered 1
		.amdhsa_forward_progress 1
		.amdhsa_inst_pref_size 9
		.amdhsa_round_robin_scheduling 0
		.amdhsa_exception_fp_ieee_invalid_op 0
		.amdhsa_exception_fp_denorm_src 0
		.amdhsa_exception_fp_ieee_div_zero 0
		.amdhsa_exception_fp_ieee_overflow 0
		.amdhsa_exception_fp_ieee_underflow 0
		.amdhsa_exception_fp_ieee_inexact 0
		.amdhsa_exception_int_div_zero 0
	.end_amdhsa_kernel
	.section	.text._ZL33flash_attn_stream_k_fixup_uniformILi128ELi8ELi8EEvPfPK15HIP_vector_typeIfLj2EEiiiiiiS1_IjLj3EES5_S5_,"axG",@progbits,_ZL33flash_attn_stream_k_fixup_uniformILi128ELi8ELi8EEvPfPK15HIP_vector_typeIfLj2EEiiiiiiS1_IjLj3EES5_S5_,comdat
.Lfunc_end2:
	.size	_ZL33flash_attn_stream_k_fixup_uniformILi128ELi8ELi8EEvPfPK15HIP_vector_typeIfLj2EEiiiiiiS1_IjLj3EES5_S5_, .Lfunc_end2-_ZL33flash_attn_stream_k_fixup_uniformILi128ELi8ELi8EEvPfPK15HIP_vector_typeIfLj2EEiiiiiiS1_IjLj3EES5_S5_
                                        ; -- End function
	.set _ZL33flash_attn_stream_k_fixup_uniformILi128ELi8ELi8EEvPfPK15HIP_vector_typeIfLj2EEiiiiiiS1_IjLj3EES5_S5_.num_vgpr, 12
	.set _ZL33flash_attn_stream_k_fixup_uniformILi128ELi8ELi8EEvPfPK15HIP_vector_typeIfLj2EEiiiiiiS1_IjLj3EES5_S5_.num_agpr, 0
	.set _ZL33flash_attn_stream_k_fixup_uniformILi128ELi8ELi8EEvPfPK15HIP_vector_typeIfLj2EEiiiiiiS1_IjLj3EES5_S5_.numbered_sgpr, 21
	.set _ZL33flash_attn_stream_k_fixup_uniformILi128ELi8ELi8EEvPfPK15HIP_vector_typeIfLj2EEiiiiiiS1_IjLj3EES5_S5_.num_named_barrier, 0
	.set _ZL33flash_attn_stream_k_fixup_uniformILi128ELi8ELi8EEvPfPK15HIP_vector_typeIfLj2EEiiiiiiS1_IjLj3EES5_S5_.private_seg_size, 0
	.set _ZL33flash_attn_stream_k_fixup_uniformILi128ELi8ELi8EEvPfPK15HIP_vector_typeIfLj2EEiiiiiiS1_IjLj3EES5_S5_.uses_vcc, 1
	.set _ZL33flash_attn_stream_k_fixup_uniformILi128ELi8ELi8EEvPfPK15HIP_vector_typeIfLj2EEiiiiiiS1_IjLj3EES5_S5_.uses_flat_scratch, 0
	.set _ZL33flash_attn_stream_k_fixup_uniformILi128ELi8ELi8EEvPfPK15HIP_vector_typeIfLj2EEiiiiiiS1_IjLj3EES5_S5_.has_dyn_sized_stack, 0
	.set _ZL33flash_attn_stream_k_fixup_uniformILi128ELi8ELi8EEvPfPK15HIP_vector_typeIfLj2EEiiiiiiS1_IjLj3EES5_S5_.has_recursion, 0
	.set _ZL33flash_attn_stream_k_fixup_uniformILi128ELi8ELi8EEvPfPK15HIP_vector_typeIfLj2EEiiiiiiS1_IjLj3EES5_S5_.has_indirect_call, 0
	.section	.AMDGPU.csdata,"",@progbits
; Kernel info:
; codeLenInByte = 1092
; TotalNumSgprs: 23
; NumVgprs: 12
; ScratchSize: 0
; MemoryBound: 0
; FloatMode: 240
; IeeeMode: 1
; LDSByteSize: 0 bytes/workgroup (compile time only)
; SGPRBlocks: 0
; VGPRBlocks: 0
; NumSGPRsForWavesPerEU: 23
; NumVGPRsForWavesPerEU: 12
; NamedBarCnt: 0
; Occupancy: 16
; WaveLimiterHint : 0
; COMPUTE_PGM_RSRC2:SCRATCH_EN: 0
; COMPUTE_PGM_RSRC2:USER_SGPR: 2
; COMPUTE_PGM_RSRC2:TRAP_HANDLER: 0
; COMPUTE_PGM_RSRC2:TGID_X_EN: 1
; COMPUTE_PGM_RSRC2:TGID_Y_EN: 1
; COMPUTE_PGM_RSRC2:TGID_Z_EN: 1
; COMPUTE_PGM_RSRC2:TIDIG_COMP_CNT: 0
	.section	.text._ZL33flash_attn_stream_k_fixup_generalILi128ELi8ELi8EEvPfPK15HIP_vector_typeIfLj2EEiiiiS1_IjLj3EES5_S5_S5_,"axG",@progbits,_ZL33flash_attn_stream_k_fixup_generalILi128ELi8ELi8EEvPfPK15HIP_vector_typeIfLj2EEiiiiS1_IjLj3EES5_S5_S5_,comdat
	.globl	_ZL33flash_attn_stream_k_fixup_generalILi128ELi8ELi8EEvPfPK15HIP_vector_typeIfLj2EEiiiiS1_IjLj3EES5_S5_S5_ ; -- Begin function _ZL33flash_attn_stream_k_fixup_generalILi128ELi8ELi8EEvPfPK15HIP_vector_typeIfLj2EEiiiiS1_IjLj3EES5_S5_S5_
	.p2align	8
	.type	_ZL33flash_attn_stream_k_fixup_generalILi128ELi8ELi8EEvPfPK15HIP_vector_typeIfLj2EEiiiiS1_IjLj3EES5_S5_S5_,@function
_ZL33flash_attn_stream_k_fixup_generalILi128ELi8ELi8EEvPfPK15HIP_vector_typeIfLj2EEiiiiS1_IjLj3EES5_S5_S5_: ; @_ZL33flash_attn_stream_k_fixup_generalILi128ELi8ELi8EEvPfPK15HIP_vector_typeIfLj2EEiiiiS1_IjLj3EES5_S5_S5_
; %bb.0:
	s_clause 0x1
	s_load_b128 s[4:7], s[0:1], 0x10
	s_load_b32 s16, s[0:1], 0x50
	s_bfe_u32 s2, ttmp6, 0x4000c
	s_and_b32 s3, ttmp6, 15
	s_add_co_i32 s2, s2, 1
	s_getreg_b32 s15, hwreg(HW_REG_IB_STS2, 6, 4)
	s_mul_i32 s2, ttmp9, s2
	s_mov_b32 s17, 0
	s_add_co_i32 s3, s3, s2
	s_cmp_eq_u32 s15, 0
	s_cselect_b32 s2, ttmp9, s3
	s_delay_alu instid0(SALU_CYCLE_1) | instskip(SKIP_3) | instid1(SALU_CYCLE_1)
	s_ashr_i32 s3, s2, 31
	s_wait_kmcnt 0x0
	s_ashr_i32 s19, s7, 31
	s_mov_b32 s18, s7
	s_mul_u64 s[8:9], s[18:19], s[2:3]
	s_delay_alu instid0(SALU_CYCLE_1) | instskip(NEXT) | instid1(SALU_CYCLE_1)
	s_and_b64 s[10:11], s[8:9], 0xffffffff00000000
	s_cmp_lg_u64 s[10:11], 0
	s_cbranch_scc0 .LBB3_21
; %bb.1:
	s_add_nc_u64 s[10:11], s[16:17], 0
	s_mov_b32 s23, s17
	s_xor_b64 s[10:11], s[10:11], 0
	s_mov_b32 s27, s17
	s_cvt_f32_u32 s3, s10
	s_cvt_f32_u32 s7, s11
	s_sub_nc_u64 s[20:21], 0, s[10:11]
	s_delay_alu instid0(SALU_CYCLE_2) | instskip(NEXT) | instid1(SALU_CYCLE_3)
	s_fmamk_f32 s3, s7, 0x4f800000, s3
	v_s_rcp_f32 s3, s3
	s_delay_alu instid0(TRANS32_DEP_1) | instskip(NEXT) | instid1(SALU_CYCLE_3)
	s_mul_f32 s3, s3, 0x5f7ffffc
	s_mul_f32 s7, s3, 0x2f800000
	s_delay_alu instid0(SALU_CYCLE_3) | instskip(NEXT) | instid1(SALU_CYCLE_3)
	s_trunc_f32 s7, s7
	s_fmamk_f32 s3, s7, 0xcf800000, s3
	s_cvt_u32_f32 s13, s7
	s_delay_alu instid0(SALU_CYCLE_2) | instskip(NEXT) | instid1(SALU_CYCLE_3)
	s_cvt_u32_f32 s12, s3
	s_mul_u64 s[24:25], s[20:21], s[12:13]
	s_delay_alu instid0(SALU_CYCLE_1)
	s_mul_hi_u32 s29, s12, s25
	s_mul_i32 s28, s12, s25
	s_mul_hi_u32 s22, s12, s24
	s_mul_i32 s7, s13, s24
	s_add_nc_u64 s[22:23], s[22:23], s[28:29]
	s_mul_hi_u32 s3, s13, s24
	s_mul_hi_u32 s14, s13, s25
	s_add_co_u32 s7, s22, s7
	s_add_co_ci_u32 s26, s23, s3
	s_mul_i32 s24, s13, s25
	s_add_co_ci_u32 s25, s14, 0
	s_delay_alu instid0(SALU_CYCLE_1) | instskip(SKIP_3) | instid1(SALU_CYCLE_1)
	s_add_nc_u64 s[22:23], s[26:27], s[24:25]
	s_mov_b32 s25, s17
	s_add_co_u32 s12, s12, s22
	s_cselect_b32 s3, -1, 0
	s_cmp_lg_u32 s3, 0
	s_add_co_ci_u32 s13, s13, s23
	s_mov_b32 s23, s17
	s_mul_u64 s[20:21], s[20:21], s[12:13]
	s_delay_alu instid0(SALU_CYCLE_1)
	s_mul_hi_u32 s27, s12, s21
	s_mul_i32 s26, s12, s21
	s_mul_hi_u32 s22, s12, s20
	s_mul_i32 s7, s13, s20
	s_add_nc_u64 s[22:23], s[22:23], s[26:27]
	s_mul_hi_u32 s3, s13, s20
	s_mul_hi_u32 s14, s13, s21
	s_add_co_u32 s7, s22, s7
	s_add_co_ci_u32 s24, s23, s3
	s_mul_i32 s20, s13, s21
	s_add_co_ci_u32 s21, s14, 0
	s_mov_b32 s23, s17
	s_add_nc_u64 s[20:21], s[24:25], s[20:21]
	s_delay_alu instid0(SALU_CYCLE_1) | instskip(SKIP_1) | instid1(SALU_CYCLE_1)
	s_add_co_u32 s3, s12, s20
	s_cselect_b32 s7, -1, 0
	s_cmp_lg_u32 s7, 0
	s_add_co_ci_u32 s7, s13, s21
	s_ashr_i32 s12, s9, 31
	s_delay_alu instid0(SALU_CYCLE_1) | instskip(NEXT) | instid1(SALU_CYCLE_1)
	s_mov_b32 s13, s12
	s_add_nc_u64 s[20:21], s[8:9], s[12:13]
	s_delay_alu instid0(SALU_CYCLE_1) | instskip(NEXT) | instid1(SALU_CYCLE_1)
	s_xor_b64 s[20:21], s[20:21], s[12:13]
	s_mul_hi_u32 s27, s20, s7
	s_mul_i32 s26, s20, s7
	s_mul_hi_u32 s22, s20, s3
	s_mul_hi_u32 s14, s21, s3
	s_mul_i32 s3, s21, s3
	s_add_nc_u64 s[22:23], s[22:23], s[26:27]
	s_mul_hi_u32 s9, s21, s7
	s_add_co_u32 s3, s22, s3
	s_add_co_ci_u32 s24, s23, s14
	s_mul_i32 s26, s21, s7
	s_add_co_ci_u32 s27, s9, 0
	s_delay_alu instid0(SALU_CYCLE_1) | instskip(NEXT) | instid1(SALU_CYCLE_1)
	s_add_nc_u64 s[22:23], s[24:25], s[26:27]
	s_and_b64 s[24:25], s[22:23], 0xffffffff00000000
	s_delay_alu instid0(SALU_CYCLE_1) | instskip(NEXT) | instid1(SALU_CYCLE_1)
	s_or_b32 s24, s24, s22
	s_mul_u64 s[22:23], s[10:11], s[24:25]
	s_add_nc_u64 s[26:27], s[24:25], 1
	s_sub_co_u32 s3, s20, s22
	s_cselect_b32 s7, -1, 0
	s_sub_co_i32 s9, s21, s23
	s_cmp_lg_u32 s7, 0
	s_add_nc_u64 s[28:29], s[24:25], 2
	s_sub_co_ci_u32 s9, s9, s11
	s_sub_co_u32 s14, s3, s10
	s_cselect_b32 s20, -1, 0
	s_delay_alu instid0(SALU_CYCLE_1) | instskip(SKIP_1) | instid1(SALU_CYCLE_1)
	s_cmp_lg_u32 s20, 0
	s_sub_co_ci_u32 s9, s9, 0
	s_cmp_ge_u32 s9, s11
	s_cselect_b32 s20, -1, 0
	s_cmp_ge_u32 s14, s10
	s_cselect_b32 s14, -1, 0
	s_cmp_eq_u32 s9, s11
	s_cselect_b32 s9, s14, s20
	s_delay_alu instid0(SALU_CYCLE_1) | instskip(SKIP_4) | instid1(SALU_CYCLE_1)
	s_cmp_lg_u32 s9, 0
	s_cselect_b32 s9, s28, s26
	s_cselect_b32 s14, s29, s27
	s_cmp_lg_u32 s7, 0
	s_sub_co_ci_u32 s7, s21, s23
	s_cmp_ge_u32 s7, s11
	s_cselect_b32 s20, -1, 0
	s_cmp_ge_u32 s3, s10
	s_cselect_b32 s3, -1, 0
	s_cmp_eq_u32 s7, s11
	s_cselect_b32 s3, s3, s20
	s_delay_alu instid0(SALU_CYCLE_1) | instskip(SKIP_4) | instid1(SALU_CYCLE_1)
	s_cmp_lg_u32 s3, 0
	s_mov_b32 s3, s17
	s_cselect_b32 s11, s14, s25
	s_cselect_b32 s10, s9, s24
	s_xor_b64 s[12:13], s[12:13], 0
	s_xor_b64 s[10:11], s[10:11], s[12:13]
	s_delay_alu instid0(SALU_CYCLE_1)
	s_sub_nc_u64 s[20:21], s[10:11], s[12:13]
	s_and_not1_b32 vcc_lo, exec_lo, s3
	s_cbranch_vccnz .LBB3_3
.LBB3_2:
	v_cvt_f32_u32_e32 v1, s16
	s_sub_co_i32 s7, 0, s16
	s_mov_b32 s21, 0
	s_delay_alu instid0(VALU_DEP_1) | instskip(SKIP_1) | instid1(TRANS32_DEP_1)
	v_rcp_iflag_f32_e32 v1, v1
	v_nop
	v_mul_f32_e32 v1, 0x4f7ffffe, v1
	s_delay_alu instid0(VALU_DEP_1) | instskip(NEXT) | instid1(VALU_DEP_1)
	v_cvt_u32_f32_e32 v1, v1
	v_readfirstlane_b32 s3, v1
	s_mul_i32 s7, s7, s3
	s_delay_alu instid0(SALU_CYCLE_1) | instskip(NEXT) | instid1(SALU_CYCLE_1)
	s_mul_hi_u32 s7, s3, s7
	s_add_co_i32 s3, s3, s7
	s_delay_alu instid0(SALU_CYCLE_1) | instskip(NEXT) | instid1(SALU_CYCLE_1)
	s_mul_hi_u32 s3, s8, s3
	s_mul_i32 s7, s3, s16
	s_delay_alu instid0(SALU_CYCLE_1)
	s_sub_co_i32 s7, s8, s7
	s_add_co_i32 s8, s3, 1
	s_sub_co_i32 s9, s7, s16
	s_cmp_ge_u32 s7, s16
	s_cselect_b32 s3, s8, s3
	s_cselect_b32 s7, s9, s7
	s_add_co_i32 s8, s3, 1
	s_cmp_ge_u32 s7, s16
	s_cselect_b32 s20, s8, s3
.LBB3_3:
	s_add_co_i32 s8, s2, 1
	s_delay_alu instid0(SALU_CYCLE_1) | instskip(NEXT) | instid1(SALU_CYCLE_1)
	s_ashr_i32 s9, s8, 31
	s_mul_u64 s[8:9], s[18:19], s[8:9]
	s_delay_alu instid0(SALU_CYCLE_1) | instskip(NEXT) | instid1(SALU_CYCLE_1)
	s_and_b64 s[10:11], s[8:9], 0xffffffff00000000
	s_cmp_lg_u64 s[10:11], 0
	s_cbranch_scc0 .LBB3_22
; %bb.4:
	s_add_nc_u64 s[10:11], s[16:17], 0
	s_delay_alu instid0(SALU_CYCLE_1) | instskip(SKIP_4) | instid1(SALU_CYCLE_2)
	s_xor_b64 s[12:13], s[10:11], 0
	s_mov_b32 s11, 0
	s_cvt_f32_u32 s3, s12
	s_cvt_f32_u32 s7, s13
	s_sub_nc_u64 s[24:25], 0, s[12:13]
	s_fmamk_f32 s3, s7, 0x4f800000, s3
	s_delay_alu instid0(SALU_CYCLE_3) | instskip(NEXT) | instid1(TRANS32_DEP_1)
	v_s_rcp_f32 s3, s3
	s_mul_f32 s3, s3, 0x5f7ffffc
	s_delay_alu instid0(SALU_CYCLE_3) | instskip(NEXT) | instid1(SALU_CYCLE_3)
	s_mul_f32 s7, s3, 0x2f800000
	s_trunc_f32 s7, s7
	s_delay_alu instid0(SALU_CYCLE_3) | instskip(SKIP_1) | instid1(SALU_CYCLE_2)
	s_fmamk_f32 s3, s7, 0xcf800000, s3
	s_cvt_u32_f32 s23, s7
	s_cvt_u32_f32 s22, s3
	s_delay_alu instid0(SALU_CYCLE_3) | instskip(NEXT) | instid1(SALU_CYCLE_1)
	s_mul_u64 s[26:27], s[24:25], s[22:23]
	s_mul_hi_u32 s29, s22, s27
	s_mul_i32 s28, s22, s27
	s_mul_hi_u32 s10, s22, s26
	s_mul_i32 s7, s23, s26
	s_add_nc_u64 s[28:29], s[10:11], s[28:29]
	s_mul_hi_u32 s3, s23, s26
	s_mul_hi_u32 s14, s23, s27
	s_add_co_u32 s7, s28, s7
	s_add_co_ci_u32 s10, s29, s3
	s_mul_i32 s26, s23, s27
	s_add_co_ci_u32 s27, s14, 0
	s_delay_alu instid0(SALU_CYCLE_1) | instskip(NEXT) | instid1(SALU_CYCLE_1)
	s_add_nc_u64 s[26:27], s[10:11], s[26:27]
	s_add_co_u32 s22, s22, s26
	s_cselect_b32 s3, -1, 0
	s_delay_alu instid0(SALU_CYCLE_1) | instskip(SKIP_1) | instid1(SALU_CYCLE_1)
	s_cmp_lg_u32 s3, 0
	s_add_co_ci_u32 s23, s23, s27
	s_mul_u64 s[24:25], s[24:25], s[22:23]
	s_delay_alu instid0(SALU_CYCLE_1)
	s_mul_hi_u32 s27, s22, s25
	s_mul_i32 s26, s22, s25
	s_mul_hi_u32 s10, s22, s24
	s_mul_i32 s7, s23, s24
	s_add_nc_u64 s[26:27], s[10:11], s[26:27]
	s_mul_hi_u32 s3, s23, s24
	s_mul_hi_u32 s14, s23, s25
	s_add_co_u32 s7, s26, s7
	s_add_co_ci_u32 s10, s27, s3
	s_mul_i32 s24, s23, s25
	s_add_co_ci_u32 s25, s14, 0
	s_delay_alu instid0(SALU_CYCLE_1) | instskip(NEXT) | instid1(SALU_CYCLE_1)
	s_add_nc_u64 s[24:25], s[10:11], s[24:25]
	s_add_co_u32 s3, s22, s24
	s_cselect_b32 s7, -1, 0
	s_delay_alu instid0(SALU_CYCLE_1) | instskip(SKIP_2) | instid1(SALU_CYCLE_1)
	s_cmp_lg_u32 s7, 0
	s_add_co_ci_u32 s7, s23, s25
	s_ashr_i32 s22, s9, 31
	s_mov_b32 s23, s22
	s_delay_alu instid0(SALU_CYCLE_1) | instskip(NEXT) | instid1(SALU_CYCLE_1)
	s_add_nc_u64 s[24:25], s[8:9], s[22:23]
	s_xor_b64 s[24:25], s[24:25], s[22:23]
	s_delay_alu instid0(SALU_CYCLE_1)
	s_mul_hi_u32 s27, s24, s7
	s_mul_i32 s26, s24, s7
	s_mul_hi_u32 s10, s24, s3
	s_mul_hi_u32 s14, s25, s3
	s_mul_i32 s3, s25, s3
	s_add_nc_u64 s[26:27], s[10:11], s[26:27]
	s_mul_hi_u32 s9, s25, s7
	s_add_co_u32 s3, s26, s3
	s_add_co_ci_u32 s10, s27, s14
	s_mul_i32 s28, s25, s7
	s_add_co_ci_u32 s29, s9, 0
	s_delay_alu instid0(SALU_CYCLE_1) | instskip(NEXT) | instid1(SALU_CYCLE_1)
	s_add_nc_u64 s[26:27], s[10:11], s[28:29]
	s_and_b64 s[28:29], s[26:27], 0xffffffff00000000
	s_delay_alu instid0(SALU_CYCLE_1) | instskip(NEXT) | instid1(SALU_CYCLE_1)
	s_or_b32 s28, s28, s26
	s_mul_u64 s[26:27], s[12:13], s[28:29]
	s_add_nc_u64 s[30:31], s[28:29], 1
	s_sub_co_u32 s3, s24, s26
	s_cselect_b32 s7, -1, 0
	s_sub_co_i32 s9, s25, s27
	s_cmp_lg_u32 s7, 0
	s_add_nc_u64 s[34:35], s[28:29], 2
	s_sub_co_ci_u32 s9, s9, s13
	s_sub_co_u32 s10, s3, s12
	s_cselect_b32 s14, -1, 0
	s_delay_alu instid0(SALU_CYCLE_1) | instskip(SKIP_1) | instid1(SALU_CYCLE_1)
	s_cmp_lg_u32 s14, 0
	s_sub_co_ci_u32 s9, s9, 0
	s_cmp_ge_u32 s9, s13
	s_cselect_b32 s14, -1, 0
	s_cmp_ge_u32 s10, s12
	s_cselect_b32 s10, -1, 0
	s_cmp_eq_u32 s9, s13
	s_cselect_b32 s9, s10, s14
	s_delay_alu instid0(SALU_CYCLE_1) | instskip(SKIP_4) | instid1(SALU_CYCLE_1)
	s_cmp_lg_u32 s9, 0
	s_cselect_b32 s9, s34, s30
	s_cselect_b32 s10, s35, s31
	s_cmp_lg_u32 s7, 0
	s_sub_co_ci_u32 s7, s25, s27
	s_cmp_ge_u32 s7, s13
	s_cselect_b32 s14, -1, 0
	s_cmp_ge_u32 s3, s12
	s_cselect_b32 s3, -1, 0
	s_cmp_eq_u32 s7, s13
	s_cselect_b32 s3, s3, s14
	s_delay_alu instid0(SALU_CYCLE_1) | instskip(SKIP_3) | instid1(SALU_CYCLE_1)
	s_cmp_lg_u32 s3, 0
	s_cselect_b32 s13, s10, s29
	s_cselect_b32 s12, s9, s28
	s_xor_b64 s[22:23], s[22:23], 0
	s_xor_b64 s[12:13], s[12:13], s[22:23]
	s_delay_alu instid0(SALU_CYCLE_1)
	s_sub_nc_u64 s[24:25], s[12:13], s[22:23]
	s_load_b96 s[12:14], s[0:1], 0x44
	s_cbranch_execnz .LBB3_6
.LBB3_5:
	v_cvt_f32_u32_e32 v1, s16
	s_sub_co_i32 s7, 0, s16
	s_delay_alu instid0(VALU_DEP_1) | instskip(SKIP_1) | instid1(TRANS32_DEP_1)
	v_rcp_iflag_f32_e32 v1, v1
	v_nop
	v_mul_f32_e32 v1, 0x4f7ffffe, v1
	s_delay_alu instid0(VALU_DEP_1) | instskip(NEXT) | instid1(VALU_DEP_1)
	v_cvt_u32_f32_e32 v1, v1
	v_readfirstlane_b32 s3, v1
	s_mul_i32 s7, s7, s3
	s_delay_alu instid0(SALU_CYCLE_1) | instskip(NEXT) | instid1(SALU_CYCLE_1)
	s_mul_hi_u32 s7, s3, s7
	s_add_co_i32 s3, s3, s7
	s_delay_alu instid0(SALU_CYCLE_1) | instskip(NEXT) | instid1(SALU_CYCLE_1)
	s_mul_hi_u32 s3, s8, s3
	s_mul_i32 s7, s3, s16
	s_delay_alu instid0(SALU_CYCLE_1)
	s_sub_co_i32 s7, s8, s7
	s_add_co_i32 s8, s3, 1
	s_sub_co_i32 s9, s7, s16
	s_cmp_ge_u32 s7, s16
	s_cselect_b32 s3, s8, s3
	s_cselect_b32 s7, s9, s7
	s_add_co_i32 s8, s3, 1
	s_cmp_ge_u32 s7, s16
	s_cselect_b32 s24, s8, s3
.LBB3_6:
	s_delay_alu instid0(SALU_CYCLE_1)
	s_cmp_eq_u32 s20, s24
	s_mov_b64 s[8:9], 0xffffffff
	s_cselect_b32 s3, -1, 0
	s_and_b64 s[8:9], s[20:21], s[8:9]
	s_mov_b32 s23, 0
	s_wait_kmcnt 0x0
	s_mov_b32 s22, s12
	s_mov_b32 s25, s23
	s_mul_u64 s[10:11], s[8:9], s[22:23]
	s_delay_alu instid0(SALU_CYCLE_1) | instskip(SKIP_2) | instid1(SALU_CYCLE_1)
	s_add_co_i32 s7, s11, s20
	s_mul_u64 s[10:11], s[24:25], s[22:23]
	s_lshr_b32 s12, s7, s13
	s_mul_i32 s7, s12, s14
	s_delay_alu instid0(SALU_CYCLE_1) | instskip(SKIP_2) | instid1(SALU_CYCLE_1)
	s_cmp_eq_u32 s7, s20
	s_cselect_b32 s7, -1, 0
	s_add_co_i32 s10, s11, s24
	s_lshr_b32 s10, s10, s13
	s_delay_alu instid0(SALU_CYCLE_1)
	s_cmp_eq_u32 s12, s10
	s_mul_i32 s10, s10, s14
	s_cselect_b32 s11, -1, 0
	s_cmp_lg_u32 s10, s24
	s_cselect_b32 s10, -1, 0
	s_or_b32 s3, s3, s7
	s_and_b32 s10, s11, s10
	s_delay_alu instid0(SALU_CYCLE_1) | instskip(NEXT) | instid1(SALU_CYCLE_1)
	s_or_b32 s3, s3, s10
	s_and_b32 vcc_lo, exec_lo, s3
	s_cbranch_vccnz .LBB3_24
; %bb.7:
	s_load_b256 s[24:31], s[0:1], 0x20
	s_bfe_u32 s7, ttmp6, 0x40014
	s_bfe_u32 s33, ttmp6, 0x40010
	s_lshr_b32 s3, ttmp7, 16
	s_add_co_i32 s7, s7, 1
	s_and_b32 s21, ttmp7, 0xffff
	s_add_co_i32 s33, s33, 1
	s_bfe_u32 s10, ttmp6, 0x40008
	s_mul_i32 s7, s3, s7
	s_bfe_u32 s34, ttmp6, 0x40004
	s_mul_i32 s33, s21, s33
	s_mov_b32 s11, s23
	s_add_co_i32 s35, s10, s7
	s_add_co_i32 s34, s34, s33
	s_cmp_eq_u32 s15, 0
	s_cselect_b32 s7, s21, s34
	s_cselect_b32 s3, s3, s35
	s_wait_kmcnt 0x0
	s_mov_b32 s10, s24
	s_delay_alu instid0(SALU_CYCLE_1) | instskip(NEXT) | instid1(SALU_CYCLE_1)
	s_mul_u64 s[8:9], s[8:9], s[10:11]
	s_add_co_i32 s8, s9, s20
	s_load_b32 s9, s[0:1], 0x40
	s_lshr_b32 s8, s8, s25
	s_delay_alu instid0(SALU_CYCLE_1) | instskip(NEXT) | instid1(SALU_CYCLE_1)
	s_mul_i32 s10, s8, s26
	s_sub_co_i32 s10, s20, s10
	s_delay_alu instid0(SALU_CYCLE_1) | instskip(NEXT) | instid1(SALU_CYCLE_1)
	s_mul_hi_u32 s11, s10, s27
	s_add_co_i32 s11, s10, s11
	s_delay_alu instid0(SALU_CYCLE_1) | instskip(NEXT) | instid1(SALU_CYCLE_1)
	s_lshr_b32 s15, s11, s28
	s_mul_i32 s11, s15, s29
	s_delay_alu instid0(SALU_CYCLE_1) | instskip(NEXT) | instid1(SALU_CYCLE_1)
	s_sub_co_i32 s10, s10, s11
	s_mul_hi_u32 s11, s10, s30
	s_delay_alu instid0(SALU_CYCLE_1) | instskip(NEXT) | instid1(SALU_CYCLE_1)
	s_add_co_i32 s11, s10, s11
	s_lshr_b32 s26, s11, s31
	s_mov_b32 s11, s23
	s_wait_kmcnt 0x0
	s_mul_i32 s9, s26, s9
	s_delay_alu instid0(SALU_CYCLE_1) | instskip(NEXT) | instid1(SALU_CYCLE_1)
	s_sub_co_i32 s10, s10, s9
	s_mul_u64 s[24:25], s[10:11], s[22:23]
	s_lshl_b32 s24, s26, 3
	s_add_co_i32 s9, s10, s25
	s_delay_alu instid0(SALU_CYCLE_1) | instskip(NEXT) | instid1(SALU_CYCLE_1)
	s_lshr_b32 s21, s9, s13
	s_lshl_b32 s9, s21, 3
	s_delay_alu instid0(SALU_CYCLE_1) | instskip(NEXT) | instid1(SALU_CYCLE_1)
	s_add_co_i32 s9, s9, s7
	s_cmp_lt_i32 s9, s4
	s_cselect_b32 s9, -1, 0
	s_add_co_i32 s10, s24, s3
	s_delay_alu instid0(SALU_CYCLE_1) | instskip(SKIP_1) | instid1(SALU_CYCLE_1)
	s_cmp_lt_i32 s10, s6
	s_cselect_b32 s10, -1, 0
	s_and_b32 s9, s9, s10
	s_delay_alu instid0(SALU_CYCLE_1)
	s_and_not1_b32 vcc_lo, exec_lo, s9
	s_cbranch_vccnz .LBB3_24
; %bb.8:
	s_mul_i32 s4, s8, s4
	s_load_b128 s[8:11], s[0:1], 0x0
	s_wait_xcnt 0x0
	s_add_co_i32 s0, s4, s7
	s_mul_i32 s15, s15, s6
	s_mul_i32 s0, s0, s5
	;; [unrolled: 1-line block ×3, first 2 shown]
	s_add_co_i32 s0, s0, s3
	s_lshl_b32 s1, s1, 10
	s_add_co_i32 s0, s0, s15
	s_lshl_b32 s15, s7, 3
	s_add_co_i32 s0, s0, s24
	s_add_co_i32 s15, s15, s3
	s_lshl_b32 s0, s0, 7
	v_lshl_or_b32 v6, s15, 7, v0
	s_add_co_i32 s1, s1, s0
	v_cvt_f32_u32_e32 v4, s16
	v_or_b32_e32 v2, s1, v0
	s_add_nc_u64 s[0:1], s[16:17], 0
	s_lshl_b32 s24, s16, 8
	s_xor_b64 s[6:7], s[0:1], 0
	s_lshl_b32 s0, s2, 6
	s_cvt_f32_u32 s3, s6
	s_add_co_i32 s0, s15, s0
	s_cvt_f32_u32 s4, s7
	s_ashr_i32 s1, s0, 31
	v_rcp_iflag_f32_e32 v4, v4
	s_lshl_b64 s[0:1], s[0:1], 3
	s_fmamk_f32 s3, s4, 0x4f800000, s3
	s_wait_kmcnt 0x0
	s_add_nc_u64 s[0:1], s[10:11], s[0:1]
	s_mov_b32 s25, 0
	s_load_b64 s[28:29], s[0:1], 0x0
	v_s_rcp_f32 s3, s3
	s_wait_xcnt 0x0
	s_lshl_b64 s[0:1], s[24:25], 2
	s_add_co_i32 s36, s2, -1
	s_add_nc_u64 s[26:27], s[10:11], s[0:1]
	s_sub_nc_u64 s[34:35], 0, s[6:7]
	v_mul_f32_e32 v4, 0x4f7ffffe, v4
	s_delay_alu instid0(TRANS32_DEP_1) | instskip(NEXT) | instid1(VALU_DEP_1)
	s_mul_f32 s3, s3, 0x5f7ffffc
	v_cvt_u32_f32_e32 v7, v4
	s_delay_alu instid0(SALU_CYCLE_2) | instskip(NEXT) | instid1(SALU_CYCLE_3)
	s_mul_f32 s4, s3, 0x2f800000
	s_trunc_f32 s4, s4
	s_wait_kmcnt 0x0
	v_mov_b32_e32 v0, s29
	global_load_b32 v1, v2, s[8:9] scale_offset
	v_ashrrev_i32_e32 v3, 31, v2
	s_fmamk_f32 s0, s4, 0xcf800000, s3
	s_cvt_u32_f32 s31, s4
	s_wait_xcnt 0x0
	s_delay_alu instid0(VALU_DEP_1)
	v_lshl_add_u64 v[2:3], v[2:3], 2, s[8:9]
	s_cvt_u32_f32 s30, s0
	s_mov_b64 s[8:9], 0xffffffff
.LBB3_9:                                ; =>This Inner Loop Header: Depth=1
	s_ashr_i32 s37, s36, 31
                                        ; implicit-def: $sgpr40_sgpr41
	s_delay_alu instid0(SALU_CYCLE_1) | instskip(NEXT) | instid1(SALU_CYCLE_1)
	s_mul_u64 s[0:1], s[36:37], s[18:19]
	s_and_b64 s[2:3], s[0:1], 0xffffffff00000000
	s_delay_alu instid0(SALU_CYCLE_1)
	s_cmp_lg_u64 s[2:3], 0
	s_mov_b32 s2, -1
	s_cbranch_scc0 .LBB3_11
; %bb.10:                               ;   in Loop: Header=BB3_9 Depth=1
	s_mul_u64 s[2:3], s[34:35], s[30:31]
	s_delay_alu instid0(SALU_CYCLE_1)
	s_mul_hi_u32 s5, s30, s3
	s_mul_i32 s4, s30, s3
	s_mul_hi_u32 s24, s30, s2
	s_mul_hi_u32 s17, s31, s2
	s_add_nc_u64 s[4:5], s[24:25], s[4:5]
	s_mul_i32 s2, s31, s2
	s_mul_hi_u32 s21, s31, s3
	s_add_co_u32 s2, s4, s2
	s_add_co_ci_u32 s24, s5, s17
	s_add_co_ci_u32 s5, s21, 0
	s_mul_i32 s4, s31, s3
	s_delay_alu instid0(SALU_CYCLE_1) | instskip(NEXT) | instid1(SALU_CYCLE_1)
	s_add_nc_u64 s[2:3], s[24:25], s[4:5]
	s_add_co_u32 s2, s30, s2
	s_cselect_b32 s4, -1, 0
	s_delay_alu instid0(SALU_CYCLE_1) | instskip(SKIP_1) | instid1(SALU_CYCLE_1)
	s_cmp_lg_u32 s4, 0
	s_add_co_ci_u32 s3, s31, s3
	s_mul_u64 s[4:5], s[34:35], s[2:3]
	s_delay_alu instid0(SALU_CYCLE_1)
	s_mul_hi_u32 s39, s2, s5
	s_mul_i32 s38, s2, s5
	s_mul_hi_u32 s24, s2, s4
	s_mul_hi_u32 s17, s3, s4
	s_mul_i32 s4, s3, s4
	s_add_nc_u64 s[38:39], s[24:25], s[38:39]
	s_mul_hi_u32 s21, s3, s5
	s_add_co_u32 s4, s38, s4
	s_add_co_ci_u32 s24, s39, s17
	s_mul_i32 s4, s3, s5
	s_add_co_ci_u32 s5, s21, 0
	s_delay_alu instid0(SALU_CYCLE_1) | instskip(NEXT) | instid1(SALU_CYCLE_1)
	s_add_nc_u64 s[4:5], s[24:25], s[4:5]
	s_add_co_u32 s17, s2, s4
	s_cselect_b32 s2, -1, 0
	s_delay_alu instid0(SALU_CYCLE_1) | instskip(SKIP_2) | instid1(SALU_CYCLE_1)
	s_cmp_lg_u32 s2, 0
	s_add_co_ci_u32 s21, s3, s5
	s_ashr_i32 s2, s1, 31
	s_mov_b32 s3, s2
	s_delay_alu instid0(SALU_CYCLE_1) | instskip(NEXT) | instid1(SALU_CYCLE_1)
	s_add_nc_u64 s[4:5], s[0:1], s[2:3]
	s_xor_b64 s[4:5], s[4:5], s[2:3]
	s_delay_alu instid0(SALU_CYCLE_1)
	s_mul_hi_u32 s39, s4, s21
	s_mul_i32 s38, s4, s21
	s_mul_hi_u32 s24, s4, s17
	s_mul_hi_u32 s29, s5, s17
	s_mul_i32 s17, s5, s17
	s_add_nc_u64 s[38:39], s[24:25], s[38:39]
	s_mul_hi_u32 s1, s5, s21
	s_add_co_u32 s17, s38, s17
	s_add_co_ci_u32 s24, s39, s29
	s_mul_i32 s40, s5, s21
	s_add_co_ci_u32 s41, s1, 0
	s_delay_alu instid0(SALU_CYCLE_1) | instskip(NEXT) | instid1(SALU_CYCLE_1)
	s_add_nc_u64 s[38:39], s[24:25], s[40:41]
	s_and_b64 s[40:41], s[38:39], 0xffffffff00000000
	s_delay_alu instid0(SALU_CYCLE_1) | instskip(NEXT) | instid1(SALU_CYCLE_1)
	s_or_b32 s40, s40, s38
	s_mul_u64 s[38:39], s[6:7], s[40:41]
	s_add_nc_u64 s[42:43], s[40:41], 1
	s_sub_co_u32 s1, s4, s38
	s_cselect_b32 s4, -1, 0
	s_sub_co_i32 s17, s5, s39
	s_cmp_lg_u32 s4, 0
	s_add_nc_u64 s[44:45], s[40:41], 2
	s_sub_co_ci_u32 s17, s17, s7
	s_sub_co_u32 s21, s1, s6
	s_cselect_b32 s24, -1, 0
	s_delay_alu instid0(SALU_CYCLE_1) | instskip(SKIP_1) | instid1(SALU_CYCLE_1)
	s_cmp_lg_u32 s24, 0
	s_sub_co_ci_u32 s17, s17, 0
	s_cmp_ge_u32 s17, s7
	s_cselect_b32 s24, -1, 0
	s_cmp_ge_u32 s21, s6
	s_cselect_b32 s21, -1, 0
	s_cmp_eq_u32 s17, s7
	s_cselect_b32 s17, s21, s24
	s_delay_alu instid0(SALU_CYCLE_1) | instskip(SKIP_4) | instid1(SALU_CYCLE_1)
	s_cmp_lg_u32 s17, 0
	s_cselect_b32 s17, s44, s42
	s_cselect_b32 s21, s45, s43
	s_cmp_lg_u32 s4, 0
	s_sub_co_ci_u32 s4, s5, s39
	s_cmp_ge_u32 s4, s7
	s_cselect_b32 s5, -1, 0
	s_cmp_ge_u32 s1, s6
	s_cselect_b32 s1, -1, 0
	s_cmp_eq_u32 s4, s7
	s_cselect_b32 s1, s1, s5
	s_delay_alu instid0(SALU_CYCLE_1) | instskip(SKIP_3) | instid1(SALU_CYCLE_1)
	s_cmp_lg_u32 s1, 0
	s_cselect_b32 s5, s21, s41
	s_cselect_b32 s4, s17, s40
	s_xor_b64 s[2:3], s[2:3], 0
	s_xor_b64 s[4:5], s[4:5], s[2:3]
	s_delay_alu instid0(SALU_CYCLE_1)
	s_sub_nc_u64 s[40:41], s[4:5], s[2:3]
	s_mov_b32 s2, 0
.LBB3_11:                               ;   in Loop: Header=BB3_9 Depth=1
	s_delay_alu instid0(SALU_CYCLE_1)
	s_and_not1_b32 vcc_lo, exec_lo, s2
	s_cbranch_vccnz .LBB3_13
; %bb.12:                               ;   in Loop: Header=BB3_9 Depth=1
	v_readfirstlane_b32 s1, v7
	s_sub_co_i32 s2, 0, s16
	s_delay_alu instid0(SALU_CYCLE_1) | instskip(NEXT) | instid1(SALU_CYCLE_1)
	s_mul_i32 s2, s2, s1
	s_mul_hi_u32 s2, s1, s2
	s_delay_alu instid0(SALU_CYCLE_1) | instskip(NEXT) | instid1(SALU_CYCLE_1)
	s_add_co_i32 s1, s1, s2
	s_mul_hi_u32 s1, s0, s1
	s_delay_alu instid0(SALU_CYCLE_1) | instskip(NEXT) | instid1(SALU_CYCLE_1)
	s_mul_i32 s2, s1, s16
	s_sub_co_i32 s0, s0, s2
	s_add_co_i32 s2, s1, 1
	s_sub_co_i32 s3, s0, s16
	s_cmp_ge_u32 s0, s16
	s_cselect_b32 s1, s2, s1
	s_cselect_b32 s0, s3, s0
	s_add_co_i32 s2, s1, 1
	s_cmp_ge_u32 s0, s16
	s_cselect_b32 s24, s2, s1
	s_delay_alu instid0(SALU_CYCLE_1)
	s_mov_b64 s[40:41], s[24:25]
.LBB3_13:                               ;   in Loop: Header=BB3_9 Depth=1
	s_delay_alu instid0(SALU_CYCLE_1)
	s_cmp_lg_u32 s20, s40
	s_mov_b32 s0, -1
                                        ; implicit-def: $vgpr4_vgpr5
                                        ; implicit-def: $sgpr24
                                        ; implicit-def: $sgpr17
                                        ; implicit-def: $sgpr21
                                        ; implicit-def: $sgpr29
	s_cbranch_scc0 .LBB3_18
; %bb.14:                               ;   in Loop: Header=BB3_9 Depth=1
	s_add_co_i32 s0, s36, s16
	v_max_num_f32_e64 v4, s28, s28
	s_lshl_b32 s0, s0, 6
	s_mov_b32 s29, s20
	s_add_co_i32 s0, s0, s15
	s_load_b64 s[38:39], s[10:11], s0 offset:0x0 scale_offset
	s_wait_xcnt 0x0
	v_readfirstlane_b32 s0, v4
	s_wait_kmcnt 0x0
	v_max_num_f32_e64 v5, s38, s38
	s_delay_alu instid0(VALU_DEP_1) | instskip(SKIP_1) | instid1(SALU_CYCLE_3)
	v_readfirstlane_b32 s1, v5
	s_max_num_f32 s17, s0, s1
	s_sub_f32 s33, s28, s17
	s_sub_f32 s37, s38, s17
	s_delay_alu instid0(SALU_CYCLE_2)
	s_cmp_nlt_f32 s33, 0xc2ce8ed0
	s_cselect_b32 s1, -1, 0
	s_cmp_ngt_f32 s33, 0x42b17218
	s_cselect_b32 s2, -1, 0
	s_cmp_ge_f32 s33, 0xc1a00000
	s_cselect_b32 s0, -1, 0
	s_cmp_nlt_f32 s37, 0xc2ce8ed0
	s_cselect_b32 s3, -1, 0
	s_cmp_ngt_f32 s37, 0x42b17218
	s_cselect_b32 s4, -1, 0
	s_cmp_ge_f32 s37, 0xc1a00000
	s_cselect_b32 s5, -1, 0
	s_and_b64 s[42:43], s[40:41], s[8:9]
	s_delay_alu instid0(SALU_CYCLE_1) | instskip(NEXT) | instid1(SALU_CYCLE_1)
	s_mul_u64 s[42:43], s[42:43], s[22:23]
	s_add_co_i32 s21, s43, s40
	s_delay_alu instid0(SALU_CYCLE_1) | instskip(NEXT) | instid1(SALU_CYCLE_1)
	s_lshr_b32 s21, s21, s13
	s_mul_i32 s24, s21, s14
	s_delay_alu instid0(SALU_CYCLE_1) | instskip(SKIP_3) | instid1(SALU_CYCLE_1)
	s_cmp_eq_u32 s24, s40
	s_cselect_b32 s24, -1, 0
	s_cmp_lt_u32 s21, s12
	s_cselect_b32 s21, -1, 0
	s_or_b32 s21, s21, s24
	s_mov_b32 s24, -1
	s_and_b32 vcc_lo, exec_lo, s21
	s_mov_b32 s21, s36
	s_cbranch_vccnz .LBB3_16
; %bb.15:                               ;   in Loop: Header=BB3_9 Depth=1
	s_add_co_i32 s21, s36, -1
	s_mov_b32 s24, 0
	s_mov_b32 s29, s40
.LBB3_16:                               ;   in Loop: Header=BB3_9 Depth=1
	v_lshl_add_u32 v4, s36, 13, v6
	s_mul_f32 s40, s33, 0x3fb8aa3b
	s_mul_f32 s38, s37, 0x3fb8aa3b
	s_delay_alu instid0(SALU_CYCLE_2)
	s_xor_b32 s42, s40, 0x80000000
	global_load_b32 v5, v4, s[26:27] scale_offset
	s_fmamk_f32 s42, s33, 0x3fb8aa3b, s42
	s_rndne_f32 s44, s40
	s_xor_b32 s41, s38, 0x80000000
	s_rndne_f32 s43, s38
	s_fmamk_f32 s33, s33, 0x32a5705f, s42
	s_sub_f32 s40, s40, s44
	s_fmamk_f32 s41, s37, 0x3fb8aa3b, s41
	s_sub_f32 s38, s38, s43
	s_delay_alu instid0(SALU_CYCLE_1) | instskip(NEXT) | instid1(SALU_CYCLE_1)
	s_add_f32 s33, s40, s33
	s_fmamk_f32 s37, s37, 0x32a5705f, s41
	s_cvt_i32_f32 s40, s44
	s_delay_alu instid0(SALU_CYCLE_1) | instskip(NEXT) | instid1(SALU_CYCLE_1)
	v_s_exp_f32 s33, s33
	s_add_f32 s37, s38, s37
	s_cvt_i32_f32 s38, s43
	s_delay_alu instid0(SALU_CYCLE_2) | instskip(NEXT) | instid1(TRANS32_DEP_2)
	v_s_exp_f32 s37, s37
	v_ldexp_f32 v8, s33, s40
	s_wait_xcnt 0x0
	s_delay_alu instid0(TRANS32_DEP_1) | instskip(NEXT) | instid1(VALU_DEP_2)
	v_ldexp_f32 v4, s37, s38
	v_cndmask_b32_e64 v8, 0, v8, s1
	s_delay_alu instid0(VALU_DEP_1) | instskip(NEXT) | instid1(VALU_DEP_1)
	v_cndmask_b32_e64 v9, 0x7f800000, v8, s2
	v_dual_cndmask_b32 v4, 0, v4, s3 :: v_dual_cndmask_b32 v10, 0, v9, s0
	s_delay_alu instid0(VALU_DEP_1) | instskip(NEXT) | instid1(VALU_DEP_1)
	v_cndmask_b32_e64 v4, 0x7f800000, v4, s4
	v_dual_cndmask_b32 v8, 0, v4, s5 :: v_dual_mov_b32 v4, s39
	s_wait_loadcnt 0x0
	s_delay_alu instid0(VALU_DEP_1) | instskip(NEXT) | instid1(VALU_DEP_1)
	v_pk_mul_f32 v[4:5], v[4:5], v[8:9] op_sel_hi:[1,0]
	v_pk_fma_f32 v[4:5], v[0:1], v[10:11], v[4:5] op_sel_hi:[1,0,1]
	s_cbranch_execz .LBB3_19
.LBB3_17:                               ;   in Loop: Header=BB3_9 Depth=1
	s_and_not1_b32 vcc_lo, exec_lo, s24
	s_cbranch_vccnz .LBB3_20
	s_branch .LBB3_23
.LBB3_18:                               ;   in Loop: Header=BB3_9 Depth=1
	s_and_not1_b32 vcc_lo, exec_lo, s0
	s_cbranch_vccnz .LBB3_17
.LBB3_19:                               ;   in Loop: Header=BB3_9 Depth=1
	s_wait_loadcnt 0x0
	v_mov_b64_e32 v[4:5], v[0:1]
	s_add_co_i32 s21, s36, -1
	s_mov_b32 s29, s20
	s_mov_b32 s17, s28
	s_cbranch_execz .LBB3_23
.LBB3_20:                               ;   in Loop: Header=BB3_9 Depth=1
	s_wait_loadcnt 0x0
	s_delay_alu instid0(VALU_DEP_1)
	v_mov_b64_e32 v[0:1], v[4:5]
	s_mov_b32 s20, s29
	s_mov_b32 s36, s21
	;; [unrolled: 1-line block ×3, first 2 shown]
	s_branch .LBB3_9
.LBB3_21:
                                        ; implicit-def: $sgpr20_sgpr21
	s_branch .LBB3_2
.LBB3_22:
                                        ; implicit-def: $sgpr24_sgpr25
	s_load_b96 s[12:14], s[0:1], 0x44
	s_branch .LBB3_5
.LBB3_23:
	s_delay_alu instid0(VALU_DEP_1) | instskip(SKIP_1) | instid1(VALU_DEP_1)
	v_div_scale_f32 v0, null, v4, v4, v5
	s_wait_loadcnt 0x0
	v_rcp_f32_e32 v1, v0
	v_nop
	s_delay_alu instid0(TRANS32_DEP_1) | instskip(NEXT) | instid1(VALU_DEP_1)
	v_fma_f32 v6, -v0, v1, 1.0
	v_fmac_f32_e32 v1, v6, v1
	v_div_scale_f32 v6, vcc_lo, v5, v4, v5
	s_delay_alu instid0(VALU_DEP_1) | instskip(NEXT) | instid1(VALU_DEP_1)
	v_mul_f32_e32 v7, v6, v1
	v_fma_f32 v8, -v0, v7, v6
	s_delay_alu instid0(VALU_DEP_1) | instskip(NEXT) | instid1(VALU_DEP_1)
	v_fmac_f32_e32 v7, v8, v1
	v_fma_f32 v0, -v0, v7, v6
	s_delay_alu instid0(VALU_DEP_1) | instskip(NEXT) | instid1(VALU_DEP_1)
	v_div_fmas_f32 v0, v0, v1, v7
	v_div_fixup_f32 v0, v0, v4, v5
	global_store_b32 v[2:3], v0, off
.LBB3_24:
	s_endpgm
	.section	.rodata,"a",@progbits
	.p2align	6, 0x0
	.amdhsa_kernel _ZL33flash_attn_stream_k_fixup_generalILi128ELi8ELi8EEvPfPK15HIP_vector_typeIfLj2EEiiiiS1_IjLj3EES5_S5_S5_
		.amdhsa_group_segment_fixed_size 0
		.amdhsa_private_segment_fixed_size 0
		.amdhsa_kernarg_size 336
		.amdhsa_user_sgpr_count 2
		.amdhsa_user_sgpr_dispatch_ptr 0
		.amdhsa_user_sgpr_queue_ptr 0
		.amdhsa_user_sgpr_kernarg_segment_ptr 1
		.amdhsa_user_sgpr_dispatch_id 0
		.amdhsa_user_sgpr_kernarg_preload_length 0
		.amdhsa_user_sgpr_kernarg_preload_offset 0
		.amdhsa_user_sgpr_private_segment_size 0
		.amdhsa_wavefront_size32 1
		.amdhsa_uses_dynamic_stack 0
		.amdhsa_enable_private_segment 0
		.amdhsa_system_sgpr_workgroup_id_x 1
		.amdhsa_system_sgpr_workgroup_id_y 1
		.amdhsa_system_sgpr_workgroup_id_z 1
		.amdhsa_system_sgpr_workgroup_info 0
		.amdhsa_system_vgpr_workitem_id 0
		.amdhsa_next_free_vgpr 12
		.amdhsa_next_free_sgpr 46
		.amdhsa_named_barrier_count 0
		.amdhsa_reserve_vcc 1
		.amdhsa_float_round_mode_32 0
		.amdhsa_float_round_mode_16_64 0
		.amdhsa_float_denorm_mode_32 3
		.amdhsa_float_denorm_mode_16_64 3
		.amdhsa_fp16_overflow 0
		.amdhsa_memory_ordered 1
		.amdhsa_forward_progress 1
		.amdhsa_inst_pref_size 27
		.amdhsa_round_robin_scheduling 0
		.amdhsa_exception_fp_ieee_invalid_op 0
		.amdhsa_exception_fp_denorm_src 0
		.amdhsa_exception_fp_ieee_div_zero 0
		.amdhsa_exception_fp_ieee_overflow 0
		.amdhsa_exception_fp_ieee_underflow 0
		.amdhsa_exception_fp_ieee_inexact 0
		.amdhsa_exception_int_div_zero 0
	.end_amdhsa_kernel
	.section	.text._ZL33flash_attn_stream_k_fixup_generalILi128ELi8ELi8EEvPfPK15HIP_vector_typeIfLj2EEiiiiS1_IjLj3EES5_S5_S5_,"axG",@progbits,_ZL33flash_attn_stream_k_fixup_generalILi128ELi8ELi8EEvPfPK15HIP_vector_typeIfLj2EEiiiiS1_IjLj3EES5_S5_S5_,comdat
.Lfunc_end3:
	.size	_ZL33flash_attn_stream_k_fixup_generalILi128ELi8ELi8EEvPfPK15HIP_vector_typeIfLj2EEiiiiS1_IjLj3EES5_S5_S5_, .Lfunc_end3-_ZL33flash_attn_stream_k_fixup_generalILi128ELi8ELi8EEvPfPK15HIP_vector_typeIfLj2EEiiiiS1_IjLj3EES5_S5_S5_
                                        ; -- End function
	.set _ZL33flash_attn_stream_k_fixup_generalILi128ELi8ELi8EEvPfPK15HIP_vector_typeIfLj2EEiiiiS1_IjLj3EES5_S5_S5_.num_vgpr, 12
	.set _ZL33flash_attn_stream_k_fixup_generalILi128ELi8ELi8EEvPfPK15HIP_vector_typeIfLj2EEiiiiS1_IjLj3EES5_S5_S5_.num_agpr, 0
	.set _ZL33flash_attn_stream_k_fixup_generalILi128ELi8ELi8EEvPfPK15HIP_vector_typeIfLj2EEiiiiS1_IjLj3EES5_S5_S5_.numbered_sgpr, 46
	.set _ZL33flash_attn_stream_k_fixup_generalILi128ELi8ELi8EEvPfPK15HIP_vector_typeIfLj2EEiiiiS1_IjLj3EES5_S5_S5_.num_named_barrier, 0
	.set _ZL33flash_attn_stream_k_fixup_generalILi128ELi8ELi8EEvPfPK15HIP_vector_typeIfLj2EEiiiiS1_IjLj3EES5_S5_S5_.private_seg_size, 0
	.set _ZL33flash_attn_stream_k_fixup_generalILi128ELi8ELi8EEvPfPK15HIP_vector_typeIfLj2EEiiiiS1_IjLj3EES5_S5_S5_.uses_vcc, 1
	.set _ZL33flash_attn_stream_k_fixup_generalILi128ELi8ELi8EEvPfPK15HIP_vector_typeIfLj2EEiiiiS1_IjLj3EES5_S5_S5_.uses_flat_scratch, 0
	.set _ZL33flash_attn_stream_k_fixup_generalILi128ELi8ELi8EEvPfPK15HIP_vector_typeIfLj2EEiiiiS1_IjLj3EES5_S5_S5_.has_dyn_sized_stack, 0
	.set _ZL33flash_attn_stream_k_fixup_generalILi128ELi8ELi8EEvPfPK15HIP_vector_typeIfLj2EEiiiiS1_IjLj3EES5_S5_S5_.has_recursion, 0
	.set _ZL33flash_attn_stream_k_fixup_generalILi128ELi8ELi8EEvPfPK15HIP_vector_typeIfLj2EEiiiiS1_IjLj3EES5_S5_S5_.has_indirect_call, 0
	.section	.AMDGPU.csdata,"",@progbits
; Kernel info:
; codeLenInByte = 3360
; TotalNumSgprs: 48
; NumVgprs: 12
; ScratchSize: 0
; MemoryBound: 0
; FloatMode: 240
; IeeeMode: 1
; LDSByteSize: 0 bytes/workgroup (compile time only)
; SGPRBlocks: 0
; VGPRBlocks: 0
; NumSGPRsForWavesPerEU: 48
; NumVGPRsForWavesPerEU: 12
; NamedBarCnt: 0
; Occupancy: 16
; WaveLimiterHint : 0
; COMPUTE_PGM_RSRC2:SCRATCH_EN: 0
; COMPUTE_PGM_RSRC2:USER_SGPR: 2
; COMPUTE_PGM_RSRC2:TRAP_HANDLER: 0
; COMPUTE_PGM_RSRC2:TGID_X_EN: 1
; COMPUTE_PGM_RSRC2:TGID_Y_EN: 1
; COMPUTE_PGM_RSRC2:TGID_Z_EN: 1
; COMPUTE_PGM_RSRC2:TIDIG_COMP_CNT: 0
	.section	.text._ZL26flash_attn_combine_resultsILi128EEvPKfPK15HIP_vector_typeIfLj2EEPfi,"axG",@progbits,_ZL26flash_attn_combine_resultsILi128EEvPKfPK15HIP_vector_typeIfLj2EEPfi,comdat
	.globl	_ZL26flash_attn_combine_resultsILi128EEvPKfPK15HIP_vector_typeIfLj2EEPfi ; -- Begin function _ZL26flash_attn_combine_resultsILi128EEvPKfPK15HIP_vector_typeIfLj2EEPfi
	.p2align	8
	.type	_ZL26flash_attn_combine_resultsILi128EEvPKfPK15HIP_vector_typeIfLj2EEPfi,@function
_ZL26flash_attn_combine_resultsILi128EEvPKfPK15HIP_vector_typeIfLj2EEPfi: ; @_ZL26flash_attn_combine_resultsILi128EEvPKfPK15HIP_vector_typeIfLj2EEPfi
; %bb.0:
	s_clause 0x2
	s_load_b128 s[4:7], s[0:1], 0x0
	s_load_b96 s[8:10], s[0:1], 0x10
	s_load_b64 s[2:3], s[0:1], 0x20
	s_bfe_u32 s11, ttmp6, 0x4000c
	s_wait_xcnt 0x0
	s_and_b32 s0, ttmp6, 15
	s_add_co_i32 s11, s11, 1
	s_and_b32 s12, ttmp7, 0xffff
	s_mul_i32 s1, ttmp9, s11
	s_bfe_u32 s11, ttmp6, 0x40010
	s_bfe_u32 s13, ttmp6, 0x40014
	s_add_co_i32 s11, s11, 1
	s_add_co_i32 s0, s0, s1
	s_mul_i32 s1, s12, s11
	s_bfe_u32 s11, ttmp6, 0x40004
	s_lshr_b32 s14, ttmp7, 16
	s_add_co_i32 s13, s13, 1
	s_add_co_i32 s11, s11, s1
	s_mul_i32 s1, s14, s13
	s_bfe_u32 s13, ttmp6, 0x40008
	s_getreg_b32 s15, hwreg(HW_REG_IB_STS2, 6, 4)
	s_add_co_i32 s13, s13, s1
	s_cmp_eq_u32 s15, 0
	v_mov_b32_e32 v2, v0
	s_cselect_b32 s1, s14, s13
	s_cselect_b32 s0, ttmp9, s0
	s_wait_kmcnt 0x0
	s_mul_i32 s1, s2, s1
	s_cselect_b32 s2, s12, s11
	s_add_co_i32 s0, s1, s0
	s_lshl_b32 s12, s10, 1
	s_mul_i32 s11, s0, s3
	s_mov_b32 s13, exec_lo
	s_add_co_i32 s11, s11, s2
	s_delay_alu instid0(SALU_CYCLE_1)
	s_mul_i32 s2, s11, s10
	v_cmpx_gt_i32_e64 s12, v0
	s_cbranch_execz .LBB4_13
; %bb.1:
	v_xad_u32 v1, v0, -1, s12
	s_ashr_i32 s3, s2, 31
	s_mov_b32 s0, -1
	s_mov_b32 s14, exec_lo
	s_delay_alu instid0(VALU_DEP_1)
	v_cmpx_lt_u32_e32 0x7f, v1
	s_cbranch_execz .LBB4_10
; %bb.2:
	v_lshrrev_b32_e32 v6, 7, v1
	v_or_b32_e32 v1, 0x80, v0
	s_lshl_b64 s[0:1], s[2:3], 3
	v_mov_b32_e32 v4, 0
	s_add_nc_u64 s[0:1], s[6:7], s[0:1]
	v_add_nc_u32_e32 v2, -1, v6
	s_delay_alu instid0(VALU_DEP_1) | instskip(SKIP_1) | instid1(VALU_DEP_2)
	v_lshrrev_b32_e32 v3, 1, v2
	v_cmp_lt_u32_e32 vcc_lo, 13, v2
	v_add_nc_u32_e32 v7, 1, v3
	v_mov_b64_e32 v[2:3], v[0:1]
	s_and_saveexec_b32 s15, vcc_lo
	s_cbranch_execz .LBB4_6
; %bb.3:
	v_mov_b64_e32 v[2:3], v[0:1]
	v_dual_mov_b32 v5, 0 :: v_dual_bitop2_b32 v8, -8, v7 bitop3:0x40
	v_lshl_add_u32 v9, v0, 2, 0
	s_mov_b32 s16, 0
	s_mov_b32 s17, 0
.LBB4_4:                                ; =>This Inner Loop Header: Depth=1
	s_delay_alu instid0(VALU_DEP_2) | instskip(NEXT) | instid1(VALU_DEP_4)
	v_dual_mov_b32 v4, v2 :: v_dual_mov_b32 v11, v5
	v_dual_mov_b32 v13, v5 :: v_dual_add_nc_u32 v10, 0x100, v3
	v_dual_mov_b32 v15, v5 :: v_dual_add_nc_u32 v12, 0x200, v3
	s_delay_alu instid0(VALU_DEP_3) | instskip(SKIP_1) | instid1(VALU_DEP_4)
	v_lshl_add_u64 v[24:25], v[4:5], 2, s[0:1]
	v_dual_mov_b32 v4, v3 :: v_dual_add_nc_u32 v8, -8, v8
	v_lshl_add_u64 v[10:11], v[10:11], 2, s[0:1]
	v_dual_mov_b32 v17, v5 :: v_dual_add_nc_u32 v14, 0x300, v3
	s_delay_alu instid0(VALU_DEP_3)
	v_lshl_add_u64 v[26:27], v[4:5], 2, s[0:1]
	v_add_nc_u32_e32 v4, 0x100, v2
	global_load_b32 v1, v[24:25], off
	v_lshl_add_u64 v[12:13], v[12:13], 2, s[0:1]
	v_dual_mov_b32 v19, v5 :: v_dual_add_nc_u32 v16, 0x400, v3
	global_load_b32 v28, v[26:27], off
	s_wait_xcnt 0x1
	v_lshl_add_u64 v[24:25], v[4:5], 2, s[0:1]
	v_add_nc_u32_e32 v4, 0x200, v2
	s_clause 0x1
	global_load_b32 v29, v[24:25], off
	global_load_b32 v30, v[10:11], off
	s_wait_xcnt 0x2
	v_lshl_add_u64 v[26:27], v[4:5], 2, s[0:1]
	v_add_nc_u32_e32 v4, 0x300, v2
	s_clause 0x1
	global_load_b32 v24, v[26:27], off
	global_load_b32 v25, v[12:13], off
	s_wait_xcnt 0x2
	v_lshl_add_u64 v[10:11], v[4:5], 2, s[0:1]
	v_add_nc_u32_e32 v4, 0x400, v2
	v_lshl_add_u64 v[14:15], v[14:15], 2, s[0:1]
	s_clause 0x1
	global_load_b32 v26, v[10:11], off
	global_load_b32 v27, v[14:15], off
	s_wait_xcnt 0x2
	v_lshl_add_u64 v[12:13], v[4:5], 2, s[0:1]
	v_add_nc_u32_e32 v4, 0x500, v2
	v_dual_mov_b32 v21, v5 :: v_dual_add_nc_u32 v18, 0x500, v3
	v_lshl_add_u64 v[16:17], v[16:17], 2, s[0:1]
	v_dual_mov_b32 v23, v5 :: v_dual_add_nc_u32 v20, 0x600, v3
	s_wait_xcnt 0x1
	v_lshl_add_u64 v[10:11], v[4:5], 2, s[0:1]
	v_add_nc_u32_e32 v4, 0x600, v2
	s_clause 0x1
	global_load_b32 v14, v[12:13], off
	global_load_b32 v15, v[16:17], off
	v_add_nc_u32_e32 v22, 0x700, v3
	v_lshl_add_u64 v[18:19], v[18:19], 2, s[0:1]
	v_lshl_add_u64 v[20:21], v[20:21], 2, s[0:1]
	s_wait_xcnt 0x1
	v_lshl_add_u64 v[12:13], v[4:5], 2, s[0:1]
	v_add_nc_u32_e32 v4, 0x700, v2
	s_clause 0x1
	global_load_b32 v16, v[10:11], off
	global_load_b32 v17, v[18:19], off
	v_lshl_add_u64 v[22:23], v[22:23], 2, s[0:1]
	s_add_co_i32 s17, s17, 16
	v_cmp_eq_u32_e32 vcc_lo, 0, v8
	s_wait_xcnt 0x1
	v_lshl_add_u64 v[10:11], v[4:5], 2, s[0:1]
	s_clause 0x3
	global_load_b32 v18, v[12:13], off
	global_load_b32 v19, v[20:21], off
	;; [unrolled: 1-line block ×4, first 2 shown]
	v_dual_mov_b32 v4, s17 :: v_dual_add_nc_u32 v3, 0x800, v3
	v_add_nc_u32_e32 v2, 0x800, v2
	s_or_b32 s16, vcc_lo, s16
	s_wait_loadcnt 0xe
	ds_store_2addr_stride64_b32 v9, v1, v28 offset1:2
	s_wait_loadcnt 0xc
	ds_store_2addr_stride64_b32 v9, v29, v30 offset0:4 offset1:6
	s_wait_loadcnt 0xa
	ds_store_2addr_stride64_b32 v9, v24, v25 offset0:8 offset1:10
	s_wait_loadcnt 0x8
	ds_store_2addr_stride64_b32 v9, v26, v27 offset0:12 offset1:14
	s_wait_loadcnt 0x6
	ds_store_2addr_stride64_b32 v9, v14, v15 offset0:16 offset1:18
	s_wait_loadcnt 0x4
	ds_store_2addr_stride64_b32 v9, v16, v17 offset0:20 offset1:22
	s_wait_loadcnt 0x2
	ds_store_2addr_stride64_b32 v9, v18, v19 offset0:24 offset1:26
	s_wait_loadcnt 0x0
	ds_store_2addr_stride64_b32 v9, v31, v32 offset0:28 offset1:30
	v_add_nc_u32_e32 v9, 0x2000, v9
	s_wait_xcnt 0x0
	s_and_not1_b32 exec_lo, exec_lo, s16
	s_cbranch_execnz .LBB4_4
; %bb.5:
	s_or_b32 exec_lo, exec_lo, s16
.LBB4_6:
	s_delay_alu instid0(SALU_CYCLE_1) | instskip(SKIP_3) | instid1(VALU_DEP_1)
	s_or_b32 exec_lo, exec_lo, s15
	v_and_b32_e32 v1, 7, v7
	s_mov_b32 s16, 0
	s_mov_b32 s15, exec_lo
	v_cmpx_ne_u32_e32 0, v1
	s_cbranch_execz .LBB4_9
; %bb.7:
	v_lshlrev_b32_e32 v5, 2, v0
	s_delay_alu instid0(VALU_DEP_1) | instskip(NEXT) | instid1(VALU_DEP_1)
	v_lshl_or_b32 v4, v4, 9, v5
	v_dual_mov_b32 v5, 0 :: v_dual_add_nc_u32 v7, 0, v4
.LBB4_8:                                ; =>This Inner Loop Header: Depth=1
	v_dual_mov_b32 v4, v2 :: v_dual_add_nc_u32 v1, -1, v1
	v_add_nc_u32_e32 v2, 0x100, v2
	s_delay_alu instid0(VALU_DEP_2) | instskip(SKIP_1) | instid1(VALU_DEP_4)
	v_lshl_add_u64 v[8:9], v[4:5], 2, s[0:1]
	v_dual_mov_b32 v4, v3 :: v_dual_add_nc_u32 v3, 0x100, v3
	v_cmp_eq_u32_e32 vcc_lo, 0, v1
	s_delay_alu instid0(VALU_DEP_2)
	v_lshl_add_u64 v[10:11], v[4:5], 2, s[0:1]
	s_clause 0x1
	global_load_b32 v4, v[8:9], off
	global_load_b32 v12, v[10:11], off
	s_or_b32 s16, vcc_lo, s16
	s_wait_loadcnt 0x0
	ds_store_2addr_stride64_b32 v7, v4, v12 offset1:2
	v_add_nc_u32_e32 v7, 0x400, v7
	s_and_not1_b32 exec_lo, exec_lo, s16
	s_cbranch_execnz .LBB4_8
.LBB4_9:
	s_or_b32 exec_lo, exec_lo, s15
	v_add_nc_u32_e32 v1, 1, v6
	s_delay_alu instid0(VALU_DEP_1) | instskip(NEXT) | instid1(VALU_DEP_1)
	v_and_b32_e32 v2, 0x3fffffe, v1
	v_cmp_ne_u32_e32 vcc_lo, v1, v2
	v_lshl_or_b32 v2, v2, 7, v0
	s_or_not1_b32 s0, vcc_lo, exec_lo
.LBB4_10:
	s_or_b32 exec_lo, exec_lo, s14
	s_delay_alu instid0(SALU_CYCLE_1)
	s_and_b32 exec_lo, exec_lo, s0
	s_cbranch_execz .LBB4_13
; %bb.11:
	v_mov_b32_e32 v3, 0
	s_lshl_b64 s[0:1], s[2:3], 3
	v_lshl_add_u32 v1, v2, 2, 0
	s_add_nc_u64 s[0:1], s[6:7], s[0:1]
	s_delay_alu instid0(VALU_DEP_2) | instid1(SALU_CYCLE_1)
	v_lshl_add_u64 v[4:5], v[2:3], 2, s[0:1]
	s_mov_b32 s0, 0
.LBB4_12:                               ; =>This Inner Loop Header: Depth=1
	global_load_b32 v3, v[4:5], off
	v_add_nc_u32_e32 v2, 0x80, v2
	s_wait_xcnt 0x0
	v_add_nc_u64_e32 v[4:5], 0x200, v[4:5]
	s_delay_alu instid0(VALU_DEP_2)
	v_cmp_le_i32_e32 vcc_lo, s12, v2
	s_or_b32 s0, vcc_lo, s0
	s_wait_loadcnt 0x0
	ds_store_b32 v1, v3
	v_add_nc_u32_e32 v1, 0x200, v1
	s_and_not1_b32 exec_lo, exec_lo, s0
	s_cbranch_execnz .LBB4_12
.LBB4_13:
	s_or_b32 exec_lo, exec_lo, s13
	v_mov_b32_e32 v1, 0
	s_wait_dscnt 0x0
	s_barrier_signal -1
	s_barrier_wait -1
	ds_load_b32 v1, v1
	s_cmp_lt_i32 s10, 2
	s_wait_dscnt 0x0
	v_readfirstlane_b32 s3, v1
	s_cbranch_scc1 .LBB4_21
; %bb.14:
	s_cmp_eq_u32 s10, 2
	s_cbranch_scc1 .LBB4_18
; %bb.15:
	v_dual_mov_b32 v3, s3 :: v_dual_mov_b32 v4, s3
	s_add_co_i32 s1, s10, -1
	s_add_co_i32 s7, 0, 8
	s_and_b32 s3, s1, -2
	s_mov_b32 s6, 2
.LBB4_16:                               ; =>This Inner Loop Header: Depth=1
	v_dual_mov_b32 v1, s7 :: v_dual_mov_b32 v2, v3
	s_cmp_lg_u32 s3, s6
	s_cselect_b32 s12, -1, 0
	ds_load_2addr_b32 v[6:7], v1 offset1:2
	v_dual_mov_b32 v1, v4 :: v_dual_max_num_f32 v5, v2, v2
	s_delay_alu instid0(VALU_DEP_1)
	v_max_num_f32_e32 v3, v1, v1
	s_wait_dscnt 0x0
	v_cmp_u_f32_e32 vcc_lo, v7, v7
	v_max_num_f32_e32 v7, v7, v7
	v_cndmask_b32_e64 v4, 0, 1, vcc_lo
	v_cmp_u_f32_e32 vcc_lo, v6, v6
	v_max_num_f32_e32 v6, v6, v6
	s_delay_alu instid0(VALU_DEP_3) | instskip(SKIP_1) | instid1(VALU_DEP_3)
	v_readfirstlane_b32 s0, v4
	v_cndmask_b32_e64 v8, 0, 1, vcc_lo
	v_dual_max_num_f32 v4, v3, v7 :: v_dual_max_num_f32 v3, v5, v6
	s_lshl_b32 s0, s0, 1
	s_delay_alu instid0(VALU_DEP_2) | instskip(SKIP_1) | instid1(SALU_CYCLE_1)
	v_readfirstlane_b32 s13, v8
	s_or_b32 s0, s13, s0
	s_and_b32 s13, s0, 3
	s_delay_alu instid0(SALU_CYCLE_1)
	s_cmp_lg_u32 s13, 0
	s_cselect_b32 s0, -1, 0
	s_cmp_eq_u32 s13, 0
	s_cselect_b32 s13, -1, 0
	s_add_co_i32 s6, s6, 2
	s_and_b32 s12, s13, s12
	s_add_co_i32 s7, s7, 16
	s_and_b32 vcc_lo, exec_lo, s12
	s_cbranch_vccnz .LBB4_16
; %bb.17:
	v_dual_cndmask_b32 v2, v3, v2, s0 :: v_dual_cndmask_b32 v1, v4, v1, s0
	s_add_co_i32 s6, s6, -4
	s_and_b32 s7, s0, exec_lo
	s_cselect_b32 s6, s6, s1
	s_delay_alu instid0(VALU_DEP_1) | instskip(SKIP_3) | instid1(VALU_DEP_1)
	v_dual_max_num_f32 v2, v2, v2 :: v_dual_max_num_f32 v1, v1, v1
	s_or_b32 s6, s6, 1
	s_cmp_lg_u32 s1, s3
	s_cselect_b32 s1, -1, 0
	v_readfirstlane_b32 s7, v2
	v_readfirstlane_b32 s12, v1
	s_or_b32 s0, s1, s0
	s_max_num_f32 s3, s7, s12
	s_and_b32 vcc_lo, exec_lo, s0
	s_cbranch_vccnz .LBB4_19
	s_branch .LBB4_21
.LBB4_18:
	s_mov_b32 s6, 1
	s_cbranch_execz .LBB4_21
.LBB4_19:
	s_lshl_b32 s1, s6, 3
	s_sub_co_i32 s0, s10, s6
	s_add_co_i32 s1, s1, 0
.LBB4_20:                               ; =>This Inner Loop Header: Depth=1
	s_delay_alu instid0(SALU_CYCLE_1) | instskip(NEXT) | instid1(SALU_CYCLE_1)
	v_mov_b32_e32 v1, s1
	v_max_num_f32_e64 v2, s3, s3
	s_add_co_i32 s0, s0, -1
	s_add_co_i32 s1, s1, 8
	s_cmp_eq_u32 s0, 0
	ds_load_b32 v1, v1
	v_readfirstlane_b32 s3, v2
	s_wait_dscnt 0x0
	v_max_num_f32_e32 v1, v1, v1
	s_delay_alu instid0(VALU_DEP_1)
	v_readfirstlane_b32 s6, v1
	s_max_num_f32 s3, s3, s6
	s_cbranch_scc0 .LBB4_20
.LBB4_21:
	s_cmp_lt_i32 s10, 1
	s_cbranch_scc1 .LBB4_26
; %bb.22:
	s_lshl_b32 s0, s2, 7
	s_delay_alu instid0(SALU_CYCLE_1) | instskip(NEXT) | instid1(SALU_CYCLE_1)
	s_ashr_i32 s1, s0, 31
	s_lshl_b64 s[0:1], s[0:1], 2
	s_cmp_lt_u32 s10, 8
	s_add_nc_u64 s[0:1], s[4:5], s[0:1]
	s_cbranch_scc1 .LBB4_27
; %bb.23:
	v_mov_b32_e32 v2, 0
	v_or_b32_e32 v1, 0x380, v0
	s_and_b32 s2, s10, 0x7ffffff8
	s_mov_b32 s4, 0
	s_mov_b32 s5, 0
	v_mov_b32_e32 v3, v2
.LBB4_24:                               ; =>This Inner Loop Header: Depth=1
	v_add_nc_u32_e32 v4, 0xfffffc80, v1
	v_dual_mov_b32 v16, s5 :: v_dual_add_nc_u32 v5, 0xfffffd00, v1
	s_clause 0x1
	global_load_b32 v21, v4, s[0:1] scale_offset
	global_load_b32 v23, v5, s[0:1] scale_offset
	s_wait_xcnt 0x1
	v_add_nc_u32_e32 v4, 0xfffffd80, v1
	s_wait_xcnt 0x0
	v_add_nc_u32_e32 v5, 0xfffffe00, v1
	s_clause 0x1
	global_load_b32 v25, v4, s[0:1] scale_offset
	global_load_b32 v27, v5, s[0:1] scale_offset
	s_wait_xcnt 0x1
	v_add_nc_u32_e32 v4, 0xfffffe80, v1
	s_wait_xcnt 0x0
	v_add_nc_u32_e32 v5, 0xffffff00, v1
	global_load_b32 v29, v4, s[0:1] scale_offset
	s_wait_xcnt 0x0
	v_add_nc_u32_e32 v4, 0xffffff80, v1
	s_clause 0x2
	global_load_b32 v31, v5, s[0:1] scale_offset
	global_load_b32 v33, v4, s[0:1] scale_offset
	;; [unrolled: 1-line block ×3, first 2 shown]
	s_wait_xcnt 0x1
	ds_load_2addr_b64 v[4:7], v16 offset1:1
	ds_load_2addr_b64 v[8:11], v16 offset0:2 offset1:3
	ds_load_2addr_b64 v[12:15], v16 offset0:4 offset1:5
	;; [unrolled: 1-line block ×3, first 2 shown]
	s_wait_xcnt 0x0
	v_add_nc_u32_e32 v1, 0x400, v1
	s_wait_dscnt 0x3
	v_readfirstlane_b32 s6, v4
	v_readfirstlane_b32 s7, v6
	s_wait_dscnt 0x2
	v_readfirstlane_b32 s12, v8
	v_dual_mov_b32 v20, v5 :: v_dual_mov_b32 v26, v11
	s_sub_f32 s6, s6, s3
	s_sub_f32 s7, s7, s3
	;; [unrolled: 1-line block ×3, first 2 shown]
	v_readfirstlane_b32 s13, v10
	s_mul_f32 s18, s6, 0x3fb8aa3b
	s_mul_f32 s19, s7, 0x3fb8aa3b
	;; [unrolled: 1-line block ×3, first 2 shown]
	s_wait_dscnt 0x1
	v_readfirstlane_b32 s14, v12
	s_xor_b32 s26, s18, 0x80000000
	s_rndne_f32 s27, s18
	s_fmamk_f32 s26, s6, 0x3fb8aa3b, s26
	s_cmp_nlt_f32 s6, 0xc2ce8ed0
	s_rndne_f32 s28, s19
	s_sub_f32 s18, s18, s27
	s_fmamk_f32 s26, s6, 0x32a5705f, s26
	s_cvt_i32_f32 s27, s27
	s_cselect_b32 vcc_lo, -1, 0
	s_cmp_ngt_f32 s6, 0x42b17218
	s_add_f32 s18, s18, s26
	s_sub_f32 s36, s19, s28
	s_cvt_i32_f32 s28, s28
	s_rndne_f32 s29, s20
	v_s_exp_f32 s18, s18
	s_sub_f32 s13, s13, s3
	s_sub_f32 s14, s14, s3
	;; [unrolled: 1-line block ×3, first 2 shown]
	s_cvt_i32_f32 s29, s29
	s_mul_f32 s21, s13, 0x3fb8aa3b
	s_mul_f32 s22, s14, 0x3fb8aa3b
	v_readfirstlane_b32 s15, v14
	v_ldexp_f32 v4, s18, s27
	s_wait_dscnt 0x0
	v_mov_b32_e32 v32, v17
	s_rndne_f32 s30, s21
	s_rndne_f32 s31, s22
	s_sub_f32 s15, s15, s3
	v_cndmask_b32_e32 v4, 0, v4, vcc_lo
	s_cselect_b32 vcc_lo, -1, 0
	s_xor_b32 s6, s19, 0x80000000
	s_cmp_nlt_f32 s7, 0xc2ce8ed0
	s_fmamk_f32 s6, s7, 0x3fb8aa3b, s6
	v_cndmask_b32_e32 v4, 0x7f800000, v4, vcc_lo
	s_sub_f32 s38, s21, s30
	s_cselect_b32 vcc_lo, -1, 0
	s_fmamk_f32 s6, s7, 0x32a5705f, s6
	s_cmp_ngt_f32 s7, 0x42b17218
	s_cvt_i32_f32 s30, s30
	s_sub_f32 s39, s22, s31
	s_add_f32 s6, s36, s6
	s_cvt_i32_f32 s31, s31
	s_mul_f32 s23, s15, 0x3fb8aa3b
	v_readfirstlane_b32 s16, v16
	v_s_exp_f32 s6, s6
	v_readfirstlane_b32 s17, v18
	s_rndne_f32 s33, s23
	v_mov_b32_e32 v22, v7
	s_sub_f32 s16, s16, s3
	v_mov_b32_e32 v34, v19
	s_sub_f32 s40, s23, s33
	s_cvt_i32_f32 s33, s33
	v_ldexp_f32 v5, s6, s28
	s_mul_f32 s24, s16, 0x3fb8aa3b
	s_sub_f32 s17, s17, s3
	v_dual_mov_b32 v24, v9 :: v_dual_mov_b32 v28, v13
	s_delay_alu instid0(VALU_DEP_2)
	v_dual_mov_b32 v30, v15 :: v_dual_cndmask_b32 v5, 0, v5
	s_cselect_b32 vcc_lo, -1, 0
	s_xor_b32 s6, s20, 0x80000000
	s_cmp_nlt_f32 s12, 0xc2ce8ed0
	s_fmamk_f32 s6, s12, 0x3fb8aa3b, s6
	v_cndmask_b32_e32 v6, 0x7f800000, v5, vcc_lo
	s_rndne_f32 s34, s24
	s_cselect_b32 vcc_lo, -1, 0
	s_fmamk_f32 s6, s12, 0x32a5705f, s6
	s_cmp_ngt_f32 s12, 0x42b17218
	s_sub_f32 s41, s24, s34
	s_cvt_i32_f32 s34, s34
	s_add_f32 s6, s37, s6
	s_mul_f32 s25, s17, 0x3fb8aa3b
	s_delay_alu instid0(SALU_CYCLE_2) | instskip(NEXT) | instid1(SALU_CYCLE_2)
	v_s_exp_f32 s6, s6
	s_rndne_f32 s35, s25
	s_delay_alu instid0(SALU_CYCLE_3) | instskip(SKIP_2) | instid1(TRANS32_DEP_1)
	s_sub_f32 s42, s25, s35
	s_cvt_i32_f32 s35, s35
	v_nop
	v_ldexp_f32 v5, s6, s29
	s_delay_alu instid0(VALU_DEP_1)
	v_cndmask_b32_e32 v5, 0, v5, vcc_lo
	s_cselect_b32 vcc_lo, -1, 0
	s_xor_b32 s6, s21, 0x80000000
	s_cmp_nlt_f32 s13, 0xc2ce8ed0
	s_fmamk_f32 s6, s13, 0x3fb8aa3b, s6
	v_cndmask_b32_e32 v8, 0x7f800000, v5, vcc_lo
	s_cselect_b32 vcc_lo, -1, 0
	s_delay_alu instid0(SALU_CYCLE_1) | instskip(SKIP_1) | instid1(SALU_CYCLE_2)
	s_fmamk_f32 s6, s13, 0x32a5705f, s6
	s_cmp_ngt_f32 s13, 0x42b17218
	s_add_f32 s6, s38, s6
	s_delay_alu instid0(SALU_CYCLE_3) | instskip(SKIP_1) | instid1(TRANS32_DEP_1)
	v_s_exp_f32 s6, s6
	v_nop
	v_ldexp_f32 v5, s6, s30
	s_delay_alu instid0(VALU_DEP_1)
	v_cndmask_b32_e32 v5, 0, v5, vcc_lo
	s_cselect_b32 vcc_lo, -1, 0
	s_xor_b32 s6, s22, 0x80000000
	s_cmp_nlt_f32 s14, 0xc2ce8ed0
	s_fmamk_f32 s6, s14, 0x3fb8aa3b, s6
	v_cndmask_b32_e32 v10, 0x7f800000, v5, vcc_lo
	s_cselect_b32 vcc_lo, -1, 0
	s_delay_alu instid0(SALU_CYCLE_1) | instskip(SKIP_1) | instid1(SALU_CYCLE_2)
	s_fmamk_f32 s6, s14, 0x32a5705f, s6
	s_cmp_ngt_f32 s14, 0x42b17218
	s_add_f32 s6, s39, s6
	s_delay_alu instid0(SALU_CYCLE_3) | instskip(SKIP_1) | instid1(TRANS32_DEP_1)
	v_s_exp_f32 s6, s6
	;; [unrolled: 16-line block ×4, first 2 shown]
	v_nop
	v_ldexp_f32 v5, s6, s34
	s_delay_alu instid0(VALU_DEP_1) | instskip(SKIP_4) | instid1(SALU_CYCLE_3)
	v_cndmask_b32_e32 v5, 0, v5, vcc_lo
	s_cselect_b32 vcc_lo, -1, 0
	s_xor_b32 s6, s25, 0x80000000
	s_cmp_nlt_f32 s17, 0xc2ce8ed0
	s_fmamk_f32 s6, s17, 0x3fb8aa3b, s6
	s_fmamk_f32 s6, s17, 0x32a5705f, s6
	s_delay_alu instid0(SALU_CYCLE_3) | instskip(NEXT) | instid1(SALU_CYCLE_3)
	s_add_f32 s6, s42, s6
	v_s_exp_f32 s6, s6
	s_wait_loadcnt 0x7
	v_pk_fma_f32 v[2:3], v[4:5], v[20:21], v[2:3] op_sel_hi:[0,1,1]
	v_cndmask_b32_e32 v4, 0x7f800000, v5, vcc_lo
	s_delay_alu instid0(TRANS32_DEP_1)
	v_ldexp_f32 v5, s6, s35
	s_cselect_b32 vcc_lo, -1, 0
	s_cmp_ngt_f32 s17, 0x42b17218
	s_wait_loadcnt 0x6
	v_pk_fma_f32 v[2:3], v[6:7], v[22:23], v[2:3] op_sel_hi:[0,1,1]
	v_cndmask_b32_e32 v5, 0, v5, vcc_lo
	s_cselect_b32 vcc_lo, -1, 0
	s_add_co_i32 s4, s4, 8
	s_wait_loadcnt 0x5
	v_pk_fma_f32 v[2:3], v[8:9], v[24:25], v[2:3] op_sel_hi:[0,1,1]
	s_add_co_i32 s5, s5, 64
	v_cndmask_b32_e32 v6, 0x7f800000, v5, vcc_lo
	s_cmp_eq_u32 s2, s4
	s_wait_loadcnt 0x4
	v_pk_fma_f32 v[2:3], v[10:11], v[26:27], v[2:3] op_sel_hi:[0,1,1]
	s_wait_loadcnt 0x3
	s_delay_alu instid0(VALU_DEP_1) | instskip(SKIP_1) | instid1(VALU_DEP_1)
	v_pk_fma_f32 v[2:3], v[12:13], v[28:29], v[2:3] op_sel_hi:[0,1,1]
	s_wait_loadcnt 0x2
	v_pk_fma_f32 v[2:3], v[14:15], v[30:31], v[2:3] op_sel_hi:[0,1,1]
	s_wait_loadcnt 0x1
	s_delay_alu instid0(VALU_DEP_1) | instskip(SKIP_1) | instid1(VALU_DEP_1)
	v_pk_fma_f32 v[2:3], v[4:5], v[32:33], v[2:3] op_sel_hi:[0,1,1]
	s_wait_loadcnt 0x0
	v_pk_fma_f32 v[2:3], v[6:7], v[34:35], v[2:3] op_sel_hi:[0,1,1]
	s_cbranch_scc0 .LBB4_24
; %bb.25:
	s_and_b32 s4, s10, 7
	s_delay_alu instid0(SALU_CYCLE_1)
	s_cmp_eq_u32 s4, 0
	s_cbranch_scc0 .LBB4_28
	s_branch .LBB4_30
.LBB4_26:
	v_mov_b32_e32 v1, 0x7fc00000
	s_branch .LBB4_31
.LBB4_27:
	v_mov_b64_e32 v[2:3], 0
	s_mov_b32 s2, 0
	s_and_b32 s4, s10, 7
	s_delay_alu instid0(SALU_CYCLE_1)
	s_cmp_eq_u32 s4, 0
	s_cbranch_scc1 .LBB4_30
.LBB4_28:
	v_lshl_or_b32 v1, s2, 7, v0
	s_lshl_b32 s2, s2, 3
	s_delay_alu instid0(SALU_CYCLE_1)
	s_add_co_i32 s2, s2, 0
.LBB4_29:                               ; =>This Inner Loop Header: Depth=1
	global_load_b32 v5, v1, s[0:1] scale_offset
	s_wait_xcnt 0x0
	v_dual_mov_b32 v4, s2 :: v_dual_add_nc_u32 v1, 0x80, v1
	ds_load_b64 v[6:7], v4
	s_wait_dscnt 0x0
	v_readfirstlane_b32 s5, v6
	s_sub_f32 s5, s5, s3
	s_delay_alu instid0(SALU_CYCLE_3) | instskip(NEXT) | instid1(SALU_CYCLE_3)
	s_mul_f32 s6, s5, 0x3fb8aa3b
	s_xor_b32 s7, s6, 0x80000000
	s_rndne_f32 s10, s6
	s_fmamk_f32 s7, s5, 0x3fb8aa3b, s7
	s_cmp_nlt_f32 s5, 0xc2ce8ed0
	s_delay_alu instid0(SALU_CYCLE_1) | instskip(NEXT) | instid1(SALU_CYCLE_1)
	s_sub_f32 s6, s6, s10
	s_fmamk_f32 s7, s5, 0x32a5705f, s7
	s_cselect_b32 vcc_lo, -1, 0
	s_cmp_ngt_f32 s5, 0x42b17218
	s_delay_alu instid0(SALU_CYCLE_1) | instskip(SKIP_1) | instid1(SALU_CYCLE_2)
	s_add_f32 s6, s6, s7
	s_cvt_i32_f32 s7, s10
	v_s_exp_f32 s6, s6
	v_nop
	s_delay_alu instid0(TRANS32_DEP_1) | instid1(SALU_CYCLE_1)
	v_ldexp_f32 v4, s6, s7
	s_delay_alu instid0(VALU_DEP_1) | instskip(SKIP_3) | instid1(VALU_DEP_1)
	v_dual_cndmask_b32 v6, 0, v4, vcc_lo :: v_dual_mov_b32 v4, v7
	s_cselect_b32 vcc_lo, -1, 0
	s_add_co_i32 s4, s4, -1
	s_add_co_i32 s2, s2, 8
	v_cndmask_b32_e32 v6, 0x7f800000, v6, vcc_lo
	s_cmp_lg_u32 s4, 0
	s_wait_loadcnt 0x0
	s_delay_alu instid0(VALU_DEP_1)
	v_pk_fma_f32 v[2:3], v[6:7], v[4:5], v[2:3] op_sel_hi:[0,1,1]
	s_cbranch_scc1 .LBB4_29
.LBB4_30:
	s_delay_alu instid0(VALU_DEP_1) | instskip(NEXT) | instid1(VALU_DEP_1)
	v_div_scale_f32 v1, null, v2, v2, v3
	v_rcp_f32_e32 v4, v1
	v_nop
	s_delay_alu instid0(TRANS32_DEP_1) | instskip(NEXT) | instid1(VALU_DEP_1)
	v_fma_f32 v5, -v1, v4, 1.0
	v_fmac_f32_e32 v4, v5, v4
	v_div_scale_f32 v5, vcc_lo, v3, v2, v3
	s_delay_alu instid0(VALU_DEP_1) | instskip(NEXT) | instid1(VALU_DEP_1)
	v_mul_f32_e32 v6, v5, v4
	v_fma_f32 v7, -v1, v6, v5
	s_delay_alu instid0(VALU_DEP_1) | instskip(NEXT) | instid1(VALU_DEP_1)
	v_fmac_f32_e32 v6, v7, v4
	v_fma_f32 v1, -v1, v6, v5
	s_delay_alu instid0(VALU_DEP_1) | instskip(NEXT) | instid1(VALU_DEP_1)
	v_div_fmas_f32 v1, v1, v4, v6
	v_div_fixup_f32 v1, v1, v2, v3
.LBB4_31:
	s_lshl_b32 s0, s11, 7
	s_delay_alu instid0(SALU_CYCLE_1) | instskip(NEXT) | instid1(SALU_CYCLE_1)
	s_ashr_i32 s1, s0, 31
	s_lshl_b64 s[0:1], s[0:1], 2
	s_delay_alu instid0(SALU_CYCLE_1)
	s_add_nc_u64 s[0:1], s[8:9], s[0:1]
	global_store_b32 v0, v1, s[0:1] scale_offset
	s_endpgm
	.section	.rodata,"a",@progbits
	.p2align	6, 0x0
	.amdhsa_kernel _ZL26flash_attn_combine_resultsILi128EEvPKfPK15HIP_vector_typeIfLj2EEPfi
		.amdhsa_group_segment_fixed_size 0
		.amdhsa_private_segment_fixed_size 0
		.amdhsa_kernarg_size 288
		.amdhsa_user_sgpr_count 2
		.amdhsa_user_sgpr_dispatch_ptr 0
		.amdhsa_user_sgpr_queue_ptr 0
		.amdhsa_user_sgpr_kernarg_segment_ptr 1
		.amdhsa_user_sgpr_dispatch_id 0
		.amdhsa_user_sgpr_kernarg_preload_length 0
		.amdhsa_user_sgpr_kernarg_preload_offset 0
		.amdhsa_user_sgpr_private_segment_size 0
		.amdhsa_wavefront_size32 1
		.amdhsa_uses_dynamic_stack 0
		.amdhsa_enable_private_segment 0
		.amdhsa_system_sgpr_workgroup_id_x 1
		.amdhsa_system_sgpr_workgroup_id_y 1
		.amdhsa_system_sgpr_workgroup_id_z 1
		.amdhsa_system_sgpr_workgroup_info 0
		.amdhsa_system_vgpr_workitem_id 0
		.amdhsa_next_free_vgpr 36
		.amdhsa_next_free_sgpr 43
		.amdhsa_named_barrier_count 0
		.amdhsa_reserve_vcc 1
		.amdhsa_float_round_mode_32 0
		.amdhsa_float_round_mode_16_64 0
		.amdhsa_float_denorm_mode_32 3
		.amdhsa_float_denorm_mode_16_64 3
		.amdhsa_fp16_overflow 0
		.amdhsa_memory_ordered 1
		.amdhsa_forward_progress 1
		.amdhsa_inst_pref_size 29
		.amdhsa_round_robin_scheduling 0
		.amdhsa_exception_fp_ieee_invalid_op 0
		.amdhsa_exception_fp_denorm_src 0
		.amdhsa_exception_fp_ieee_div_zero 0
		.amdhsa_exception_fp_ieee_overflow 0
		.amdhsa_exception_fp_ieee_underflow 0
		.amdhsa_exception_fp_ieee_inexact 0
		.amdhsa_exception_int_div_zero 0
	.end_amdhsa_kernel
	.section	.text._ZL26flash_attn_combine_resultsILi128EEvPKfPK15HIP_vector_typeIfLj2EEPfi,"axG",@progbits,_ZL26flash_attn_combine_resultsILi128EEvPKfPK15HIP_vector_typeIfLj2EEPfi,comdat
.Lfunc_end4:
	.size	_ZL26flash_attn_combine_resultsILi128EEvPKfPK15HIP_vector_typeIfLj2EEPfi, .Lfunc_end4-_ZL26flash_attn_combine_resultsILi128EEvPKfPK15HIP_vector_typeIfLj2EEPfi
                                        ; -- End function
	.set _ZL26flash_attn_combine_resultsILi128EEvPKfPK15HIP_vector_typeIfLj2EEPfi.num_vgpr, 36
	.set _ZL26flash_attn_combine_resultsILi128EEvPKfPK15HIP_vector_typeIfLj2EEPfi.num_agpr, 0
	.set _ZL26flash_attn_combine_resultsILi128EEvPKfPK15HIP_vector_typeIfLj2EEPfi.numbered_sgpr, 43
	.set _ZL26flash_attn_combine_resultsILi128EEvPKfPK15HIP_vector_typeIfLj2EEPfi.num_named_barrier, 0
	.set _ZL26flash_attn_combine_resultsILi128EEvPKfPK15HIP_vector_typeIfLj2EEPfi.private_seg_size, 0
	.set _ZL26flash_attn_combine_resultsILi128EEvPKfPK15HIP_vector_typeIfLj2EEPfi.uses_vcc, 1
	.set _ZL26flash_attn_combine_resultsILi128EEvPKfPK15HIP_vector_typeIfLj2EEPfi.uses_flat_scratch, 0
	.set _ZL26flash_attn_combine_resultsILi128EEvPKfPK15HIP_vector_typeIfLj2EEPfi.has_dyn_sized_stack, 0
	.set _ZL26flash_attn_combine_resultsILi128EEvPKfPK15HIP_vector_typeIfLj2EEPfi.has_recursion, 0
	.set _ZL26flash_attn_combine_resultsILi128EEvPKfPK15HIP_vector_typeIfLj2EEPfi.has_indirect_call, 0
	.section	.AMDGPU.csdata,"",@progbits
; Kernel info:
; codeLenInByte = 3596
; TotalNumSgprs: 45
; NumVgprs: 36
; ScratchSize: 0
; MemoryBound: 0
; FloatMode: 240
; IeeeMode: 1
; LDSByteSize: 0 bytes/workgroup (compile time only)
; SGPRBlocks: 0
; VGPRBlocks: 2
; NumSGPRsForWavesPerEU: 45
; NumVGPRsForWavesPerEU: 36
; NamedBarCnt: 0
; Occupancy: 16
; WaveLimiterHint : 0
; COMPUTE_PGM_RSRC2:SCRATCH_EN: 0
; COMPUTE_PGM_RSRC2:USER_SGPR: 2
; COMPUTE_PGM_RSRC2:TRAP_HANDLER: 0
; COMPUTE_PGM_RSRC2:TGID_X_EN: 1
; COMPUTE_PGM_RSRC2:TGID_Y_EN: 1
; COMPUTE_PGM_RSRC2:TGID_Z_EN: 1
; COMPUTE_PGM_RSRC2:TIDIG_COMP_CNT: 0
	.section	.text._ZL15flash_attn_tileILi128ELi128ELi4ELi8ELb0EEvPKcS1_S1_S1_S1_PKiPfP15HIP_vector_typeIfLj2EEffffjfiS5_IjLj3EEiiiiiiiiiiiliiliiiiil,"axG",@progbits,_ZL15flash_attn_tileILi128ELi128ELi4ELi8ELb0EEvPKcS1_S1_S1_S1_PKiPfP15HIP_vector_typeIfLj2EEffffjfiS5_IjLj3EEiiiiiiiiiiiliiliiiiil,comdat
	.globl	_ZL15flash_attn_tileILi128ELi128ELi4ELi8ELb0EEvPKcS1_S1_S1_S1_PKiPfP15HIP_vector_typeIfLj2EEffffjfiS5_IjLj3EEiiiiiiiiiiiliiliiiiil ; -- Begin function _ZL15flash_attn_tileILi128ELi128ELi4ELi8ELb0EEvPKcS1_S1_S1_S1_PKiPfP15HIP_vector_typeIfLj2EEffffjfiS5_IjLj3EEiiiiiiiiiiiliiliiiiil
	.p2align	8
	.type	_ZL15flash_attn_tileILi128ELi128ELi4ELi8ELb0EEvPKcS1_S1_S1_S1_PKiPfP15HIP_vector_typeIfLj2EEffffjfiS5_IjLj3EEiiiiiiiiiiiliiliiiiil,@function
_ZL15flash_attn_tileILi128ELi128ELi4ELi8ELb0EEvPKcS1_S1_S1_S1_PKiPfP15HIP_vector_typeIfLj2EEffffjfiS5_IjLj3EEiiiiiiiiiiiliiliiiiil: ; @_ZL15flash_attn_tileILi128ELi128ELi4ELi8ELb0EEvPKcS1_S1_S1_S1_PKiPfP15HIP_vector_typeIfLj2EEffffjfiS5_IjLj3EEiiiiiiiiiiiliiliiiiil
; %bb.0:
	s_clause 0x1
	s_load_b128 s[28:31], s[0:1], 0x5c
	s_load_b64 s[36:37], s[0:1], 0x80
	s_bfe_u32 s5, ttmp6, 0x40014
	s_lshr_b32 s4, ttmp7, 16
	s_add_co_i32 s5, s5, 1
	s_bfe_u32 s6, ttmp6, 0x40008
	s_mul_i32 s5, s4, s5
	s_getreg_b32 s7, hwreg(HW_REG_IB_STS2, 6, 4)
	s_add_co_i32 s6, s6, s5
	s_load_b512 s[12:27], s[0:1], 0x0
	s_mov_b64 s[38:39], 0
	s_wait_kmcnt 0x0
	s_ashr_i32 s2, s31, 31
	s_delay_alu instid0(SALU_CYCLE_1) | instskip(NEXT) | instid1(SALU_CYCLE_1)
	s_lshr_b32 s2, s2, 29
	s_add_co_i32 s2, s31, s2
	s_delay_alu instid0(SALU_CYCLE_1) | instskip(NEXT) | instid1(SALU_CYCLE_1)
	s_ashr_i32 s2, s2, 3
	s_cvt_f32_u32 s3, s2
	s_sub_co_i32 s8, 0, s2
	s_delay_alu instid0(SALU_CYCLE_2) | instskip(SKIP_1) | instid1(TRANS32_DEP_1)
	v_rcp_iflag_f32_e32 v1, s3
	v_nop
	v_readfirstlane_b32 s3, v1
	s_mul_f32 s3, s3, 0x4f7ffffe
	s_delay_alu instid0(SALU_CYCLE_3) | instskip(NEXT) | instid1(SALU_CYCLE_3)
	s_cvt_u32_f32 s3, s3
	s_mul_i32 s8, s8, s3
	s_delay_alu instid0(SALU_CYCLE_1) | instskip(NEXT) | instid1(SALU_CYCLE_1)
	s_mul_hi_u32 s8, s3, s8
	s_add_co_i32 s3, s3, s8
	s_cmp_eq_u32 s7, 0
	s_cselect_b32 s4, s4, s6
	s_delay_alu instid0(SALU_CYCLE_1) | instskip(NEXT) | instid1(SALU_CYCLE_1)
	s_mul_hi_u32 s3, s4, s3
	s_mul_i32 s5, s3, s2
	s_add_co_i32 s6, s3, 1
	s_sub_co_i32 s5, s4, s5
	s_delay_alu instid0(SALU_CYCLE_1)
	s_sub_co_i32 s8, s5, s2
	s_cmp_ge_u32 s5, s2
	s_cselect_b32 s3, s6, s3
	s_cselect_b32 s5, s8, s5
	s_add_co_i32 s6, s3, 1
	s_cmp_ge_u32 s5, s2
	s_cselect_b32 s34, s6, s3
	s_abs_i32 s2, s37
	s_abs_i32 s8, s31
	s_cvt_f32_u32 s3, s2
	s_sub_co_i32 s5, 0, s2
	s_lshl_b32 s4, s4, 3
	s_mul_i32 s6, s34, s31
	v_rcp_iflag_f32_e32 v1, s3
	s_sub_co_i32 s46, s4, s6
	s_xor_b32 s4, s31, s37
	s_delay_alu instid0(SALU_CYCLE_1) | instskip(SKIP_1) | instid1(TRANS32_DEP_1)
	s_ashr_i32 s4, s4, 31
	v_nop
	v_readfirstlane_b32 s3, v1
	s_mul_f32 s3, s3, 0x4f7ffffe
	s_delay_alu instid0(SALU_CYCLE_3) | instskip(NEXT) | instid1(SALU_CYCLE_3)
	s_cvt_u32_f32 s3, s3
	s_mul_i32 s5, s5, s3
	s_delay_alu instid0(SALU_CYCLE_1) | instskip(NEXT) | instid1(SALU_CYCLE_1)
	s_mul_hi_u32 s5, s3, s5
	s_add_co_i32 s3, s3, s5
	s_delay_alu instid0(SALU_CYCLE_1) | instskip(NEXT) | instid1(SALU_CYCLE_1)
	s_mul_hi_u32 s3, s8, s3
	s_mul_i32 s5, s3, s2
	s_add_co_i32 s6, s3, 1
	s_sub_co_i32 s5, s8, s5
	s_delay_alu instid0(SALU_CYCLE_1)
	s_sub_co_i32 s8, s5, s2
	s_cmp_ge_u32 s5, s2
	s_cselect_b32 s3, s6, s3
	s_cselect_b32 s5, s8, s5
	s_add_co_i32 s6, s3, 1
	s_cmp_ge_u32 s5, s2
	s_load_b64 s[8:9], s[0:1], 0xb8
	s_cselect_b32 s2, s6, s3
	s_mov_b32 s3, 0
	s_xor_b32 s2, s2, s4
	s_delay_alu instid0(SALU_CYCLE_1) | instskip(NEXT) | instid1(SALU_CYCLE_1)
	s_sub_co_i32 s35, s2, s4
	s_abs_i32 s37, s35
	s_cmp_eq_u64 s[18:19], 0
	s_cvt_f32_u32 s2, s37
	s_delay_alu instid0(SALU_CYCLE_3) | instskip(SKIP_1) | instid1(TRANS32_DEP_1)
	v_rcp_iflag_f32_e32 v1, s2
	v_nop
	v_readfirstlane_b32 s2, v1
	s_cbranch_scc1 .LBB5_2
; %bb.1:
	s_wait_kmcnt 0x0
	s_abs_i32 s6, s8
	s_abs_i32 s8, s34
	s_cvt_f32_u32 s4, s6
	s_sub_co_i32 s5, 0, s6
	s_delay_alu instid0(SALU_CYCLE_2) | instskip(SKIP_1) | instid1(TRANS32_DEP_1)
	v_rcp_iflag_f32_e32 v1, s4
	v_nop
	v_readfirstlane_b32 s4, v1
	s_mul_f32 s4, s4, 0x4f7ffffe
	s_delay_alu instid0(SALU_CYCLE_3) | instskip(NEXT) | instid1(SALU_CYCLE_3)
	s_cvt_u32_f32 s4, s4
	s_mul_i32 s5, s5, s4
	s_delay_alu instid0(SALU_CYCLE_1) | instskip(NEXT) | instid1(SALU_CYCLE_1)
	s_mul_hi_u32 s5, s4, s5
	s_add_co_i32 s4, s4, s5
	s_delay_alu instid0(SALU_CYCLE_1) | instskip(SKIP_2) | instid1(SALU_CYCLE_1)
	s_mul_hi_u32 s10, s8, s4
	s_load_b64 s[4:5], s[0:1], 0xc8
	s_mul_i32 s10, s10, s6
	s_sub_co_i32 s8, s8, s10
	s_ashr_i32 s10, s34, 31
	s_sub_co_i32 s11, s8, s6
	s_cmp_ge_u32 s8, s6
	s_cselect_b32 s8, s11, s8
	s_delay_alu instid0(SALU_CYCLE_1) | instskip(SKIP_2) | instid1(SALU_CYCLE_1)
	s_sub_co_i32 s11, s8, s6
	s_cmp_ge_u32 s8, s6
	s_cselect_b32 s6, s11, s8
	s_xor_b32 s6, s6, s10
	s_delay_alu instid0(SALU_CYCLE_1) | instskip(NEXT) | instid1(SALU_CYCLE_1)
	s_sub_co_i32 s10, s6, s10
	s_ashr_i32 s11, s10, 31
	s_wait_kmcnt 0x0
	s_mul_u64 s[4:5], s[4:5], s[10:11]
	s_delay_alu instid0(SALU_CYCLE_1)
	s_add_nc_u64 s[38:39], s[18:19], s[4:5]
.LBB5_2:
	s_bfe_u32 s4, ttmp6, 0x4000c
	v_dual_lshrrev_b32 v1, 10, v0 :: v_dual_mov_b32 v3, 0
	s_add_co_i32 s4, s4, 1
	s_and_b32 s5, ttmp6, 15
	s_mul_i32 s4, ttmp9, s4
	s_delay_alu instid0(VALU_DEP_1)
	v_bfe_u32 v1, v1, 1, 9
	s_add_co_i32 s5, s5, s4
	s_cmp_eq_u32 s7, 0
	v_dual_mov_b32 v9, v3 :: v_dual_mov_b32 v13, v3
	s_wait_kmcnt 0x0
	s_cselect_b32 s8, ttmp9, s5
	s_load_b96 s[4:6], s[0:1], 0x70
	v_lshl_add_u32 v64, s8, 2, v1
	v_and_b32_e32 v65, 0x3ff, v0
	v_dual_mov_b32 v15, v3 :: v_dual_mov_b32 v17, v3
	v_mov_b32_e32 v25, v3
	s_delay_alu instid0(VALU_DEP_4) | instskip(NEXT) | instid1(VALU_DEP_4)
	v_mul_hi_u32 v1, s28, v64
	v_dual_lshlrev_b32 v16, 4, v65 :: v_dual_lshlrev_b32 v66, 3, v65
	s_delay_alu instid0(VALU_DEP_2) | instskip(SKIP_3) | instid1(VALU_DEP_1)
	v_add_nc_u32_e32 v1, v64, v1
	s_wait_kmcnt 0x0
	s_mul_i32 s10, s46, s5
	s_ashr_i32 s19, s5, 31
	v_lshrrev_b32_e32 v1, s29, v1
	s_mov_b32 s18, s5
	s_ashr_i32 s5, s4, 31
	s_ashr_i32 s11, s10, 31
	s_lshr_b64 s[4:5], s[4:5], 2
	v_mul_lo_u32 v1, v1, s30
	s_delay_alu instid0(VALU_DEP_1) | instskip(SKIP_1) | instid1(VALU_DEP_1)
	v_sub_nc_u32_e32 v2, v64, v1
	v_bfe_u32 v1, v0, 10, 10
	v_lshlrev_b32_e32 v4, 2, v1
	s_delay_alu instid0(VALU_DEP_3) | instskip(SKIP_2) | instid1(VALU_DEP_2)
	v_mul_u64_e32 v[6:7], s[4:5], v[2:3]
	s_lshr_b64 s[4:5], s[18:19], 2
	s_mul_i32 s18, s34, s6
	v_dual_lshlrev_b32 v0, 10, v1 :: v_dual_bitop2_b32 v5, 1, v4 bitop3:0x54
	v_and_b32_e32 v24, 4, v4
	v_bitop3_b32 v8, v4, 5, 1 bitop3:0xc8
	v_bitop3_b32 v12, v4, 6, 2 bitop3:0xc8
	;; [unrolled: 1-line block ×3, first 2 shown]
	s_ashr_i32 s19, s18, 31
	v_mul_u64_e32 v[10:11], s[4:5], v[24:25]
	v_mul_u64_e32 v[8:9], s[4:5], v[8:9]
	v_mul_u64_e32 v[12:13], s[4:5], v[12:13]
	v_mul_u64_e32 v[14:15], s[4:5], v[14:15]
	s_add_nc_u64 s[4:5], s[12:13], s[18:19]
	v_add_nc_u32_e32 v3, 0x6800, v66
	s_add_nc_u64 s[4:5], s[4:5], s[10:11]
	s_cmp_eq_u64 s[22:23], 0
	s_delay_alu instid0(VALU_DEP_1) | instskip(SKIP_2) | instid1(VALU_DEP_1)
	v_lshl_add_u32 v5, v5, 8, v3
	v_lshl_add_u64 v[6:7], v[6:7], 2, s[4:5]
	s_load_b32 s4, s[0:1], 0x40
	v_add_nc_u64_e32 v[16:17], v[6:7], v[16:17]
	s_delay_alu instid0(VALU_DEP_1)
	v_lshl_add_u64 v[6:7], v[10:11], 2, v[16:17]
	v_lshl_add_u64 v[10:11], v[8:9], 2, v[16:17]
	;; [unrolled: 1-line block ×4, first 2 shown]
	s_clause 0x3
	global_load_b128 v[6:9], v[6:7], off
	global_load_b128 v[10:13], v[10:11], off
	;; [unrolled: 1-line block ×4, first 2 shown]
	s_wait_loadcnt 0x3
	s_wait_kmcnt 0x0
	v_fma_mixlo_f16 v6, s4, v6, 0
	v_fma_mixlo_f16 v7, s4, v7, 0
	;; [unrolled: 1-line block ×4, first 2 shown]
	s_wait_loadcnt 0x2
	s_wait_xcnt 0x2
	v_fma_mixlo_f16 v10, s4, v10, 0
	v_fma_mixlo_f16 v11, s4, v11, 0
	;; [unrolled: 1-line block ×3, first 2 shown]
	s_wait_loadcnt 0x1
	v_fma_mixlo_f16 v14, s4, v14, 0
	v_fma_mixlo_f16 v15, s4, v15, 0
	;; [unrolled: 1-line block ×4, first 2 shown]
	s_wait_loadcnt 0x0
	v_fma_mixlo_f16 v18, s4, v18, 0
	v_fma_mixlo_f16 v19, s4, v19, 0
	v_dual_lshlrev_b32 v7, 16, v7 :: v_dual_bitop2_b32 v22, 2, v4 bitop3:0x54
	v_fma_mixlo_f16 v21, s4, v21, 0
	v_and_b32_e32 v6, 0xffff, v6
	v_dual_lshlrev_b32 v9, 16, v9 :: v_dual_bitop2_b32 v23, 3, v4 bitop3:0x54
	v_dual_add_nc_u32 v25, v3, v0 :: v_dual_lshlrev_b32 v11, 16, v11
	v_and_b32_e32 v8, 0xffff, v8
	v_and_b32_e32 v10, 0xffff, v10
	v_fma_mixlo_f16 v16, s4, v16, 0
	v_dual_lshlrev_b32 v13, 16, v13 :: v_dual_lshlrev_b32 v15, 16, v15
	v_and_b32_e32 v14, 0xffff, v14
	v_fma_mixlo_f16 v20, s4, v20, 0
	v_and_b32_e32 v12, 0xffff, v12
	v_dual_lshlrev_b32 v17, 16, v17 :: v_dual_lshlrev_b32 v19, 16, v19
	v_and_b32_e32 v18, 0xffff, v18
	v_dual_lshlrev_b32 v21, 16, v21 :: v_dual_bitop2_b32 v6, v7, v6 bitop3:0x54
	v_or3_b32 v7, v9, v8, 0
	v_or_b32_e32 v8, v11, v10
	v_and_b32_e32 v16, 0xffff, v16
	v_or_b32_e32 v10, v15, v14
	v_and_b32_e32 v20, 0xffff, v20
	v_or3_b32 v9, v13, v12, 0
	v_or_b32_e32 v12, v19, v18
	v_or3_b32 v6, 0, 0, v6
	v_or3_b32 v8, 0, 0, v8
	v_lshl_add_u32 v22, v22, 8, v3
	v_or3_b32 v11, v17, v16, 0
	v_or3_b32 v10, 0, 0, v10
	v_lshl_add_u32 v3, v23, 8, v3
	v_or3_b32 v13, v21, v20, 0
	v_or3_b32 v12, 0, 0, v12
	ds_store_b64 v25, v[6:7]
	ds_store_b64 v5, v[8:9]
	;; [unrolled: 1-line block ×4, first 2 shown]
	s_wait_dscnt 0x0
	s_barrier_signal -1
	s_barrier_wait -1
	s_cbranch_scc1 .LBB5_4
; %bb.3:
	s_load_b32 s4, s[0:1], 0xd0
	s_wait_kmcnt 0x0
	s_mul_i32 s4, s4, s34
	s_delay_alu instid0(SALU_CYCLE_1)
	s_add_co_i32 s4, s4, s8
	s_load_b32 s36, s[22:23], s4 offset:0x0 scale_offset
.LBB5_4:
	s_wait_xcnt 0x0
	s_bfe_u32 s4, ttmp6, 0x40010
	s_and_b32 s5, ttmp7, 0xffff
	s_add_co_i32 s4, s4, 1
	s_bfe_u32 s6, ttmp6, 0x40004
	s_mul_i32 s4, s5, s4
	v_mbcnt_lo_u32_b32 v67, -1, 0
	s_add_co_i32 s6, s6, s4
	s_cmp_eq_u32 s7, 0
	s_mov_b32 s4, 0
	s_cselect_b32 s33, s5, s6
	s_delay_alu instid0(SALU_CYCLE_1)
	s_lshl_b32 s18, s33, 7
	s_wait_kmcnt 0x0
	s_cmp_lt_i32 s18, s36
	s_cbranch_scc1 .LBB5_7
; %bb.5:
	v_mbcnt_lo_u32_b32 v5, -1, 0
	s_delay_alu instid0(VALU_DEP_1)
	v_dual_mov_b32 v68, 32 :: v_dual_bitop2_b32 v73, 16, v5 bitop3:0x14
	v_xor_b32_e32 v72, 8, v5
	v_xor_b32_e32 v71, 4, v5
	;; [unrolled: 1-line block ×4, first 2 shown]
	v_lshlrev_b32_e32 v25, 2, v65
	s_and_not1_b32 vcc_lo, exec_lo, s4
	s_cbranch_vccz .LBB5_8
; %bb.6:
	v_dual_mov_b32 v100, 0 :: v_dual_mov_b32 v29, 0
	v_dual_mov_b32 v3, 0xfeffffff :: v_dual_mov_b32 v2, 0xfeffffff
	;; [unrolled: 1-line block ×3, first 2 shown]
	s_delay_alu instid0(VALU_DEP_3)
	v_dual_mov_b32 v28, v29 :: v_dual_mov_b32 v31, v29
	v_dual_mov_b32 v30, v29 :: v_dual_mov_b32 v101, 0
	;; [unrolled: 1-line block ×5, first 2 shown]
	s_branch .LBB5_11
.LBB5_7:
                                        ; implicit-def: $vgpr5
                                        ; implicit-def: $vgpr68
                                        ; implicit-def: $vgpr73
                                        ; implicit-def: $vgpr72
                                        ; implicit-def: $vgpr71
                                        ; implicit-def: $vgpr70
                                        ; implicit-def: $vgpr69
	v_lshlrev_b32_e32 v25, 2, v65
.LBB5_8:
	s_clause 0x1
	s_load_b64 s[10:11], s[0:1], 0x8c
	s_load_b128 s[4:7], s[0:1], 0x98
	s_mul_f32 s2, s2, 0x4f7ffffe
	s_sub_co_i32 s8, 0, s37
	s_mov_b32 s13, s3
	s_ashr_i32 s23, s9, 1
	s_cvt_u32_f32 s12, s2
	s_abs_i32 s2, s46
	s_ashr_i32 s19, s46, 31
	s_ashr_i32 s22, s35, 31
	s_mul_i32 s8, s8, s12
	s_ashr_i32 s35, s34, 31
	s_mul_hi_u32 s8, s12, s8
	v_dual_lshrrev_b32 v3, 3, v65 :: v_dual_lshrrev_b32 v5, 4, v65
	s_add_co_i32 s12, s12, s8
	v_mad_u32 v81, v2, s23, v65
	s_mul_u64 s[8:9], s[2:3], s[12:13]
	s_xor_b32 s8, s19, s22
	s_mul_i32 s3, s9, s37
	s_add_co_i32 s12, s9, 1
	s_sub_co_i32 s13, s2, s3
	s_wait_kmcnt 0x0
	s_ashr_i32 s22, s6, 2
	s_ashr_i32 s28, s10, 2
	s_sub_co_i32 s6, s13, s37
	s_cmp_ge_u32 s13, s37
	v_dual_add_nc_u32 v3, v3, v4 :: v_dual_bitop2_b32 v4, 28, v25 bitop3:0x40
	s_cselect_b32 s9, s12, s9
	s_cselect_b32 s6, s6, s13
	s_add_co_i32 s10, s9, 1
	s_cmp_ge_u32 s6, s37
	s_load_b64 s[2:3], s[0:1], 0xa8
	s_cselect_b32 s6, s10, s9
	v_mul_lo_u32 v26, s28, v3
	s_xor_b32 s6, s6, s8
	s_mul_u64 s[4:5], s[4:5], s[34:35]
	s_sub_co_i32 s6, s6, s8
	s_add_nc_u64 s[4:5], s[14:15], s[4:5]
	s_mul_i32 s8, s6, s11
	v_lshl_add_u32 v1, v1, 1, v5
	s_ashr_i32 s9, s8, 31
	v_mul_u32_u24_e32 v79, 0x90, v65
	s_add_nc_u64 s[40:41], s[4:5], s[8:9]
	s_mul_i32 s4, s6, s7
	s_lshl_b32 s6, s28, 5
	s_delay_alu instid0(SALU_CYCLE_1) | instskip(SKIP_3) | instid1(VALU_DEP_3)
	v_dual_lshlrev_b32 v6, 2, v4 :: v_dual_add_nc_u32 v32, s6, v26
	v_mov_b32_e32 v35, 0
	s_ashr_i32 s5, s4, 31
	v_ashrrev_i32_e32 v27, 31, v26
	v_mad_u32_u24 v74, 0x90, v3, v6
	v_mul_lo_u32 v6, s22, v1
	s_wait_kmcnt 0x0
	s_mul_u64 s[2:3], s[2:3], s[34:35]
	v_add_nc_u32_e32 v36, s6, v32
	s_add_nc_u64 s[2:3], s[16:17], s[2:3]
	v_and_b32_e32 v8, 60, v25
	s_add_nc_u64 s[42:43], s[2:3], s[4:5]
	s_lshl_b32 s2, s22, 4
	v_dual_ashrrev_i32 v37, 31, v36 :: v_dual_add_nc_u32 v38, s6, v36
	s_delay_alu instid0(VALU_DEP_2) | instskip(SKIP_2) | instid1(VALU_DEP_4)
	v_lshlrev_b32_e32 v3, 2, v8
	v_dual_mov_b32 v31, v35 :: v_dual_add_nc_u32 v82, 0x4800, v0
	v_add_nc_u32_e32 v10, s2, v6
	v_ashrrev_i32_e32 v39, 31, v38
	s_delay_alu instid0(VALU_DEP_4) | instskip(SKIP_1) | instid1(VALU_DEP_4)
	v_lshl_or_b32 v80, v1, 8, v3
	v_dual_mov_b32 v68, 32 :: v_dual_add_nc_u32 v75, 0x1200, v74
	v_dual_add_nc_u32 v12, s2, v10 :: v_dual_ashrrev_i32 v11, 31, v10
	v_dual_ashrrev_i32 v7, 31, v6 :: v_dual_ashrrev_i32 v33, 31, v32
	v_dual_mov_b32 v43, v35 :: v_dual_add_nc_u32 v76, 0x2400, v74
	s_delay_alu instid0(VALU_DEP_3) | instskip(NEXT) | instid1(VALU_DEP_3)
	v_dual_add_nc_u32 v2, s2, v12 :: v_dual_ashrrev_i32 v13, 31, v12
	v_lshlrev_b64_e32 v[40:41], 2, v[6:7]
	v_lshlrev_b64_e32 v[44:45], 2, v[10:11]
	v_dual_mov_b32 v94, v35 :: v_dual_add_nc_u32 v77, 0x3600, v74
	s_delay_alu instid0(VALU_DEP_4) | instskip(SKIP_3) | instid1(VALU_DEP_4)
	v_ashrrev_i32_e32 v3, 31, v2
	v_lshlrev_b64_e32 v[46:47], 2, v[12:13]
	v_dual_mov_b32 v95, v35 :: v_dual_add_nc_u32 v78, 0x6800, v0
	v_dual_mov_b32 v30, v35 :: v_dual_add_nc_u32 v83, 0x1000, v80
	v_lshlrev_b64_e32 v[48:49], 2, v[2:3]
	v_dual_mov_b32 v29, v35 :: v_dual_add_nc_u32 v84, 0x2000, v80
	v_dual_mov_b32 v28, v35 :: v_dual_add_nc_u32 v85, 0x3000, v80
	v_dual_mov_b32 v0, 0xfeffffff :: v_dual_mov_b32 v1, 0xfeffffff
	v_dual_lshlrev_b32 v34, 2, v4 :: v_dual_bitop2_b32 v73, 16, v67 bitop3:0x14
	v_dual_add_nc_u32 v86, v82, v66 :: v_dual_bitop2_b32 v72, 8, v67 bitop3:0x14
	v_dual_lshlrev_b32 v42, 2, v8 :: v_dual_bitop2_b32 v71, 4, v67 bitop3:0x14
	v_dual_mov_b32 v96, v35 :: v_dual_bitop2_b32 v70, 2, v67 bitop3:0x14
	v_dual_mov_b32 v97, v35 :: v_dual_bitop2_b32 v69, 1, v67 bitop3:0x14
	v_dual_mov_b32 v98, v35 :: v_dual_add_nc_u32 v87, 0x800, v66
	v_dual_mov_b32 v99, v35 :: v_dual_add_nc_u32 v88, 0x1000, v66
	;; [unrolled: 1-line block ×4, first 2 shown]
	v_add_nc_u32_e32 v91, 0x2800, v66
	v_add_nc_u32_e32 v92, 0x3000, v66
	;; [unrolled: 1-line block ×3, first 2 shown]
	v_dual_mov_b32 v2, 0xfeffffff :: v_dual_mov_b32 v3, 0xfeffffff
	s_ashr_i32 s29, s28, 31
	s_ashr_i32 s23, s22, 31
	s_add_nc_u64 s[44:45], s[0:1], 0xd0
.LBB5_9:                                ; =>This Inner Loop Header: Depth=1
	v_cmp_gt_i32_e64 s2, 32, v73
	s_ashr_i32 s19, s18, 31
	v_cmp_gt_i32_e32 vcc_lo, 32, v69
	v_dual_mov_b32 v103, v1 :: v_dual_mov_b32 v102, v0
	v_cndmask_b32_e64 v62, v67, v73, s2
	v_cmp_gt_i32_e64 s2, 32, v72
	v_dual_mov_b32 v105, v3 :: v_dual_add_nc_u32 v106, s18, v81
	v_dual_mov_b32 v104, v2 :: v_dual_mov_b32 v112, 0
	s_delay_alu instid0(VALU_DEP_3) | instskip(SKIP_3) | instid1(VALU_DEP_3)
	v_dual_mov_b32 v113, 0 :: v_dual_cndmask_b32 v63, v67, v72, s2
	v_cmp_gt_i32_e64 s2, 32, v71
	v_dual_mov_b32 v114, 0 :: v_dual_mov_b32 v115, 0
	v_dual_mov_b32 v116, 0 :: v_dual_mov_b32 v117, 0
	v_cndmask_b32_e64 v107, v67, v71, s2
	v_cmp_gt_i32_e64 s2, 32, v70
	v_dual_mov_b32 v118, 0 :: v_dual_mov_b32 v119, 0
	v_dual_mov_b32 v120, 0 :: v_dual_mov_b32 v121, 0
	s_delay_alu instid0(VALU_DEP_3)
	v_cndmask_b32_e64 v132, v67, v70, s2
	s_mul_u64 s[2:3], s[18:19], s[28:29]
	v_dual_mov_b32 v122, 0 :: v_dual_mov_b32 v123, 0
	s_lshl_b64 s[2:3], s[2:3], 2
	v_dual_mov_b32 v124, 0 :: v_dual_mov_b32 v125, 0
	s_add_nc_u64 s[2:3], s[40:41], s[2:3]
	v_dual_mov_b32 v126, 0 :: v_dual_mov_b32 v127, 0
	v_lshl_add_u64 v[0:1], v[26:27], 2, s[2:3]
	v_lshl_add_u64 v[2:3], v[32:33], 2, s[2:3]
	;; [unrolled: 1-line block ×4, first 2 shown]
	s_mul_u64 s[2:3], s[18:19], s[22:23]
	v_add_nc_u64_e32 v[50:51], v[0:1], v[34:35]
	v_add_nc_u64_e32 v[52:53], v[2:3], v[34:35]
	;; [unrolled: 1-line block ×4, first 2 shown]
	s_clause 0x3
	global_load_b128 v[0:3], v[50:51], off
	global_load_b128 v[4:7], v[52:53], off
	;; [unrolled: 1-line block ×4, first 2 shown]
	s_lshl_b64 s[2:3], s[2:3], 2
	s_wait_loadcnt 0x3
	ds_store_b128 v74, v[0:3]
	s_wait_loadcnt 0x2
	ds_store_b128 v75, v[4:7]
	;; [unrolled: 2-line block ×4, first 2 shown]
	s_wait_dscnt 0x0
	s_barrier_signal -1
	s_barrier_wait -1
	ds_load_b128 v[0:3], v79
	ds_load_b128 v[4:7], v78
	ds_load_b128 v[8:11], v78 offset:256
	ds_load_b128 v[12:15], v78 offset:512
	;; [unrolled: 1-line block ×6, first 2 shown]
	s_wait_dscnt 0x6
	;;#ASMSTART
	v_dot2_f32_f16 v112, v0, v4, v112
	;;#ASMEND
	;;#ASMSTART
	v_dot2_f32_f16 v112, v1, v5, v112
	;;#ASMEND
	;;#ASMSTART
	v_dot2_f32_f16 v112, v2, v6, v112
	;;#ASMEND
	;;#ASMSTART
	v_dot2_f32_f16 v112, v3, v7, v112
	;;#ASMEND
	s_wait_dscnt 0x5
	;;#ASMSTART
	v_dot2_f32_f16 v113, v0, v8, v113
	;;#ASMEND
	;;#ASMSTART
	v_dot2_f32_f16 v113, v1, v9, v113
	;;#ASMEND
	;;#ASMSTART
	v_dot2_f32_f16 v113, v2, v10, v113
	;;#ASMEND
	;;#ASMSTART
	v_dot2_f32_f16 v113, v3, v11, v113
	;;#ASMEND
	;; [unrolled: 13-line block ×5, first 2 shown]
	;;#ASMSTART
	v_dot2_f32_f16 v117, v20, v8, v117
	;;#ASMEND
	;;#ASMSTART
	v_dot2_f32_f16 v117, v21, v9, v117
	;;#ASMEND
	;; [unrolled: 3-line block ×12, first 2 shown]
	s_wait_dscnt 0x1
	;;#ASMSTART
	v_dot2_f32_f16 v120, v58, v4, v120
	;;#ASMEND
	;;#ASMSTART
	v_dot2_f32_f16 v120, v59, v5, v120
	;;#ASMEND
	;; [unrolled: 3-line block ×16, first 2 shown]
	s_wait_dscnt 0x0
	;;#ASMSTART
	v_dot2_f32_f16 v124, v108, v4, v124
	;;#ASMEND
	;;#ASMSTART
	v_dot2_f32_f16 v124, v109, v5, v124
	;;#ASMEND
	;; [unrolled: 3-line block ×16, first 2 shown]
	ds_load_b128 v[0:3], v79 offset:16
	ds_load_b128 v[4:7], v78 offset:16
	ds_load_b128 v[8:11], v78 offset:272
	ds_load_b128 v[12:15], v78 offset:528
	ds_load_b128 v[16:19], v78 offset:784
	ds_load_b128 v[20:23], v79 offset:4624
	ds_load_b128 v[58:61], v79 offset:9232
	ds_load_b128 v[108:111], v79 offset:13840
	s_wait_dscnt 0x6
	;;#ASMSTART
	v_dot2_f32_f16 v112, v0, v4, v112
	;;#ASMEND
	;;#ASMSTART
	v_dot2_f32_f16 v112, v1, v5, v112
	;;#ASMEND
	;;#ASMSTART
	v_dot2_f32_f16 v112, v2, v6, v112
	;;#ASMEND
	;;#ASMSTART
	v_dot2_f32_f16 v112, v3, v7, v112
	;;#ASMEND
	s_wait_dscnt 0x5
	;;#ASMSTART
	v_dot2_f32_f16 v113, v0, v8, v113
	;;#ASMEND
	;;#ASMSTART
	v_dot2_f32_f16 v113, v1, v9, v113
	;;#ASMEND
	;;#ASMSTART
	v_dot2_f32_f16 v113, v2, v10, v113
	;;#ASMEND
	;;#ASMSTART
	v_dot2_f32_f16 v113, v3, v11, v113
	;;#ASMEND
	s_wait_dscnt 0x4
	;;#ASMSTART
	v_dot2_f32_f16 v114, v0, v12, v114
	;;#ASMEND
	;;#ASMSTART
	v_dot2_f32_f16 v114, v1, v13, v114
	;;#ASMEND
	;;#ASMSTART
	v_dot2_f32_f16 v114, v2, v14, v114
	;;#ASMEND
	;;#ASMSTART
	v_dot2_f32_f16 v114, v3, v15, v114
	;;#ASMEND
	s_wait_dscnt 0x3
	;;#ASMSTART
	v_dot2_f32_f16 v115, v0, v16, v115
	;;#ASMEND
	;;#ASMSTART
	v_dot2_f32_f16 v115, v1, v17, v115
	;;#ASMEND
	;;#ASMSTART
	v_dot2_f32_f16 v115, v2, v18, v115
	;;#ASMEND
	;;#ASMSTART
	v_dot2_f32_f16 v115, v3, v19, v115
	;;#ASMEND
	s_wait_dscnt 0x2
	;;#ASMSTART
	v_dot2_f32_f16 v116, v20, v4, v116
	;;#ASMEND
	;;#ASMSTART
	v_dot2_f32_f16 v116, v21, v5, v116
	;;#ASMEND
	;;#ASMSTART
	v_dot2_f32_f16 v116, v22, v6, v116
	;;#ASMEND
	;;#ASMSTART
	v_dot2_f32_f16 v116, v23, v7, v116
	;;#ASMEND
	;;#ASMSTART
	v_dot2_f32_f16 v117, v20, v8, v117
	;;#ASMEND
	;;#ASMSTART
	v_dot2_f32_f16 v117, v21, v9, v117
	;;#ASMEND
	;; [unrolled: 3-line block ×12, first 2 shown]
	s_wait_dscnt 0x1
	;;#ASMSTART
	v_dot2_f32_f16 v120, v58, v4, v120
	;;#ASMEND
	;;#ASMSTART
	v_dot2_f32_f16 v120, v59, v5, v120
	;;#ASMEND
	;; [unrolled: 3-line block ×16, first 2 shown]
	s_wait_dscnt 0x0
	;;#ASMSTART
	v_dot2_f32_f16 v124, v108, v4, v124
	;;#ASMEND
	;;#ASMSTART
	v_dot2_f32_f16 v124, v109, v5, v124
	;;#ASMEND
	;; [unrolled: 3-line block ×16, first 2 shown]
	ds_load_b128 v[0:3], v79 offset:32
	ds_load_b128 v[4:7], v78 offset:32
	;; [unrolled: 1-line block ×8, first 2 shown]
	s_wait_dscnt 0x6
	;;#ASMSTART
	v_dot2_f32_f16 v112, v0, v4, v112
	;;#ASMEND
	;;#ASMSTART
	v_dot2_f32_f16 v112, v1, v5, v112
	;;#ASMEND
	;;#ASMSTART
	v_dot2_f32_f16 v112, v2, v6, v112
	;;#ASMEND
	;;#ASMSTART
	v_dot2_f32_f16 v112, v3, v7, v112
	;;#ASMEND
	s_wait_dscnt 0x5
	;;#ASMSTART
	v_dot2_f32_f16 v113, v0, v8, v113
	;;#ASMEND
	;;#ASMSTART
	v_dot2_f32_f16 v113, v1, v9, v113
	;;#ASMEND
	;;#ASMSTART
	v_dot2_f32_f16 v113, v2, v10, v113
	;;#ASMEND
	;;#ASMSTART
	v_dot2_f32_f16 v113, v3, v11, v113
	;;#ASMEND
	;; [unrolled: 13-line block ×5, first 2 shown]
	;;#ASMSTART
	v_dot2_f32_f16 v117, v20, v8, v117
	;;#ASMEND
	;;#ASMSTART
	v_dot2_f32_f16 v117, v21, v9, v117
	;;#ASMEND
	;; [unrolled: 3-line block ×12, first 2 shown]
	s_wait_dscnt 0x1
	;;#ASMSTART
	v_dot2_f32_f16 v120, v58, v4, v120
	;;#ASMEND
	;;#ASMSTART
	v_dot2_f32_f16 v120, v59, v5, v120
	;;#ASMEND
	;; [unrolled: 3-line block ×16, first 2 shown]
	s_wait_dscnt 0x0
	;;#ASMSTART
	v_dot2_f32_f16 v124, v108, v4, v124
	;;#ASMEND
	;;#ASMSTART
	v_dot2_f32_f16 v124, v109, v5, v124
	;;#ASMEND
	;; [unrolled: 3-line block ×16, first 2 shown]
	ds_load_b128 v[0:3], v79 offset:48
	ds_load_b128 v[4:7], v78 offset:48
	;; [unrolled: 1-line block ×8, first 2 shown]
	s_wait_dscnt 0x6
	;;#ASMSTART
	v_dot2_f32_f16 v112, v0, v4, v112
	;;#ASMEND
	;;#ASMSTART
	v_dot2_f32_f16 v112, v1, v5, v112
	;;#ASMEND
	;;#ASMSTART
	v_dot2_f32_f16 v112, v2, v6, v112
	;;#ASMEND
	;;#ASMSTART
	v_dot2_f32_f16 v112, v3, v7, v112
	;;#ASMEND
	s_wait_dscnt 0x5
	;;#ASMSTART
	v_dot2_f32_f16 v113, v0, v8, v113
	;;#ASMEND
	;;#ASMSTART
	v_dot2_f32_f16 v113, v1, v9, v113
	;;#ASMEND
	;;#ASMSTART
	v_dot2_f32_f16 v113, v2, v10, v113
	;;#ASMEND
	;;#ASMSTART
	v_dot2_f32_f16 v113, v3, v11, v113
	;;#ASMEND
	;; [unrolled: 13-line block ×5, first 2 shown]
	;;#ASMSTART
	v_dot2_f32_f16 v117, v20, v8, v117
	;;#ASMEND
	;;#ASMSTART
	v_dot2_f32_f16 v117, v21, v9, v117
	;;#ASMEND
	;; [unrolled: 3-line block ×12, first 2 shown]
	s_wait_dscnt 0x1
	;;#ASMSTART
	v_dot2_f32_f16 v120, v58, v4, v120
	;;#ASMEND
	;;#ASMSTART
	v_dot2_f32_f16 v120, v59, v5, v120
	;;#ASMEND
	;; [unrolled: 3-line block ×16, first 2 shown]
	s_wait_dscnt 0x0
	;;#ASMSTART
	v_dot2_f32_f16 v124, v108, v4, v124
	;;#ASMEND
	;;#ASMSTART
	v_dot2_f32_f16 v124, v109, v5, v124
	;;#ASMEND
	;; [unrolled: 3-line block ×16, first 2 shown]
	ds_load_b128 v[0:3], v79 offset:64
	ds_load_b128 v[4:7], v78 offset:64
	;; [unrolled: 1-line block ×8, first 2 shown]
	s_wait_dscnt 0x6
	;;#ASMSTART
	v_dot2_f32_f16 v112, v0, v4, v112
	;;#ASMEND
	;;#ASMSTART
	v_dot2_f32_f16 v112, v1, v5, v112
	;;#ASMEND
	;;#ASMSTART
	v_dot2_f32_f16 v112, v2, v6, v112
	;;#ASMEND
	;;#ASMSTART
	v_dot2_f32_f16 v112, v3, v7, v112
	;;#ASMEND
	s_wait_dscnt 0x5
	;;#ASMSTART
	v_dot2_f32_f16 v113, v0, v8, v113
	;;#ASMEND
	;;#ASMSTART
	v_dot2_f32_f16 v113, v1, v9, v113
	;;#ASMEND
	;;#ASMSTART
	v_dot2_f32_f16 v113, v2, v10, v113
	;;#ASMEND
	;;#ASMSTART
	v_dot2_f32_f16 v113, v3, v11, v113
	;;#ASMEND
	s_wait_dscnt 0x4
	;;#ASMSTART
	v_dot2_f32_f16 v114, v0, v12, v114
	;;#ASMEND
	;;#ASMSTART
	v_dot2_f32_f16 v114, v1, v13, v114
	;;#ASMEND
	;;#ASMSTART
	v_dot2_f32_f16 v114, v2, v14, v114
	;;#ASMEND
	;;#ASMSTART
	v_dot2_f32_f16 v114, v3, v15, v114
	;;#ASMEND
	s_wait_dscnt 0x3
	;;#ASMSTART
	v_dot2_f32_f16 v115, v0, v16, v115
	;;#ASMEND
	;;#ASMSTART
	v_dot2_f32_f16 v115, v1, v17, v115
	;;#ASMEND
	;;#ASMSTART
	v_dot2_f32_f16 v115, v2, v18, v115
	;;#ASMEND
	;;#ASMSTART
	v_dot2_f32_f16 v115, v3, v19, v115
	;;#ASMEND
	s_wait_dscnt 0x2
	;;#ASMSTART
	v_dot2_f32_f16 v116, v20, v4, v116
	;;#ASMEND
	;;#ASMSTART
	v_dot2_f32_f16 v116, v21, v5, v116
	;;#ASMEND
	;;#ASMSTART
	v_dot2_f32_f16 v116, v22, v6, v116
	;;#ASMEND
	;;#ASMSTART
	v_dot2_f32_f16 v116, v23, v7, v116
	;;#ASMEND
	;;#ASMSTART
	v_dot2_f32_f16 v117, v20, v8, v117
	;;#ASMEND
	;;#ASMSTART
	v_dot2_f32_f16 v117, v21, v9, v117
	;;#ASMEND
	;; [unrolled: 3-line block ×12, first 2 shown]
	s_wait_dscnt 0x1
	;;#ASMSTART
	v_dot2_f32_f16 v120, v58, v4, v120
	;;#ASMEND
	;;#ASMSTART
	v_dot2_f32_f16 v120, v59, v5, v120
	;;#ASMEND
	;; [unrolled: 3-line block ×16, first 2 shown]
	s_wait_dscnt 0x0
	;;#ASMSTART
	v_dot2_f32_f16 v124, v108, v4, v124
	;;#ASMEND
	;;#ASMSTART
	v_dot2_f32_f16 v124, v109, v5, v124
	;;#ASMEND
	;; [unrolled: 3-line block ×16, first 2 shown]
	ds_load_b128 v[0:3], v79 offset:80
	ds_load_b128 v[4:7], v78 offset:80
	;; [unrolled: 1-line block ×8, first 2 shown]
	s_wait_dscnt 0x6
	;;#ASMSTART
	v_dot2_f32_f16 v112, v0, v4, v112
	;;#ASMEND
	;;#ASMSTART
	v_dot2_f32_f16 v112, v1, v5, v112
	;;#ASMEND
	;;#ASMSTART
	v_dot2_f32_f16 v112, v2, v6, v112
	;;#ASMEND
	;;#ASMSTART
	v_dot2_f32_f16 v112, v3, v7, v112
	;;#ASMEND
	s_wait_dscnt 0x5
	;;#ASMSTART
	v_dot2_f32_f16 v113, v0, v8, v113
	;;#ASMEND
	;;#ASMSTART
	v_dot2_f32_f16 v113, v1, v9, v113
	;;#ASMEND
	;;#ASMSTART
	v_dot2_f32_f16 v113, v2, v10, v113
	;;#ASMEND
	;;#ASMSTART
	v_dot2_f32_f16 v113, v3, v11, v113
	;;#ASMEND
	;; [unrolled: 13-line block ×5, first 2 shown]
	;;#ASMSTART
	v_dot2_f32_f16 v117, v20, v8, v117
	;;#ASMEND
	;;#ASMSTART
	v_dot2_f32_f16 v117, v21, v9, v117
	;;#ASMEND
	;; [unrolled: 3-line block ×12, first 2 shown]
	s_wait_dscnt 0x1
	;;#ASMSTART
	v_dot2_f32_f16 v120, v58, v4, v120
	;;#ASMEND
	;;#ASMSTART
	v_dot2_f32_f16 v120, v59, v5, v120
	;;#ASMEND
	;; [unrolled: 3-line block ×16, first 2 shown]
	s_wait_dscnt 0x0
	;;#ASMSTART
	v_dot2_f32_f16 v124, v108, v4, v124
	;;#ASMEND
	;;#ASMSTART
	v_dot2_f32_f16 v124, v109, v5, v124
	;;#ASMEND
	;; [unrolled: 3-line block ×16, first 2 shown]
	ds_load_b128 v[0:3], v79 offset:96
	ds_load_b128 v[4:7], v78 offset:96
	ds_load_b128 v[8:11], v78 offset:352
	ds_load_b128 v[12:15], v78 offset:608
	ds_load_b128 v[16:19], v78 offset:864
	ds_load_b128 v[20:23], v79 offset:4704
	ds_load_b128 v[58:61], v79 offset:9312
	ds_load_b128 v[108:111], v79 offset:13920
	s_wait_dscnt 0x6
	;;#ASMSTART
	v_dot2_f32_f16 v112, v0, v4, v112
	;;#ASMEND
	;;#ASMSTART
	v_dot2_f32_f16 v112, v1, v5, v112
	;;#ASMEND
	;;#ASMSTART
	v_dot2_f32_f16 v112, v2, v6, v112
	;;#ASMEND
	;;#ASMSTART
	v_dot2_f32_f16 v112, v3, v7, v112
	;;#ASMEND
	s_wait_dscnt 0x5
	;;#ASMSTART
	v_dot2_f32_f16 v113, v0, v8, v113
	;;#ASMEND
	;;#ASMSTART
	v_dot2_f32_f16 v113, v1, v9, v113
	;;#ASMEND
	;;#ASMSTART
	v_dot2_f32_f16 v113, v2, v10, v113
	;;#ASMEND
	;;#ASMSTART
	v_dot2_f32_f16 v113, v3, v11, v113
	;;#ASMEND
	;; [unrolled: 13-line block ×5, first 2 shown]
	;;#ASMSTART
	v_dot2_f32_f16 v117, v20, v8, v117
	;;#ASMEND
	;;#ASMSTART
	v_dot2_f32_f16 v117, v21, v9, v117
	;;#ASMEND
	;; [unrolled: 3-line block ×12, first 2 shown]
	s_wait_dscnt 0x1
	;;#ASMSTART
	v_dot2_f32_f16 v120, v58, v4, v120
	;;#ASMEND
	;;#ASMSTART
	v_dot2_f32_f16 v120, v59, v5, v120
	;;#ASMEND
	;; [unrolled: 3-line block ×16, first 2 shown]
	s_wait_dscnt 0x0
	;;#ASMSTART
	v_dot2_f32_f16 v124, v108, v4, v124
	;;#ASMEND
	;;#ASMSTART
	v_dot2_f32_f16 v124, v109, v5, v124
	;;#ASMEND
	;; [unrolled: 3-line block ×16, first 2 shown]
	ds_load_b128 v[58:61], v79 offset:112
	ds_load_b128 v[16:19], v78 offset:112
	;; [unrolled: 1-line block ×8, first 2 shown]
	s_wait_dscnt 0x6
	;;#ASMSTART
	v_dot2_f32_f16 v112, v58, v16, v112
	;;#ASMEND
	;;#ASMSTART
	v_dot2_f32_f16 v112, v59, v17, v112
	;;#ASMEND
	;;#ASMSTART
	v_dot2_f32_f16 v112, v60, v18, v112
	;;#ASMEND
	;;#ASMSTART
	v_dot2_f32_f16 v112, v61, v19, v112
	;;#ASMEND
	s_wait_dscnt 0x5
	;;#ASMSTART
	v_dot2_f32_f16 v113, v58, v12, v113
	;;#ASMEND
	;;#ASMSTART
	v_dot2_f32_f16 v113, v59, v13, v113
	;;#ASMEND
	;;#ASMSTART
	v_dot2_f32_f16 v113, v60, v14, v113
	;;#ASMEND
	;;#ASMSTART
	v_dot2_f32_f16 v113, v61, v15, v113
	;;#ASMEND
	;; [unrolled: 13-line block ×5, first 2 shown]
	;;#ASMSTART
	v_dot2_f32_f16 v117, v128, v12, v117
	;;#ASMEND
	;;#ASMSTART
	v_dot2_f32_f16 v117, v129, v13, v117
	;;#ASMEND
	;; [unrolled: 3-line block ×12, first 2 shown]
	s_wait_dscnt 0x1
	;;#ASMSTART
	v_dot2_f32_f16 v120, v20, v16, v120
	;;#ASMEND
	;;#ASMSTART
	v_dot2_f32_f16 v120, v21, v17, v120
	;;#ASMEND
	;; [unrolled: 3-line block ×16, first 2 shown]
	s_wait_dscnt 0x0
	;;#ASMSTART
	v_dot2_f32_f16 v124, v4, v16, v124
	;;#ASMEND
	;;#ASMSTART
	v_dot2_f32_f16 v124, v5, v17, v124
	;;#ASMEND
	;; [unrolled: 3-line block ×16, first 2 shown]
	s_barrier_signal -1
	s_barrier_wait -1
	s_clause 0x3
	global_load_b128 v[0:3], v[50:51], off offset:128
	global_load_b128 v[4:7], v[52:53], off offset:128
	;; [unrolled: 1-line block ×4, first 2 shown]
	s_add_nc_u64 s[2:3], s[42:43], s[2:3]
	v_dual_cndmask_b32 v58, v67, v69 :: v_dual_lshlrev_b32 v109, 2, v107
	v_dual_lshlrev_b32 v108, 2, v132 :: v_dual_lshlrev_b32 v111, 2, v62
	v_lshlrev_b32_e32 v110, 2, v63
	v_add_nc_u64_e32 v[60:61], s[2:3], v[44:45]
	v_add_nc_u64_e32 v[62:63], s[2:3], v[46:47]
	s_wait_loadcnt 0x3
	ds_store_b128 v74, v[0:3]
	s_wait_loadcnt 0x2
	ds_store_b128 v75, v[4:7]
	;; [unrolled: 2-line block ×4, first 2 shown]
	s_wait_dscnt 0x0
	s_barrier_signal -1
	s_barrier_wait -1
	ds_load_b128 v[0:3], v79
	ds_load_b128 v[4:7], v78 offset:128
	ds_load_b128 v[8:11], v78 offset:384
	;; [unrolled: 1-line block ×7, first 2 shown]
	s_wait_dscnt 0x6
	;;#ASMSTART
	v_dot2_f32_f16 v112, v0, v4, v112
	;;#ASMEND
	;;#ASMSTART
	v_dot2_f32_f16 v112, v1, v5, v112
	;;#ASMEND
	;;#ASMSTART
	v_dot2_f32_f16 v112, v2, v6, v112
	;;#ASMEND
	;;#ASMSTART
	v_dot2_f32_f16 v112, v3, v7, v112
	;;#ASMEND
	s_wait_dscnt 0x5
	;;#ASMSTART
	v_dot2_f32_f16 v113, v0, v8, v113
	;;#ASMEND
	;;#ASMSTART
	v_dot2_f32_f16 v113, v1, v9, v113
	;;#ASMEND
	;;#ASMSTART
	v_dot2_f32_f16 v113, v2, v10, v113
	;;#ASMEND
	;;#ASMSTART
	v_dot2_f32_f16 v113, v3, v11, v113
	;;#ASMEND
	;; [unrolled: 13-line block ×5, first 2 shown]
	;;#ASMSTART
	v_dot2_f32_f16 v117, v20, v8, v117
	;;#ASMEND
	;;#ASMSTART
	v_dot2_f32_f16 v117, v21, v9, v117
	;;#ASMEND
	;; [unrolled: 3-line block ×12, first 2 shown]
	s_wait_dscnt 0x1
	;;#ASMSTART
	v_dot2_f32_f16 v120, v50, v4, v120
	;;#ASMEND
	;;#ASMSTART
	v_dot2_f32_f16 v120, v51, v5, v120
	;;#ASMEND
	;; [unrolled: 3-line block ×16, first 2 shown]
	s_wait_dscnt 0x0
	;;#ASMSTART
	v_dot2_f32_f16 v124, v54, v4, v124
	;;#ASMEND
	;;#ASMSTART
	v_dot2_f32_f16 v124, v55, v5, v124
	;;#ASMEND
	;; [unrolled: 3-line block ×16, first 2 shown]
	ds_load_b128 v[0:3], v79 offset:16
	ds_load_b128 v[4:7], v78 offset:144
	;; [unrolled: 1-line block ×8, first 2 shown]
	s_wait_dscnt 0x6
	;;#ASMSTART
	v_dot2_f32_f16 v112, v0, v4, v112
	;;#ASMEND
	;;#ASMSTART
	v_dot2_f32_f16 v112, v1, v5, v112
	;;#ASMEND
	;;#ASMSTART
	v_dot2_f32_f16 v112, v2, v6, v112
	;;#ASMEND
	;;#ASMSTART
	v_dot2_f32_f16 v112, v3, v7, v112
	;;#ASMEND
	s_wait_dscnt 0x5
	;;#ASMSTART
	v_dot2_f32_f16 v113, v0, v8, v113
	;;#ASMEND
	;;#ASMSTART
	v_dot2_f32_f16 v113, v1, v9, v113
	;;#ASMEND
	;;#ASMSTART
	v_dot2_f32_f16 v113, v2, v10, v113
	;;#ASMEND
	;;#ASMSTART
	v_dot2_f32_f16 v113, v3, v11, v113
	;;#ASMEND
	;; [unrolled: 13-line block ×5, first 2 shown]
	;;#ASMSTART
	v_dot2_f32_f16 v117, v20, v8, v117
	;;#ASMEND
	;;#ASMSTART
	v_dot2_f32_f16 v117, v21, v9, v117
	;;#ASMEND
	;; [unrolled: 3-line block ×12, first 2 shown]
	s_wait_dscnt 0x1
	;;#ASMSTART
	v_dot2_f32_f16 v120, v50, v4, v120
	;;#ASMEND
	;;#ASMSTART
	v_dot2_f32_f16 v120, v51, v5, v120
	;;#ASMEND
	;; [unrolled: 3-line block ×16, first 2 shown]
	s_wait_dscnt 0x0
	;;#ASMSTART
	v_dot2_f32_f16 v124, v54, v4, v124
	;;#ASMEND
	;;#ASMSTART
	v_dot2_f32_f16 v124, v55, v5, v124
	;;#ASMEND
	;; [unrolled: 3-line block ×16, first 2 shown]
	ds_load_b128 v[0:3], v79 offset:32
	ds_load_b128 v[4:7], v78 offset:160
	;; [unrolled: 1-line block ×8, first 2 shown]
	s_wait_dscnt 0x6
	;;#ASMSTART
	v_dot2_f32_f16 v112, v0, v4, v112
	;;#ASMEND
	;;#ASMSTART
	v_dot2_f32_f16 v112, v1, v5, v112
	;;#ASMEND
	;;#ASMSTART
	v_dot2_f32_f16 v112, v2, v6, v112
	;;#ASMEND
	;;#ASMSTART
	v_dot2_f32_f16 v112, v3, v7, v112
	;;#ASMEND
	s_wait_dscnt 0x5
	;;#ASMSTART
	v_dot2_f32_f16 v113, v0, v8, v113
	;;#ASMEND
	;;#ASMSTART
	v_dot2_f32_f16 v113, v1, v9, v113
	;;#ASMEND
	;;#ASMSTART
	v_dot2_f32_f16 v113, v2, v10, v113
	;;#ASMEND
	;;#ASMSTART
	v_dot2_f32_f16 v113, v3, v11, v113
	;;#ASMEND
	;; [unrolled: 13-line block ×5, first 2 shown]
	;;#ASMSTART
	v_dot2_f32_f16 v117, v20, v8, v117
	;;#ASMEND
	;;#ASMSTART
	v_dot2_f32_f16 v117, v21, v9, v117
	;;#ASMEND
	;; [unrolled: 3-line block ×12, first 2 shown]
	s_wait_dscnt 0x1
	;;#ASMSTART
	v_dot2_f32_f16 v120, v50, v4, v120
	;;#ASMEND
	;;#ASMSTART
	v_dot2_f32_f16 v120, v51, v5, v120
	;;#ASMEND
	;; [unrolled: 3-line block ×16, first 2 shown]
	s_wait_dscnt 0x0
	;;#ASMSTART
	v_dot2_f32_f16 v124, v54, v4, v124
	;;#ASMEND
	;;#ASMSTART
	v_dot2_f32_f16 v124, v55, v5, v124
	;;#ASMEND
	;; [unrolled: 3-line block ×16, first 2 shown]
	ds_load_b128 v[0:3], v79 offset:48
	ds_load_b128 v[4:7], v78 offset:176
	;; [unrolled: 1-line block ×8, first 2 shown]
	s_wait_dscnt 0x6
	;;#ASMSTART
	v_dot2_f32_f16 v112, v0, v4, v112
	;;#ASMEND
	;;#ASMSTART
	v_dot2_f32_f16 v112, v1, v5, v112
	;;#ASMEND
	;;#ASMSTART
	v_dot2_f32_f16 v112, v2, v6, v112
	;;#ASMEND
	;;#ASMSTART
	v_dot2_f32_f16 v112, v3, v7, v112
	;;#ASMEND
	s_wait_dscnt 0x5
	;;#ASMSTART
	v_dot2_f32_f16 v113, v0, v8, v113
	;;#ASMEND
	;;#ASMSTART
	v_dot2_f32_f16 v113, v1, v9, v113
	;;#ASMEND
	;;#ASMSTART
	v_dot2_f32_f16 v113, v2, v10, v113
	;;#ASMEND
	;;#ASMSTART
	v_dot2_f32_f16 v113, v3, v11, v113
	;;#ASMEND
	;; [unrolled: 13-line block ×5, first 2 shown]
	;;#ASMSTART
	v_dot2_f32_f16 v117, v20, v8, v117
	;;#ASMEND
	;;#ASMSTART
	v_dot2_f32_f16 v117, v21, v9, v117
	;;#ASMEND
	;; [unrolled: 3-line block ×12, first 2 shown]
	s_wait_dscnt 0x1
	;;#ASMSTART
	v_dot2_f32_f16 v120, v50, v4, v120
	;;#ASMEND
	;;#ASMSTART
	v_dot2_f32_f16 v120, v51, v5, v120
	;;#ASMEND
	;; [unrolled: 3-line block ×16, first 2 shown]
	s_wait_dscnt 0x0
	;;#ASMSTART
	v_dot2_f32_f16 v124, v54, v4, v124
	;;#ASMEND
	;;#ASMSTART
	v_dot2_f32_f16 v124, v55, v5, v124
	;;#ASMEND
	;; [unrolled: 3-line block ×16, first 2 shown]
	ds_load_b128 v[0:3], v79 offset:64
	ds_load_b128 v[4:7], v78 offset:192
	;; [unrolled: 1-line block ×8, first 2 shown]
	s_wait_dscnt 0x6
	;;#ASMSTART
	v_dot2_f32_f16 v112, v0, v4, v112
	;;#ASMEND
	;;#ASMSTART
	v_dot2_f32_f16 v112, v1, v5, v112
	;;#ASMEND
	;;#ASMSTART
	v_dot2_f32_f16 v112, v2, v6, v112
	;;#ASMEND
	;;#ASMSTART
	v_dot2_f32_f16 v112, v3, v7, v112
	;;#ASMEND
	s_wait_dscnt 0x5
	;;#ASMSTART
	v_dot2_f32_f16 v113, v0, v8, v113
	;;#ASMEND
	;;#ASMSTART
	v_dot2_f32_f16 v113, v1, v9, v113
	;;#ASMEND
	;;#ASMSTART
	v_dot2_f32_f16 v113, v2, v10, v113
	;;#ASMEND
	;;#ASMSTART
	v_dot2_f32_f16 v113, v3, v11, v113
	;;#ASMEND
	;; [unrolled: 13-line block ×5, first 2 shown]
	;;#ASMSTART
	v_dot2_f32_f16 v117, v20, v8, v117
	;;#ASMEND
	;;#ASMSTART
	v_dot2_f32_f16 v117, v21, v9, v117
	;;#ASMEND
	;; [unrolled: 3-line block ×12, first 2 shown]
	s_wait_dscnt 0x1
	;;#ASMSTART
	v_dot2_f32_f16 v120, v50, v4, v120
	;;#ASMEND
	;;#ASMSTART
	v_dot2_f32_f16 v120, v51, v5, v120
	;;#ASMEND
	;; [unrolled: 3-line block ×16, first 2 shown]
	s_wait_dscnt 0x0
	;;#ASMSTART
	v_dot2_f32_f16 v124, v54, v4, v124
	;;#ASMEND
	;;#ASMSTART
	v_dot2_f32_f16 v124, v55, v5, v124
	;;#ASMEND
	;; [unrolled: 3-line block ×16, first 2 shown]
	ds_load_b128 v[0:3], v79 offset:80
	ds_load_b128 v[4:7], v78 offset:208
	;; [unrolled: 1-line block ×8, first 2 shown]
	s_wait_dscnt 0x6
	;;#ASMSTART
	v_dot2_f32_f16 v112, v0, v4, v112
	;;#ASMEND
	;;#ASMSTART
	v_dot2_f32_f16 v112, v1, v5, v112
	;;#ASMEND
	;;#ASMSTART
	v_dot2_f32_f16 v112, v2, v6, v112
	;;#ASMEND
	;;#ASMSTART
	v_dot2_f32_f16 v112, v3, v7, v112
	;;#ASMEND
	s_wait_dscnt 0x5
	;;#ASMSTART
	v_dot2_f32_f16 v113, v0, v8, v113
	;;#ASMEND
	;;#ASMSTART
	v_dot2_f32_f16 v113, v1, v9, v113
	;;#ASMEND
	;;#ASMSTART
	v_dot2_f32_f16 v113, v2, v10, v113
	;;#ASMEND
	;;#ASMSTART
	v_dot2_f32_f16 v113, v3, v11, v113
	;;#ASMEND
	;; [unrolled: 13-line block ×5, first 2 shown]
	;;#ASMSTART
	v_dot2_f32_f16 v117, v20, v8, v117
	;;#ASMEND
	;;#ASMSTART
	v_dot2_f32_f16 v117, v21, v9, v117
	;;#ASMEND
	;; [unrolled: 3-line block ×12, first 2 shown]
	s_wait_dscnt 0x1
	;;#ASMSTART
	v_dot2_f32_f16 v120, v50, v4, v120
	;;#ASMEND
	;;#ASMSTART
	v_dot2_f32_f16 v120, v51, v5, v120
	;;#ASMEND
	;; [unrolled: 3-line block ×16, first 2 shown]
	s_wait_dscnt 0x0
	;;#ASMSTART
	v_dot2_f32_f16 v124, v54, v4, v124
	;;#ASMEND
	;;#ASMSTART
	v_dot2_f32_f16 v124, v55, v5, v124
	;;#ASMEND
	;; [unrolled: 3-line block ×16, first 2 shown]
	ds_load_b128 v[0:3], v79 offset:96
	ds_load_b128 v[4:7], v78 offset:224
	;; [unrolled: 1-line block ×8, first 2 shown]
	s_wait_dscnt 0x6
	;;#ASMSTART
	v_dot2_f32_f16 v112, v0, v4, v112
	;;#ASMEND
	;;#ASMSTART
	v_dot2_f32_f16 v112, v1, v5, v112
	;;#ASMEND
	;;#ASMSTART
	v_dot2_f32_f16 v112, v2, v6, v112
	;;#ASMEND
	;;#ASMSTART
	v_dot2_f32_f16 v112, v3, v7, v112
	;;#ASMEND
	s_wait_dscnt 0x5
	;;#ASMSTART
	v_dot2_f32_f16 v113, v0, v8, v113
	;;#ASMEND
	;;#ASMSTART
	v_dot2_f32_f16 v113, v1, v9, v113
	;;#ASMEND
	;;#ASMSTART
	v_dot2_f32_f16 v113, v2, v10, v113
	;;#ASMEND
	;;#ASMSTART
	v_dot2_f32_f16 v113, v3, v11, v113
	;;#ASMEND
	;; [unrolled: 13-line block ×5, first 2 shown]
	;;#ASMSTART
	v_dot2_f32_f16 v117, v20, v8, v117
	;;#ASMEND
	;;#ASMSTART
	v_dot2_f32_f16 v117, v21, v9, v117
	;;#ASMEND
	;; [unrolled: 3-line block ×12, first 2 shown]
	s_wait_dscnt 0x1
	;;#ASMSTART
	v_dot2_f32_f16 v120, v50, v4, v120
	;;#ASMEND
	;;#ASMSTART
	v_dot2_f32_f16 v120, v51, v5, v120
	;;#ASMEND
	;; [unrolled: 3-line block ×16, first 2 shown]
	s_wait_dscnt 0x0
	;;#ASMSTART
	v_dot2_f32_f16 v124, v54, v4, v124
	;;#ASMEND
	;;#ASMSTART
	v_dot2_f32_f16 v124, v55, v5, v124
	;;#ASMEND
	;; [unrolled: 3-line block ×16, first 2 shown]
	ds_load_b128 v[0:3], v79 offset:112
	ds_load_b128 v[4:7], v78 offset:240
	;; [unrolled: 1-line block ×8, first 2 shown]
	s_wait_dscnt 0x6
	;;#ASMSTART
	v_dot2_f32_f16 v112, v0, v4, v112
	;;#ASMEND
	;;#ASMSTART
	v_dot2_f32_f16 v112, v1, v5, v112
	;;#ASMEND
	;;#ASMSTART
	v_dot2_f32_f16 v112, v2, v6, v112
	;;#ASMEND
	;;#ASMSTART
	v_dot2_f32_f16 v112, v3, v7, v112
	;;#ASMEND
	s_wait_dscnt 0x5
	;;#ASMSTART
	v_dot2_f32_f16 v113, v0, v8, v113
	;;#ASMEND
	;;#ASMSTART
	v_dot2_f32_f16 v113, v1, v9, v113
	;;#ASMEND
	;;#ASMSTART
	v_dot2_f32_f16 v113, v2, v10, v113
	;;#ASMEND
	;;#ASMSTART
	v_dot2_f32_f16 v113, v3, v11, v113
	;;#ASMEND
	;; [unrolled: 13-line block ×5, first 2 shown]
	;;#ASMSTART
	v_dot2_f32_f16 v117, v20, v8, v117
	;;#ASMEND
	;;#ASMSTART
	v_dot2_f32_f16 v117, v21, v9, v117
	;;#ASMEND
	;; [unrolled: 3-line block ×12, first 2 shown]
	s_wait_dscnt 0x1
	;;#ASMSTART
	v_dot2_f32_f16 v120, v50, v4, v120
	;;#ASMEND
	;;#ASMSTART
	v_dot2_f32_f16 v120, v51, v5, v120
	;;#ASMEND
	;; [unrolled: 3-line block ×16, first 2 shown]
	s_wait_dscnt 0x0
	;;#ASMSTART
	v_dot2_f32_f16 v124, v54, v4, v124
	;;#ASMEND
	;;#ASMSTART
	v_dot2_f32_f16 v124, v55, v5, v124
	;;#ASMEND
	;; [unrolled: 3-line block ×6, first 2 shown]
	v_add_nc_u64_e32 v[0:1], s[2:3], v[48:49]
	;;#ASMSTART
	v_dot2_f32_f16 v125, v56, v10, v125
	;;#ASMEND
	;;#ASMSTART
	v_dot2_f32_f16 v125, v57, v11, v125
	;;#ASMEND
	;; [unrolled: 3-line block ×9, first 2 shown]
	v_add_nc_u64_e32 v[128:129], v[0:1], v[42:43]
	;;#ASMSTART
	v_dot2_f32_f16 v127, v57, v19, v127
	;;#ASMEND
	s_clause 0x3
	global_load_u16 v0, v106, s[38:39] scale_offset
	global_load_u16 v1, v106, s[38:39] offset:64 scale_offset
	global_load_u16 v2, v106, s[38:39] offset:128 scale_offset
	;; [unrolled: 1-line block ×3, first 2 shown]
	v_add_nc_u64_e32 v[60:61], v[60:61], v[42:43]
	v_add_nc_u64_e32 v[62:63], v[62:63], v[42:43]
	s_wait_loadcnt 0x0
	s_barrier_signal -1
	s_barrier_wait -1
	v_cvt_f32_f16_e32 v0, v0
	v_cvt_f32_f16_e32 v1, v1
	v_lshlrev_b32_e32 v107, 2, v58
	v_cvt_f32_f16_e32 v2, v2
	v_cvt_f32_f16_e32 v3, v3
	v_add_f32_e32 v4, v112, v0
	v_dual_add_f32 v5, v116, v1 :: v_dual_add_f32 v8, v113, v0
	s_delay_alu instid0(VALU_DEP_4) | instskip(NEXT) | instid1(VALU_DEP_4)
	v_dual_add_f32 v6, v120, v2 :: v_dual_add_f32 v9, v117, v1
	v_dual_add_f32 v7, v124, v3 :: v_dual_add_f32 v10, v121, v2
	v_dual_add_f32 v11, v125, v3 :: v_dual_add_f32 v12, v114, v0
	v_dual_add_f32 v13, v118, v1 :: v_dual_add_f32 v16, v115, v0
	v_dual_add_f32 v14, v122, v2 :: v_dual_add_f32 v17, v119, v1
	v_dual_add_f32 v19, v127, v3 :: v_dual_add_f32 v0, 0x40051340, v4
	v_add_f32_e32 v1, 0x40051340, v5
	v_dual_add_f32 v15, v126, v3 :: v_dual_add_f32 v18, v123, v2
	v_dual_add_f32 v2, 0x40051340, v6 :: v_dual_add_f32 v3, 0x40051340, v7
	v_dual_add_f32 v20, 0x40051340, v8 :: v_dual_add_f32 v21, 0x40051340, v9
	v_dual_add_f32 v22, 0x40051340, v10 :: v_dual_add_f32 v23, 0x40051340, v11
	v_dual_add_f32 v50, 0x40051340, v12 :: v_dual_add_f32 v51, 0x40051340, v13
	v_add_f32_e32 v52, 0x40051340, v14
	v_max3_num_f32 v0, v102, v0, v1
	v_dual_add_f32 v53, 0x40051340, v15 :: v_dual_add_f32 v54, 0x40051340, v16
	v_max3_num_f32 v1, v103, v20, v21
	v_max3_num_f32 v20, v104, v50, v51
	s_delay_alu instid0(VALU_DEP_4) | instskip(SKIP_1) | instid1(VALU_DEP_4)
	v_max3_num_f32 v0, v0, v2, v3
	v_dual_add_f32 v55, 0x40051340, v17 :: v_dual_add_f32 v56, 0x40051340, v18
	v_max3_num_f32 v1, v1, v22, v23
	s_delay_alu instid0(VALU_DEP_4)
	v_max3_num_f32 v2, v20, v52, v53
	ds_bpermute_b32 v20, v111, v0
	v_add_f32_e32 v57, 0x40051340, v19
	v_max3_num_f32 v21, v105, v54, v55
	v_add_nc_u64_e32 v[58:59], s[2:3], v[40:41]
	ds_bpermute_b32 v22, v111, v2
	v_add_nc_u64_e32 v[58:59], v[58:59], v[42:43]
	s_wait_dscnt 0x1
	v_max_num_f32_e32 v20, v20, v20
	v_max3_num_f32 v3, v21, v56, v57
	ds_bpermute_b32 v21, v111, v1
	s_wait_dscnt 0x1
	v_dual_max_num_f32 v22, v22, v22 :: v_dual_max_num_f32 v0, v0, v20
	ds_bpermute_b32 v23, v111, v3
	v_max_num_f32_e32 v2, v2, v22
	ds_bpermute_b32 v20, v110, v0
	ds_bpermute_b32 v22, v110, v2
	s_wait_dscnt 0x2
	v_dual_max_num_f32 v21, v21, v21 :: v_dual_max_num_f32 v23, v23, v23
	s_wait_dscnt 0x1
	s_delay_alu instid0(VALU_DEP_1) | instskip(NEXT) | instid1(VALU_DEP_2)
	v_dual_max_num_f32 v1, v1, v21 :: v_dual_max_num_f32 v20, v20, v20
	v_max_num_f32_e32 v3, v3, v23
	ds_bpermute_b32 v21, v110, v1
	s_wait_dscnt 0x1
	v_dual_max_num_f32 v22, v22, v22 :: v_dual_max_num_f32 v0, v0, v20
	ds_bpermute_b32 v23, v110, v3
	v_max_num_f32_e32 v2, v2, v22
	ds_bpermute_b32 v20, v109, v0
	ds_bpermute_b32 v22, v109, v2
	s_wait_dscnt 0x2
	v_dual_max_num_f32 v21, v21, v21 :: v_dual_max_num_f32 v23, v23, v23
	s_wait_dscnt 0x1
	s_delay_alu instid0(VALU_DEP_1) | instskip(NEXT) | instid1(VALU_DEP_2)
	v_dual_max_num_f32 v1, v1, v21 :: v_dual_max_num_f32 v20, v20, v20
	v_max_num_f32_e32 v3, v3, v23
	;; [unrolled: 13-line block ×4, first 2 shown]
	ds_bpermute_b32 v21, v107, v1
	s_wait_dscnt 0x1
	v_dual_max_num_f32 v22, v22, v22 :: v_dual_max_num_f32 v0, v0, v20
	ds_bpermute_b32 v23, v107, v3
	v_dual_max_num_f32 v2, v2, v22 :: v_dual_sub_f32 v20, v4, v0
	s_delay_alu instid0(VALU_DEP_1) | instskip(NEXT) | instid1(VALU_DEP_2)
	v_dual_sub_f32 v54, v6, v0 :: v_dual_sub_f32 v50, v12, v2
	v_mul_f32_e32 v4, 0x3fb8aa3b, v20
	s_delay_alu instid0(VALU_DEP_2)
	v_mul_f32_e32 v12, 0x3fb8aa3b, v54
	s_wait_xcnt 0x0
	v_sub_f32_e32 v106, v14, v2
	v_cmp_ngt_f32_e64 s7, 0xc2ce8ed0, v20
	v_cmp_ngt_f32_e64 s3, 0xc2ce8ed0, v50
	v_fma_f32 v110, 0x3fb8aa3b, v20, -v4
	v_rndne_f32_e32 v118, v4
	s_wait_dscnt 0x1
	v_max_num_f32_e32 v21, v21, v21
	v_fma_f32 v126, 0x3fb8aa3b, v54, -v12
	v_rndne_f32_e32 v127, v12
	v_cmp_ngt_f32_e64 s11, 0xc2ce8ed0, v106
	s_wait_dscnt 0x0
	v_dual_max_num_f32 v23, v23, v23 :: v_dual_max_num_f32 v1, v1, v21
	v_dual_sub_f32 v21, v5, v0 :: v_dual_sub_f32 v4, v4, v118
	v_sub_f32_e32 v55, v7, v0
	s_delay_alu instid0(VALU_DEP_3) | instskip(NEXT) | instid1(VALU_DEP_3)
	v_dual_max_num_f32 v3, v3, v23 :: v_dual_sub_f32 v22, v8, v1
	v_mul_f32_e32 v5, 0x3fb8aa3b, v21
	v_sub_f32_e32 v23, v9, v1
	s_delay_alu instid0(VALU_DEP_3) | instskip(SKIP_4) | instid1(VALU_DEP_4)
	v_dual_sub_f32 v51, v13, v2 :: v_dual_sub_f32 v52, v16, v3
	v_dual_sub_f32 v109, v19, v3 :: v_dual_sub_f32 v53, v17, v3
	v_mul_f32_e32 v6, 0x3fb8aa3b, v22
	v_fma_f32 v111, 0x3fb8aa3b, v21, -v5
	v_rndne_f32_e32 v119, v5
	v_mul_f32_e32 v19, 0x3fb8aa3b, v109
	v_fmac_f32_e32 v110, 0x32a5705f, v20
	v_dual_mul_f32 v7, 0x3fb8aa3b, v23 :: v_dual_mul_f32 v8, 0x3fb8aa3b, v50
	v_fma_f32 v112, 0x3fb8aa3b, v22, -v6
	v_rndne_f32_e32 v120, v6
	s_delay_alu instid0(VALU_DEP_4) | instskip(SKIP_4) | instid1(VALU_DEP_4)
	v_dual_fmac_f32 v111, 0x32a5705f, v21 :: v_dual_add_f32 v4, v4, v110
	v_sub_f32_e32 v5, v5, v119
	v_fma_f32 v113, 0x3fb8aa3b, v23, -v7
	v_rndne_f32_e32 v121, v7
	v_fmac_f32_e32 v112, 0x32a5705f, v22
	v_dual_sub_f32 v6, v6, v120 :: v_dual_add_f32 v111, v5, v111
	v_mul_f32_e32 v9, 0x3fb8aa3b, v51
	v_fma_f32 v114, 0x3fb8aa3b, v50, -v8
	v_rndne_f32_e32 v122, v8
	s_delay_alu instid0(VALU_DEP_4)
	v_dual_fmac_f32 v113, 0x32a5705f, v23 :: v_dual_add_f32 v112, v6, v112
	v_sub_f32_e32 v7, v7, v121
	v_sub_f32_e32 v56, v10, v1
	v_mul_f32_e32 v10, 0x3fb8aa3b, v52
	v_fma_f32 v115, 0x3fb8aa3b, v51, -v9
	v_rndne_f32_e32 v123, v9
	v_dual_add_f32 v113, v7, v113 :: v_dual_fmac_f32 v114, 0x32a5705f, v50
	s_delay_alu instid0(VALU_DEP_3)
	v_dual_sub_f32 v8, v8, v122 :: v_dual_fmac_f32 v115, 0x32a5705f, v51
	v_sub_f32_e32 v57, v11, v1
	v_mul_f32_e32 v11, 0x3fb8aa3b, v53
	v_fma_f32 v116, 0x3fb8aa3b, v52, -v10
	v_rndne_f32_e32 v124, v10
	v_dual_add_f32 v114, v8, v114 :: v_dual_sub_f32 v9, v9, v123
	s_delay_alu instid0(VALU_DEP_4) | instskip(SKIP_2) | instid1(VALU_DEP_4)
	v_fma_f32 v117, 0x3fb8aa3b, v53, -v11
	v_rndne_f32_e32 v125, v11
	v_fmac_f32_e32 v116, 0x32a5705f, v52
	v_dual_sub_f32 v10, v10, v124 :: v_dual_add_f32 v115, v9, v115
	v_dual_sub_f32 v107, v15, v2 :: v_dual_sub_f32 v108, v18, v3
	v_dual_mul_f32 v13, 0x3fb8aa3b, v55 :: v_dual_mul_f32 v14, 0x3fb8aa3b, v56
	s_delay_alu instid0(VALU_DEP_3)
	v_dual_fmac_f32 v117, 0x32a5705f, v53 :: v_dual_add_f32 v116, v10, v116
	v_sub_f32_e32 v10, v11, v125
	v_dual_mul_f32 v15, 0x3fb8aa3b, v57 :: v_dual_mul_f32 v16, 0x3fb8aa3b, v106
	v_dual_mul_f32 v17, 0x3fb8aa3b, v107 :: v_dual_mul_f32 v18, 0x3fb8aa3b, v108
	v_fma_f32 v110, 0x3fb8aa3b, v55, -v13
	v_fma_f32 v5, 0x3fb8aa3b, v56, -v14
	v_dual_add_f32 v117, v10, v117 :: v_dual_fmac_f32 v126, 0x32a5705f, v54
	v_rndne_f32_e32 v130, v13
	s_delay_alu instid0(VALU_DEP_3) | instskip(SKIP_3) | instid1(VALU_DEP_4)
	v_dual_sub_f32 v10, v12, v127 :: v_dual_fmac_f32 v5, 0x32a5705f, v56
	v_fma_f32 v6, 0x3fb8aa3b, v57, -v15
	v_fma_f32 v7, 0x3fb8aa3b, v106, -v16
	;; [unrolled: 1-line block ×3, first 2 shown]
	v_add_f32_e32 v126, v10, v126
	v_rndne_f32_e32 v131, v14
	v_sub_f32_e32 v10, v13, v130
	v_rndne_f32_e32 v132, v15
	v_fmac_f32_e32 v110, 0x32a5705f, v55
	v_dual_fmac_f32 v6, 0x32a5705f, v57 :: v_dual_fmac_f32 v7, 0x32a5705f, v106
	v_fmac_f32_e32 v9, 0x32a5705f, v108
	v_rndne_f32_e32 v134, v16
	s_delay_alu instid0(VALU_DEP_4)
	v_add_f32_e32 v110, v10, v110
	v_sub_f32_e32 v10, v14, v131
	v_fma_f32 v8, 0x3fb8aa3b, v107, -v17
	v_rndne_f32_e32 v136, v17
	v_rndne_f32_e32 v138, v18
	v_exp_f32_e32 v111, v111
	v_dual_add_f32 v133, v10, v5 :: v_dual_sub_f32 v5, v15, v132
	v_fmac_f32_e32 v8, 0x32a5705f, v107
	v_rndne_f32_e32 v141, v19
	v_exp_f32_e32 v10, v112
	v_nop
	v_cvt_i32_f32_e32 v112, v119
	v_add_f32_e32 v135, v5, v6
	v_sub_f32_e32 v5, v16, v134
	v_sub_f32_e32 v6, v18, v138
	v_exp_f32_e32 v4, v4
	v_exp_f32_e32 v11, v113
	;; [unrolled: 1-line block ×3, first 2 shown]
	v_add_f32_e32 v137, v5, v7
	v_dual_sub_f32 v5, v17, v136 :: v_dual_add_f32 v140, v6, v9
	v_cvt_i32_f32_e32 v7, v118
	v_exp_f32_e32 v15, v115
	v_ldexp_f32 v111, v111, v112
	s_delay_alu instid0(VALU_DEP_3)
	v_add_f32_e32 v139, v5, v8
	v_fma_f32 v5, 0x3fb8aa3b, v109, -v19
	v_cmp_ngt_f32_e64 s16, 0xc2ce8ed0, v21
	v_sub_f32_e32 v6, v19, v141
	v_cvt_i32_f32_e32 v8, v120
	v_cvt_i32_f32_e32 v9, v121
	v_fmac_f32_e32 v5, 0x32a5705f, v109
	v_exp_f32_e32 v18, v116
	v_exp_f32_e32 v19, v117
	v_cvt_i32_f32_e32 v12, v122
	v_cvt_i32_f32_e32 v13, v123
	;; [unrolled: 1-line block ×4, first 2 shown]
	v_ldexp_f32 v142, v4, v7
	v_cmp_ngt_f32_e32 vcc_lo, 0xc2ce8ed0, v22
	v_dual_cndmask_b32 v111, 0, v111, s16 :: v_dual_add_f32 v118, v6, v5
	global_load_b128 v[4:7], v[58:59], off
	s_wait_xcnt 0x0
	v_ldexp_f32 v58, v10, v8
	v_ldexp_f32 v59, v11, v9
	global_load_b128 v[8:11], v[60:61], off
	s_wait_xcnt 0x0
	v_ldexp_f32 v60, v14, v12
	v_ldexp_f32 v61, v15, v13
	;; [unrolled: 4-line block ×3, first 2 shown]
	global_load_b128 v[16:19], v[128:129], off
	v_cvt_i32_f32_e32 v113, v127
	v_exp_f32_e32 v122, v126
	v_exp_f32_e32 v110, v110
	;; [unrolled: 1-line block ×7, first 2 shown]
	v_cmp_nlt_f32_e64 s16, 0x42b17218, v21
	v_cndmask_b32_e32 v21, 0, v58, vcc_lo
	v_exp_f32_e32 v118, v118
	v_cvt_i32_f32_e32 v114, v130
	v_cvt_i32_f32_e32 v115, v131
	;; [unrolled: 1-line block ×7, first 2 shown]
	v_cmp_ngt_f32_e64 s2, 0xc2ce8ed0, v23
	v_cmp_ngt_f32_e64 s4, 0xc2ce8ed0, v51
	;; [unrolled: 1-line block ×4, first 2 shown]
	v_ldexp_f32 v110, v110, v114
	v_cmp_ngt_f32_e64 s8, 0xc2ce8ed0, v55
	v_ldexp_f32 v112, v123, v115
	v_cmp_ngt_f32_e64 s9, 0xc2ce8ed0, v56
	;; [unrolled: 2-line block ×3, first 2 shown]
	v_ldexp_f32 v115, v125, v117
	v_ldexp_f32 v116, v126, v119
	v_cmp_ngt_f32_e64 s12, 0xc2ce8ed0, v107
	v_ldexp_f32 v117, v127, v120
	v_cmp_ngt_f32_e64 s13, 0xc2ce8ed0, v108
	;; [unrolled: 2-line block ×4, first 2 shown]
	v_cmp_nlt_f32_e32 vcc_lo, 0x42b17218, v22
	v_cndmask_b32_e64 v58, 0, v59, s2
	v_cmp_nlt_f32_e64 s2, 0x42b17218, v23
	v_cndmask_b32_e64 v23, 0, v60, s3
	v_cmp_nlt_f32_e64 s3, 0x42b17218, v50
	v_cndmask_b32_e64 v59, 0, v61, s4
	v_cmp_nlt_f32_e64 s4, 0x42b17218, v51
	v_cndmask_b32_e64 v51, 0, v62, s5
	v_cmp_nlt_f32_e64 s5, 0x42b17218, v52
	v_dual_cndmask_b32 v60, 0, v63, s6 :: v_dual_cndmask_b32 v61, 0, v110, s8
	v_cmp_nlt_f32_e64 s6, 0x42b17218, v53
	v_cmp_nlt_f32_e64 s8, 0x42b17218, v55
	v_dual_cndmask_b32 v55, 0, v112, s9 :: v_dual_cndmask_b32 v62, 0, v114, s10
	v_cmp_nlt_f32_e64 s9, 0x42b17218, v56
	v_cmp_nlt_f32_e64 s10, 0x42b17218, v57
	;; [unrolled: 3-line block ×3, first 2 shown]
	v_dual_cndmask_b32 v63, 0, v117, s13 :: v_dual_cndmask_b32 v22, 0, v142, s7
	v_dual_cndmask_b32 v106, 0, v118, s14 :: v_dual_cndmask_b32 v107, 0, v113, s15
	v_cmp_nlt_f32_e64 s15, 0x42b17218, v20
	v_cmp_nlt_f32_e64 s13, 0x42b17218, v108
	;; [unrolled: 1-line block ×4, first 2 shown]
	v_cndmask_b32_e32 v21, 0x7f800000, v21, vcc_lo
	v_cndmask_b32_e64 v20, 0x7f800000, v22, s15
	v_cndmask_b32_e64 v22, 0x7f800000, v111, s16
	;; [unrolled: 1-line block ×15, first 2 shown]
	v_cvt_pk_f16_f32 v63, v50, v51
	v_cvt_pk_f16_f32 v62, v20, v21
	;; [unrolled: 1-line block ×8, first 2 shown]
	ds_store_2addr_b64 v86, v[62:63], v[106:107] offset1:32
	ds_store_2addr_b64 v86, v[108:109], v[110:111] offset0:64 offset1:96
	s_wait_loadcnt 0x3
	ds_store_b128 v80, v[4:7]
	s_wait_loadcnt 0x2
	ds_store_b128 v83, v[8:11]
	;; [unrolled: 2-line block ×4, first 2 shown]
	s_wait_dscnt 0x0
	s_barrier_signal -1
	s_barrier_wait -1
	ds_load_b128 v[8:11], v82
	ds_load_b128 v[4:7], v82 offset:16
	ds_load_b128 v[12:15], v82 offset:32
	;; [unrolled: 1-line block ×4, first 2 shown]
	s_wait_dscnt 0x4
	v_lshrrev_b32_e32 v62, 16, v8
	s_wait_dscnt 0x3
	v_dual_lshrrev_b32 v116, 16, v4 :: v_dual_lshrrev_b32 v117, 16, v5
	v_and_b32_e32 v118, 0xffff, v4
	v_and_b32_e32 v119, 0xffff, v5
	v_dual_lshrrev_b32 v120, 16, v6 :: v_dual_lshrrev_b32 v121, 16, v7
	v_and_b32_e32 v122, 0xffff, v6
	v_and_b32_e32 v123, 0xffff, v7
	ds_load_b128 v[4:7], v82 offset:80
	v_dual_lshrrev_b32 v63, 16, v9 :: v_dual_lshrrev_b32 v113, 16, v11
	v_and_b32_e32 v110, 0xffff, v8
	v_and_b32_e32 v111, 0xffff, v9
	v_lshrrev_b32_e32 v112, 16, v10
	v_and_b32_e32 v114, 0xffff, v10
	v_and_b32_e32 v115, 0xffff, v11
	s_wait_dscnt 0x3
	v_dual_lshrrev_b32 v124, 16, v12 :: v_dual_lshrrev_b32 v125, 16, v13
	v_and_b32_e32 v126, 0xffff, v12
	v_and_b32_e32 v127, 0xffff, v13
	v_dual_lshrrev_b32 v128, 16, v14 :: v_dual_lshrrev_b32 v129, 16, v15
	v_and_b32_e32 v130, 0xffff, v14
	v_and_b32_e32 v131, 0xffff, v15
	v_mul_u32_u24_e32 v15, 0x10001, v62
	s_wait_dscnt 0x2
	v_dual_lshrrev_b32 v132, 16, v16 :: v_dual_lshrrev_b32 v133, 16, v17
	v_and_b32_e32 v16, 0xffff, v16
	s_wait_dscnt 0x0
	v_dual_lshrrev_b32 v140, 16, v4 :: v_dual_lshrrev_b32 v141, 16, v5
	v_and_b32_e32 v142, 0xffff, v4
	v_and_b32_e32 v143, 0xffff, v5
	v_dual_lshrrev_b32 v144, 16, v6 :: v_dual_lshrrev_b32 v145, 16, v7
	v_and_b32_e32 v146, 0xffff, v6
	v_and_b32_e32 v147, 0xffff, v7
	ds_load_b128 v[4:7], v82 offset:96
	ds_load_b128 v[8:11], v82 offset:112
	v_and_b32_e32 v17, 0xffff, v17
	v_dual_lshrrev_b32 v134, 16, v18 :: v_dual_lshrrev_b32 v135, 16, v19
	v_and_b32_e32 v18, 0xffff, v18
	v_mul_u32_u24_e32 v16, 0x10001, v16
	v_and_b32_e32 v19, 0xffff, v19
	v_mul_u32_u24_e32 v17, 0x10001, v17
	v_dual_lshrrev_b32 v136, 16, v106 :: v_dual_lshrrev_b32 v137, 16, v107
	v_mul_u32_u24_e32 v18, 0x10001, v18
	s_delay_alu instid0(VALU_DEP_4)
	v_mul_u32_u24_e32 v19, 0x10001, v19
	v_and_b32_e32 v106, 0xffff, v106
	v_and_b32_e32 v107, 0xffff, v107
	v_dual_lshrrev_b32 v138, 16, v108 :: v_dual_lshrrev_b32 v139, 16, v109
	v_and_b32_e32 v108, 0xffff, v108
	v_and_b32_e32 v109, 0xffff, v109
	s_wait_dscnt 0x1
	v_dual_lshrrev_b32 v148, 16, v4 :: v_dual_lshrrev_b32 v149, 16, v5
	s_wait_dscnt 0x0
	v_dual_lshrrev_b32 v156, 16, v8 :: v_dual_lshrrev_b32 v157, 16, v9
	v_and_b32_e32 v158, 0xffff, v8
	v_sub_f32_e32 v8, v105, v3
	v_and_b32_e32 v159, 0xffff, v9
	v_dual_lshrrev_b32 v160, 16, v10 :: v_dual_lshrrev_b32 v161, 16, v11
	v_and_b32_e32 v162, 0xffff, v10
	s_delay_alu instid0(VALU_DEP_4)
	v_mul_f32_e32 v9, 0x3fb8aa3b, v8
	v_and_b32_e32 v163, 0xffff, v11
	v_and_b32_e32 v150, 0xffff, v4
	;; [unrolled: 1-line block ×3, first 2 shown]
	v_pk_add_f32 v[4:5], v[50:51], v[52:53]
	v_fma_f32 v10, 0x3fb8aa3b, v8, -v9
	v_rndne_f32_e32 v11, v9
	v_dual_lshrrev_b32 v152, 16, v6 :: v_dual_lshrrev_b32 v153, 16, v7
	s_delay_alu instid0(VALU_DEP_4) | instskip(NEXT) | instid1(VALU_DEP_3)
	v_pk_add_f32 v[4:5], v[58:59], v[4:5]
	v_dual_fmac_f32 v10, 0x32a5705f, v8 :: v_dual_sub_f32 v9, v9, v11
	v_cvt_i32_f32_e32 v11, v11
	v_and_b32_e32 v154, 0xffff, v6
	s_delay_alu instid0(VALU_DEP_4)
	v_pk_add_f32 v[4:5], v[56:57], v[4:5]
	v_and_b32_e32 v155, 0xffff, v7
	v_add_f32_e32 v9, v9, v10
	v_sub_f32_e32 v10, v104, v2
	v_cmp_ngt_f32_e32 vcc_lo, 0xc2ce8ed0, v8
	v_pk_add_f32 v[6:7], v[20:21], v[22:23]
	v_mul_u32_u24_e32 v21, 0x10001, v111
	v_mul_u32_u24_e32 v23, 0x10001, v63
	v_mul_f32_e32 v12, 0x3fb8aa3b, v10
	v_cmp_ngt_f32_e64 s2, 0xc2ce8ed0, v10
	v_pk_add_f32 v[6:7], v[54:55], v[6:7]
	v_mul_u32_u24_e32 v51, 0x10001, v121
	v_mul_u32_u24_e32 v52, 0x10001, v122
	v_fma_f32 v13, 0x3fb8aa3b, v10, -v12
	v_rndne_f32_e32 v14, v12
	v_pk_add_f32 v[6:7], v[60:61], v[6:7]
	v_mul_u32_u24_e32 v53, 0x10001, v120
	s_delay_alu instid0(VALU_DEP_4) | instskip(NEXT) | instid1(VALU_DEP_4)
	v_fmac_f32_e32 v13, 0x32a5705f, v10
	v_sub_f32_e32 v12, v12, v14
	s_delay_alu instid0(VALU_DEP_1) | instskip(SKIP_1) | instid1(VALU_DEP_1)
	v_add_f32_e32 v12, v12, v13
	v_exp_f32_e32 v9, v9
	v_exp_f32_e32 v12, v12
	s_delay_alu instid0(TRANS32_DEP_2) | instskip(SKIP_1) | instid1(VALU_DEP_2)
	v_ldexp_f32 v9, v9, v11
	v_cvt_i32_f32_e32 v11, v14
	v_cndmask_b32_e32 v9, 0, v9, vcc_lo
	s_delay_alu instid0(TRANS32_DEP_1) | instid1(VALU_DEP_2)
	v_ldexp_f32 v11, v12, v11
	v_cmp_nlt_f32_e32 vcc_lo, 0x42b17218, v8
	s_delay_alu instid0(VALU_DEP_2) | instskip(SKIP_2) | instid1(VALU_DEP_2)
	v_cndmask_b32_e64 v8, 0, v11, s2
	v_cmp_nlt_f32_e64 s2, 0x42b17218, v10
	v_cndmask_b32_e32 v9, 0x7f800000, v9, vcc_lo
	v_cndmask_b32_e64 v8, 0x7f800000, v8, s2
	s_delay_alu instid0(VALU_DEP_1) | instskip(SKIP_2) | instid1(VALU_DEP_2)
	v_pk_fma_f32 v[28:29], v[28:29], v[8:9], v[4:5]
	v_sub_f32_e32 v4, v103, v1
	v_cvt_f16_f32_e32 v8, v8
	v_mul_f32_e32 v5, 0x3fb8aa3b, v4
	v_cmp_ngt_f32_e32 vcc_lo, 0xc2ce8ed0, v4
	s_delay_alu instid0(VALU_DEP_3) | instskip(NEXT) | instid1(VALU_DEP_3)
	v_and_b32_e32 v8, 0xffff, v8
	v_fma_f32 v10, 0x3fb8aa3b, v4, -v5
	v_rndne_f32_e32 v11, v5
	s_delay_alu instid0(VALU_DEP_3) | instskip(NEXT) | instid1(VALU_DEP_2)
	v_mul_u32_u24_e32 v8, 0x10001, v8
	v_dual_fmac_f32 v10, 0x32a5705f, v4 :: v_dual_sub_f32 v5, v5, v11
	v_cvt_i32_f32_e32 v11, v11
	s_delay_alu instid0(VALU_DEP_2) | instskip(NEXT) | instid1(VALU_DEP_1)
	v_dual_add_f32 v5, v5, v10 :: v_dual_sub_f32 v10, v102, v0
	v_mul_f32_e32 v12, 0x3fb8aa3b, v10
	v_cmp_ngt_f32_e64 s2, 0xc2ce8ed0, v10
	s_delay_alu instid0(VALU_DEP_2) | instskip(SKIP_1) | instid1(VALU_DEP_2)
	v_fma_f32 v13, 0x3fb8aa3b, v10, -v12
	v_rndne_f32_e32 v14, v12
	v_fmac_f32_e32 v13, 0x32a5705f, v10
	s_delay_alu instid0(VALU_DEP_2) | instskip(NEXT) | instid1(VALU_DEP_1)
	v_sub_f32_e32 v12, v12, v14
	v_add_f32_e32 v12, v12, v13
	v_exp_f32_e32 v5, v5
	v_mul_u32_u24_e32 v13, 0x10001, v110
	s_delay_alu instid0(VALU_DEP_2) | instskip(NEXT) | instid1(TRANS32_DEP_2)
	v_exp_f32_e32 v12, v12
	v_ldexp_f32 v5, v5, v11
	v_cvt_i32_f32_e32 v11, v14
	s_delay_alu instid0(VALU_DEP_2)
	v_cndmask_b32_e32 v5, 0, v5, vcc_lo
	s_delay_alu instid0(TRANS32_DEP_1) | instid1(VALU_DEP_2)
	v_ldexp_f32 v11, v12, v11
	v_cmp_nlt_f32_e32 vcc_lo, 0x42b17218, v4
	s_delay_alu instid0(VALU_DEP_2) | instskip(SKIP_2) | instid1(VALU_DEP_2)
	v_cndmask_b32_e64 v4, 0, v11, s2
	v_cmp_nlt_f32_e64 s2, 0x42b17218, v10
	v_cndmask_b32_e32 v5, 0x7f800000, v5, vcc_lo
	v_cndmask_b32_e64 v4, 0x7f800000, v4, s2
	s_delay_alu instid0(VALU_DEP_2) | instskip(SKIP_1) | instid1(SALU_CYCLE_1)
	v_cvt_f16_f32_e32 v10, v5
	s_or_b32 s2, s18, 64
	s_ashr_i32 s3, s2, 31
	s_delay_alu instid0(VALU_DEP_2) | instskip(SKIP_4) | instid1(VALU_DEP_3)
	v_pk_fma_f32 v[30:31], v[30:31], v[4:5], v[6:7]
	v_cvt_f16_f32_e32 v5, v9
	v_cvt_f16_f32_e32 v4, v4
	v_and_b32_e32 v10, 0xffff, v10
	s_mul_u64 s[2:3], s[2:3], s[22:23]
	v_and_b32_e32 v5, 0xffff, v5
	s_delay_alu instid0(VALU_DEP_3) | instskip(NEXT) | instid1(VALU_DEP_3)
	v_and_b32_e32 v4, 0xffff, v4
	v_mul_u32_u24_e32 v10, 0x10001, v10
	s_lshl_b64 s[2:3], s[2:3], 2
	s_delay_alu instid0(VALU_DEP_3) | instskip(NEXT) | instid1(VALU_DEP_3)
	v_mul_u32_u24_e32 v5, 0x10001, v5
	v_mul_u32_u24_e32 v12, 0x10001, v4
	s_add_nc_u64 s[2:3], s[42:43], s[2:3]
	s_delay_alu instid0(VALU_DEP_2)
	v_pk_mul_f16 v9, v94, v5
	v_pk_mul_f16 v11, v95, v5
	ds_load_2addr_b64 v[4:7], v66 offset1:32
	s_wait_dscnt 0x0
	v_pk_mul_f16 v14, v4, v13
	v_pk_mul_f16 v20, v4, v15
	;; [unrolled: 1-line block ×3, first 2 shown]
	v_pk_fma_f16 v4, v4, v23, v9
	v_pk_fma_f16 v9, v5, v23, v11
	;; [unrolled: 1-line block ×3, first 2 shown]
	v_pk_mul_f16 v12, v101, v12
	v_pk_fma_f16 v20, v99, v10, v20
	v_pk_mul_f16 v10, v98, v10
	v_pk_fma_f16 v22, v97, v8, v22
	v_pk_mul_f16 v8, v96, v8
	v_pk_fma_f16 v11, v5, v13, v12
	s_delay_alu instid0(VALU_DEP_4) | instskip(NEXT) | instid1(VALU_DEP_3)
	v_pk_fma_f16 v10, v5, v15, v10
	v_pk_fma_f16 v5, v5, v21, v8
	v_mul_u32_u24_e32 v8, 0x10001, v113
	v_mul_u32_u24_e32 v21, 0x10001, v118
	s_delay_alu instid0(VALU_DEP_2) | instskip(SKIP_2) | instid1(VALU_DEP_2)
	v_pk_fma_f16 v12, v6, v8, v4
	v_mul_u32_u24_e32 v4, 0x10001, v114
	v_pk_fma_f16 v8, v7, v8, v9
	v_pk_fma_f16 v9, v7, v4, v11
	v_pk_fma_f16 v11, v6, v4, v14
	v_mul_u32_u24_e32 v4, 0x10001, v112
	s_delay_alu instid0(VALU_DEP_1) | instskip(SKIP_3) | instid1(VALU_DEP_2)
	v_pk_fma_f16 v10, v7, v4, v10
	v_pk_fma_f16 v13, v6, v4, v20
	v_mul_u32_u24_e32 v4, 0x10001, v115
	v_mul_u32_u24_e32 v20, 0x10001, v117
	v_pk_fma_f16 v14, v7, v4, v5
	v_pk_fma_f16 v15, v6, v4, v22
	ds_load_2addr_b64 v[4:7], v66 offset0:64 offset1:96
	v_mul_u32_u24_e32 v22, 0x10001, v116
	s_wait_dscnt 0x0
	v_pk_fma_f16 v12, v4, v20, v12
	v_pk_fma_f16 v23, v5, v21, v9
	s_delay_alu instid0(VALU_DEP_3)
	v_pk_fma_f16 v50, v5, v22, v10
	v_pk_fma_f16 v20, v5, v20, v8
	v_pk_fma_f16 v21, v4, v21, v11
	v_pk_fma_f16 v13, v4, v22, v13
	v_mul_u32_u24_e32 v22, 0x10001, v119
	ds_load_b128 v[8:11], v82 offset:128
	v_pk_fma_f16 v20, v7, v51, v20
	v_pk_fma_f16 v23, v7, v52, v23
	;; [unrolled: 1-line block ×7, first 2 shown]
	ds_load_b128 v[12:15], v82 offset:144
	v_mul_u32_u24_e32 v52, 0x10001, v123
	v_pk_fma_f16 v50, v7, v53, v50
	s_delay_alu instid0(VALU_DEP_2)
	v_pk_fma_f16 v53, v7, v52, v5
	v_pk_fma_f16 v52, v6, v52, v4
	ds_load_2addr_b64 v[4:7], v66 offset0:128 offset1:160
	s_wait_dscnt 0x2
	v_lshrrev_b32_e32 v54, 16, v8
	v_and_b32_e32 v56, 0xffff, v8
	v_lshrrev_b32_e32 v58, 16, v10
	v_and_b32_e32 v60, 0xffff, v10
	v_mul_u32_u24_e32 v8, 0x10001, v125
	v_mul_u32_u24_e32 v10, 0x10001, v126
	v_dual_lshrrev_b32 v55, 16, v9 :: v_dual_lshrrev_b32 v59, 16, v11
	s_wait_dscnt 0x1
	v_dual_lshrrev_b32 v62, 16, v12 :: v_dual_lshrrev_b32 v63, 16, v13
	v_and_b32_e32 v94, 0xffff, v12
	v_dual_lshrrev_b32 v96, 16, v14 :: v_dual_lshrrev_b32 v97, 16, v15
	v_and_b32_e32 v98, 0xffff, v14
	v_mul_u32_u24_e32 v12, 0x10001, v124
	v_mul_u32_u24_e32 v14, 0x10001, v127
	v_and_b32_e32 v57, 0xffff, v9
	v_and_b32_e32 v61, 0xffff, v11
	;; [unrolled: 1-line block ×3, first 2 shown]
	s_wait_dscnt 0x0
	v_pk_fma_f16 v9, v4, v8, v22
	v_pk_fma_f16 v8, v5, v8, v20
	;; [unrolled: 1-line block ×8, first 2 shown]
	v_mul_u32_u24_e32 v14, 0x10001, v129
	v_and_b32_e32 v99, 0xffff, v15
	v_mul_u32_u24_e32 v20, 0x10001, v133
	v_mul_u32_u24_e32 v21, 0x10001, v132
	;; [unrolled: 1-line block ×3, first 2 shown]
	v_pk_fma_f16 v9, v6, v14, v9
	v_pk_fma_f16 v8, v7, v14, v8
	v_mul_u32_u24_e32 v14, 0x10001, v130
	s_delay_alu instid0(VALU_DEP_1) | instskip(SKIP_2) | instid1(VALU_DEP_1)
	v_pk_fma_f16 v11, v7, v14, v11
	v_pk_fma_f16 v10, v6, v14, v10
	v_mul_u32_u24_e32 v14, 0x10001, v128
	v_pk_fma_f16 v13, v7, v14, v13
	v_pk_fma_f16 v12, v6, v14, v12
	v_mul_u32_u24_e32 v14, 0x10001, v131
	s_delay_alu instid0(VALU_DEP_1)
	v_pk_fma_f16 v15, v7, v14, v5
	v_pk_fma_f16 v14, v6, v14, v4
	ds_load_2addr_b64 v[4:7], v66 offset0:192 offset1:224
	s_wait_dscnt 0x0
	v_pk_fma_f16 v22, v4, v20, v9
	v_pk_fma_f16 v23, v5, v16, v11
	;; [unrolled: 1-line block ×6, first 2 shown]
	v_mul_u32_u24_e32 v21, 0x10001, v135
	ds_load_b128 v[8:11], v82 offset:160
	v_pk_fma_f16 v5, v5, v17, v15
	v_pk_fma_f16 v4, v4, v17, v14
	;; [unrolled: 1-line block ×8, first 2 shown]
	ds_load_b128 v[12:15], v82 offset:176
	v_pk_fma_f16 v23, v7, v19, v5
	v_pk_fma_f16 v19, v6, v19, v4
	ds_load_2addr_b64 v[4:7], v87 offset1:32
	s_wait_dscnt 0x2
	v_dual_lshrrev_b32 v50, 16, v8 :: v_dual_lshrrev_b32 v51, 16, v9
	v_and_b32_e32 v52, 0xffff, v8
	v_dual_lshrrev_b32 v100, 16, v10 :: v_dual_lshrrev_b32 v101, 16, v11
	v_and_b32_e32 v102, 0xffff, v10
	v_mul_u32_u24_e32 v8, 0x10001, v137
	v_mul_u32_u24_e32 v10, 0x10001, v106
	v_and_b32_e32 v53, 0xffff, v9
	s_wait_dscnt 0x1
	v_dual_lshrrev_b32 v104, 16, v12 :: v_dual_lshrrev_b32 v105, 16, v13
	v_and_b32_e32 v110, 0xffff, v12
	v_dual_lshrrev_b32 v112, 16, v14 :: v_dual_lshrrev_b32 v113, 16, v15
	v_and_b32_e32 v114, 0xffff, v14
	v_mul_u32_u24_e32 v12, 0x10001, v136
	v_mul_u32_u24_e32 v14, 0x10001, v107
	v_and_b32_e32 v103, 0xffff, v11
	v_and_b32_e32 v111, 0xffff, v13
	s_wait_dscnt 0x0
	v_pk_fma_f16 v9, v4, v8, v17
	v_pk_fma_f16 v8, v5, v8, v20
	;; [unrolled: 1-line block ×8, first 2 shown]
	v_mul_u32_u24_e32 v14, 0x10001, v139
	v_and_b32_e32 v115, 0xffff, v15
	v_mul_u32_u24_e32 v16, 0x10001, v141
	v_mul_u32_u24_e32 v17, 0x10001, v142
	;; [unrolled: 1-line block ×3, first 2 shown]
	v_pk_fma_f16 v9, v6, v14, v9
	v_pk_fma_f16 v8, v7, v14, v8
	v_mul_u32_u24_e32 v14, 0x10001, v108
	v_mul_u32_u24_e32 v21, 0x10001, v145
	;; [unrolled: 1-line block ×4, first 2 shown]
	s_delay_alu instid0(VALU_DEP_4) | instskip(SKIP_2) | instid1(VALU_DEP_1)
	v_pk_fma_f16 v11, v7, v14, v11
	v_pk_fma_f16 v10, v6, v14, v10
	v_mul_u32_u24_e32 v14, 0x10001, v138
	v_pk_fma_f16 v13, v7, v14, v13
	v_pk_fma_f16 v12, v6, v14, v12
	v_mul_u32_u24_e32 v14, 0x10001, v109
	s_delay_alu instid0(VALU_DEP_1)
	v_pk_fma_f16 v15, v7, v14, v5
	v_pk_fma_f16 v14, v6, v14, v4
	ds_load_2addr_b64 v[4:7], v87 offset0:64 offset1:96
	s_wait_dscnt 0x0
	v_pk_fma_f16 v19, v4, v16, v9
	v_pk_fma_f16 v20, v5, v17, v11
	;; [unrolled: 1-line block ×6, first 2 shown]
	v_mul_u32_u24_e32 v18, 0x10001, v143
	ds_load_b128 v[8:11], v82 offset:192
	v_pk_fma_f16 v16, v7, v21, v16
	v_pk_fma_f16 v17, v6, v22, v17
	;; [unrolled: 1-line block ×8, first 2 shown]
	ds_load_b128 v[12:15], v82 offset:208
	v_mul_u32_u24_e32 v22, 0x10001, v147
	s_delay_alu instid0(VALU_DEP_1)
	v_pk_fma_f16 v23, v7, v22, v5
	v_pk_fma_f16 v22, v6, v22, v4
	ds_load_2addr_b64 v[4:7], v87 offset0:128 offset1:160
	s_wait_dscnt 0x2
	v_dual_lshrrev_b32 v106, 16, v8 :: v_dual_lshrrev_b32 v107, 16, v9
	v_and_b32_e32 v108, 0xffff, v8
	v_dual_lshrrev_b32 v116, 16, v10 :: v_dual_lshrrev_b32 v117, 16, v11
	v_and_b32_e32 v118, 0xffff, v10
	v_mul_u32_u24_e32 v8, 0x10001, v149
	v_mul_u32_u24_e32 v10, 0x10001, v150
	v_and_b32_e32 v109, 0xffff, v9
	v_and_b32_e32 v119, 0xffff, v11
	s_wait_dscnt 0x1
	v_dual_lshrrev_b32 v120, 16, v12 :: v_dual_lshrrev_b32 v121, 16, v13
	v_and_b32_e32 v122, 0xffff, v12
	v_dual_lshrrev_b32 v124, 16, v14 :: v_dual_lshrrev_b32 v125, 16, v15
	v_and_b32_e32 v126, 0xffff, v14
	v_mul_u32_u24_e32 v12, 0x10001, v148
	v_mul_u32_u24_e32 v14, 0x10001, v151
	v_and_b32_e32 v123, 0xffff, v13
	s_wait_dscnt 0x0
	v_pk_fma_f16 v9, v4, v8, v18
	v_pk_fma_f16 v8, v5, v8, v16
	;; [unrolled: 1-line block ×8, first 2 shown]
	v_mul_u32_u24_e32 v14, 0x10001, v153
	v_and_b32_e32 v127, 0xffff, v15
	v_mul_u32_u24_e32 v16, 0x10001, v157
	v_mul_u32_u24_e32 v17, 0x10001, v158
	;; [unrolled: 1-line block ×3, first 2 shown]
	v_pk_fma_f16 v9, v6, v14, v9
	v_pk_fma_f16 v8, v7, v14, v8
	v_mul_u32_u24_e32 v14, 0x10001, v154
	v_mul_u32_u24_e32 v21, 0x10001, v161
	;; [unrolled: 1-line block ×4, first 2 shown]
	s_delay_alu instid0(VALU_DEP_4) | instskip(SKIP_2) | instid1(VALU_DEP_1)
	v_pk_fma_f16 v11, v7, v14, v11
	v_pk_fma_f16 v10, v6, v14, v10
	v_mul_u32_u24_e32 v14, 0x10001, v152
	v_pk_fma_f16 v13, v7, v14, v13
	v_pk_fma_f16 v12, v6, v14, v12
	v_mul_u32_u24_e32 v14, 0x10001, v155
	s_delay_alu instid0(VALU_DEP_1)
	v_pk_fma_f16 v15, v7, v14, v5
	v_pk_fma_f16 v14, v6, v14, v4
	ds_load_2addr_b64 v[4:7], v87 offset0:192 offset1:224
	s_wait_dscnt 0x0
	v_pk_fma_f16 v19, v4, v16, v9
	v_pk_fma_f16 v20, v5, v17, v11
	;; [unrolled: 1-line block ×6, first 2 shown]
	v_mul_u32_u24_e32 v18, 0x10001, v159
	ds_load_b128 v[8:11], v82 offset:224
	v_pk_fma_f16 v16, v7, v21, v16
	v_pk_fma_f16 v17, v6, v22, v17
	;; [unrolled: 1-line block ×8, first 2 shown]
	ds_load_b128 v[12:15], v82 offset:240
	v_mul_u32_u24_e32 v22, 0x10001, v163
	s_delay_alu instid0(VALU_DEP_1)
	v_pk_fma_f16 v23, v7, v22, v5
	v_pk_fma_f16 v22, v6, v22, v4
	ds_load_2addr_b64 v[4:7], v88 offset1:32
	s_wait_dscnt 0x2
	v_dual_lshrrev_b32 v128, 16, v8 :: v_dual_lshrrev_b32 v129, 16, v9
	v_and_b32_e32 v130, 0xffff, v8
	v_dual_lshrrev_b32 v132, 16, v10 :: v_dual_lshrrev_b32 v133, 16, v11
	v_and_b32_e32 v134, 0xffff, v10
	v_mul_u32_u24_e32 v8, 0x10001, v55
	v_mul_u32_u24_e32 v10, 0x10001, v56
	v_and_b32_e32 v131, 0xffff, v9
	v_and_b32_e32 v135, 0xffff, v11
	s_wait_dscnt 0x1
	v_dual_lshrrev_b32 v136, 16, v12 :: v_dual_lshrrev_b32 v137, 16, v13
	v_and_b32_e32 v138, 0xffff, v12
	v_dual_lshrrev_b32 v140, 16, v14 :: v_dual_lshrrev_b32 v141, 16, v15
	v_and_b32_e32 v142, 0xffff, v14
	v_mul_u32_u24_e32 v12, 0x10001, v54
	v_mul_u32_u24_e32 v14, 0x10001, v57
	v_and_b32_e32 v139, 0xffff, v13
	s_wait_dscnt 0x0
	v_pk_fma_f16 v9, v4, v8, v18
	v_pk_fma_f16 v8, v5, v8, v16
	v_pk_fma_f16 v11, v5, v10, v19
	v_pk_fma_f16 v10, v4, v10, v17
	v_pk_fma_f16 v13, v5, v12, v20
	v_pk_fma_f16 v12, v4, v12, v21
	v_pk_fma_f16 v5, v5, v14, v23
	v_pk_fma_f16 v4, v4, v14, v22
	v_mul_u32_u24_e32 v14, 0x10001, v59
	v_and_b32_e32 v143, 0xffff, v15
	v_mul_u32_u24_e32 v16, 0x10001, v63
	v_mul_u32_u24_e32 v17, 0x10001, v94
	;; [unrolled: 1-line block ×3, first 2 shown]
	v_pk_fma_f16 v9, v6, v14, v9
	v_pk_fma_f16 v8, v7, v14, v8
	v_mul_u32_u24_e32 v14, 0x10001, v60
	v_mul_u32_u24_e32 v21, 0x10001, v97
	;; [unrolled: 1-line block ×4, first 2 shown]
	s_delay_alu instid0(VALU_DEP_4) | instskip(SKIP_2) | instid1(VALU_DEP_1)
	v_pk_fma_f16 v11, v7, v14, v11
	v_pk_fma_f16 v10, v6, v14, v10
	v_mul_u32_u24_e32 v14, 0x10001, v58
	v_pk_fma_f16 v13, v7, v14, v13
	v_pk_fma_f16 v12, v6, v14, v12
	v_mul_u32_u24_e32 v14, 0x10001, v61
	s_delay_alu instid0(VALU_DEP_1)
	v_pk_fma_f16 v15, v7, v14, v5
	v_pk_fma_f16 v14, v6, v14, v4
	ds_load_2addr_b64 v[4:7], v88 offset0:64 offset1:96
	s_wait_dscnt 0x0
	v_pk_fma_f16 v19, v4, v16, v9
	v_pk_fma_f16 v20, v5, v17, v11
	v_pk_fma_f16 v13, v5, v18, v13
	v_pk_fma_f16 v16, v5, v16, v8
	v_pk_fma_f16 v17, v4, v17, v10
	v_pk_fma_f16 v12, v4, v18, v12
	v_mul_u32_u24_e32 v18, 0x10001, v95
	ds_load_b128 v[8:11], v82 offset:256
	v_pk_fma_f16 v16, v7, v21, v16
	v_pk_fma_f16 v17, v6, v22, v17
	;; [unrolled: 1-line block ×8, first 2 shown]
	ds_load_b128 v[12:15], v82 offset:272
	v_mul_u32_u24_e32 v22, 0x10001, v99
	s_delay_alu instid0(VALU_DEP_1)
	v_pk_fma_f16 v23, v7, v22, v5
	v_pk_fma_f16 v22, v6, v22, v4
	ds_load_2addr_b64 v[4:7], v88 offset0:128 offset1:160
	s_wait_dscnt 0x2
	v_dual_lshrrev_b32 v54, 16, v8 :: v_dual_lshrrev_b32 v55, 16, v9
	v_and_b32_e32 v56, 0xffff, v8
	v_dual_lshrrev_b32 v58, 16, v10 :: v_dual_lshrrev_b32 v59, 16, v11
	v_and_b32_e32 v60, 0xffff, v10
	v_mul_u32_u24_e32 v8, 0x10001, v51
	v_mul_u32_u24_e32 v10, 0x10001, v52
	v_and_b32_e32 v57, 0xffff, v9
	v_and_b32_e32 v61, 0xffff, v11
	s_wait_dscnt 0x1
	v_dual_lshrrev_b32 v62, 16, v12 :: v_dual_lshrrev_b32 v63, 16, v13
	v_and_b32_e32 v94, 0xffff, v12
	v_dual_lshrrev_b32 v96, 16, v14 :: v_dual_lshrrev_b32 v97, 16, v15
	v_and_b32_e32 v98, 0xffff, v14
	v_mul_u32_u24_e32 v12, 0x10001, v50
	v_mul_u32_u24_e32 v14, 0x10001, v53
	v_and_b32_e32 v95, 0xffff, v13
	s_wait_dscnt 0x0
	v_pk_fma_f16 v9, v4, v8, v18
	v_pk_fma_f16 v8, v5, v8, v16
	;; [unrolled: 1-line block ×8, first 2 shown]
	v_mul_u32_u24_e32 v14, 0x10001, v101
	v_and_b32_e32 v99, 0xffff, v15
	v_mul_u32_u24_e32 v16, 0x10001, v105
	v_mul_u32_u24_e32 v17, 0x10001, v110
	;; [unrolled: 1-line block ×3, first 2 shown]
	v_pk_fma_f16 v9, v6, v14, v9
	v_pk_fma_f16 v8, v7, v14, v8
	v_mul_u32_u24_e32 v14, 0x10001, v102
	v_mul_u32_u24_e32 v21, 0x10001, v113
	v_mul_u32_u24_e32 v22, 0x10001, v114
	v_mul_u32_u24_e32 v23, 0x10001, v112
	s_delay_alu instid0(VALU_DEP_4) | instskip(SKIP_2) | instid1(VALU_DEP_1)
	v_pk_fma_f16 v11, v7, v14, v11
	v_pk_fma_f16 v10, v6, v14, v10
	v_mul_u32_u24_e32 v14, 0x10001, v100
	v_pk_fma_f16 v13, v7, v14, v13
	v_pk_fma_f16 v12, v6, v14, v12
	v_mul_u32_u24_e32 v14, 0x10001, v103
	s_delay_alu instid0(VALU_DEP_1)
	v_pk_fma_f16 v15, v7, v14, v5
	v_pk_fma_f16 v14, v6, v14, v4
	ds_load_2addr_b64 v[4:7], v88 offset0:192 offset1:224
	s_wait_dscnt 0x0
	v_pk_fma_f16 v19, v4, v16, v9
	v_pk_fma_f16 v20, v5, v17, v11
	;; [unrolled: 1-line block ×6, first 2 shown]
	v_mul_u32_u24_e32 v18, 0x10001, v111
	ds_load_b128 v[8:11], v82 offset:288
	v_pk_fma_f16 v16, v7, v21, v16
	v_pk_fma_f16 v17, v6, v22, v17
	;; [unrolled: 1-line block ×8, first 2 shown]
	ds_load_b128 v[12:15], v82 offset:304
	v_mul_u32_u24_e32 v22, 0x10001, v115
	s_delay_alu instid0(VALU_DEP_1)
	v_pk_fma_f16 v23, v7, v22, v5
	v_pk_fma_f16 v22, v6, v22, v4
	ds_load_2addr_b64 v[4:7], v89 offset1:32
	s_wait_dscnt 0x2
	v_dual_lshrrev_b32 v50, 16, v8 :: v_dual_lshrrev_b32 v51, 16, v9
	v_and_b32_e32 v52, 0xffff, v8
	v_dual_lshrrev_b32 v100, 16, v10 :: v_dual_lshrrev_b32 v101, 16, v11
	v_and_b32_e32 v102, 0xffff, v10
	v_mul_u32_u24_e32 v8, 0x10001, v107
	v_mul_u32_u24_e32 v10, 0x10001, v108
	v_and_b32_e32 v53, 0xffff, v9
	v_and_b32_e32 v103, 0xffff, v11
	s_wait_dscnt 0x1
	v_dual_lshrrev_b32 v104, 16, v12 :: v_dual_lshrrev_b32 v105, 16, v13
	v_and_b32_e32 v110, 0xffff, v12
	v_dual_lshrrev_b32 v112, 16, v14 :: v_dual_lshrrev_b32 v113, 16, v15
	v_and_b32_e32 v114, 0xffff, v14
	v_mul_u32_u24_e32 v12, 0x10001, v106
	v_mul_u32_u24_e32 v14, 0x10001, v109
	v_and_b32_e32 v111, 0xffff, v13
	s_wait_dscnt 0x0
	v_pk_fma_f16 v9, v4, v8, v18
	v_pk_fma_f16 v8, v5, v8, v16
	;; [unrolled: 1-line block ×8, first 2 shown]
	v_mul_u32_u24_e32 v14, 0x10001, v117
	v_and_b32_e32 v115, 0xffff, v15
	v_mul_u32_u24_e32 v16, 0x10001, v121
	v_mul_u32_u24_e32 v17, 0x10001, v122
	;; [unrolled: 1-line block ×3, first 2 shown]
	v_pk_fma_f16 v9, v6, v14, v9
	v_pk_fma_f16 v8, v7, v14, v8
	v_mul_u32_u24_e32 v14, 0x10001, v118
	v_mul_u32_u24_e32 v21, 0x10001, v125
	;; [unrolled: 1-line block ×4, first 2 shown]
	s_delay_alu instid0(VALU_DEP_4) | instskip(SKIP_2) | instid1(VALU_DEP_1)
	v_pk_fma_f16 v11, v7, v14, v11
	v_pk_fma_f16 v10, v6, v14, v10
	v_mul_u32_u24_e32 v14, 0x10001, v116
	v_pk_fma_f16 v13, v7, v14, v13
	v_pk_fma_f16 v12, v6, v14, v12
	v_mul_u32_u24_e32 v14, 0x10001, v119
	s_delay_alu instid0(VALU_DEP_1)
	v_pk_fma_f16 v15, v7, v14, v5
	v_pk_fma_f16 v14, v6, v14, v4
	ds_load_2addr_b64 v[4:7], v89 offset0:64 offset1:96
	s_wait_dscnt 0x0
	v_pk_fma_f16 v19, v4, v16, v9
	v_pk_fma_f16 v20, v5, v17, v11
	;; [unrolled: 1-line block ×6, first 2 shown]
	v_mul_u32_u24_e32 v18, 0x10001, v123
	ds_load_b128 v[8:11], v82 offset:320
	v_pk_fma_f16 v16, v7, v21, v16
	v_pk_fma_f16 v17, v6, v22, v17
	;; [unrolled: 1-line block ×8, first 2 shown]
	ds_load_b128 v[12:15], v82 offset:336
	v_mul_u32_u24_e32 v22, 0x10001, v127
	s_delay_alu instid0(VALU_DEP_1)
	v_pk_fma_f16 v23, v7, v22, v5
	v_pk_fma_f16 v22, v6, v22, v4
	ds_load_2addr_b64 v[4:7], v89 offset0:128 offset1:160
	s_wait_dscnt 0x2
	v_dual_lshrrev_b32 v106, 16, v8 :: v_dual_lshrrev_b32 v107, 16, v9
	v_and_b32_e32 v108, 0xffff, v8
	v_dual_lshrrev_b32 v116, 16, v10 :: v_dual_lshrrev_b32 v117, 16, v11
	v_and_b32_e32 v118, 0xffff, v10
	v_mul_u32_u24_e32 v8, 0x10001, v129
	v_mul_u32_u24_e32 v10, 0x10001, v130
	v_and_b32_e32 v109, 0xffff, v9
	v_and_b32_e32 v119, 0xffff, v11
	s_wait_dscnt 0x1
	v_dual_lshrrev_b32 v120, 16, v12 :: v_dual_lshrrev_b32 v121, 16, v13
	v_and_b32_e32 v122, 0xffff, v12
	v_dual_lshrrev_b32 v124, 16, v14 :: v_dual_lshrrev_b32 v125, 16, v15
	v_and_b32_e32 v126, 0xffff, v14
	v_mul_u32_u24_e32 v12, 0x10001, v128
	v_mul_u32_u24_e32 v14, 0x10001, v131
	v_and_b32_e32 v123, 0xffff, v13
	s_wait_dscnt 0x0
	v_pk_fma_f16 v9, v4, v8, v18
	v_pk_fma_f16 v8, v5, v8, v16
	;; [unrolled: 1-line block ×8, first 2 shown]
	v_mul_u32_u24_e32 v14, 0x10001, v133
	v_and_b32_e32 v127, 0xffff, v15
	v_mul_u32_u24_e32 v16, 0x10001, v137
	v_mul_u32_u24_e32 v17, 0x10001, v138
	;; [unrolled: 1-line block ×3, first 2 shown]
	v_pk_fma_f16 v9, v6, v14, v9
	v_pk_fma_f16 v8, v7, v14, v8
	v_mul_u32_u24_e32 v14, 0x10001, v134
	v_mul_u32_u24_e32 v21, 0x10001, v141
	;; [unrolled: 1-line block ×4, first 2 shown]
	s_delay_alu instid0(VALU_DEP_4) | instskip(SKIP_2) | instid1(VALU_DEP_1)
	v_pk_fma_f16 v11, v7, v14, v11
	v_pk_fma_f16 v10, v6, v14, v10
	v_mul_u32_u24_e32 v14, 0x10001, v132
	v_pk_fma_f16 v13, v7, v14, v13
	v_pk_fma_f16 v12, v6, v14, v12
	v_mul_u32_u24_e32 v14, 0x10001, v135
	s_delay_alu instid0(VALU_DEP_1)
	v_pk_fma_f16 v15, v7, v14, v5
	v_pk_fma_f16 v14, v6, v14, v4
	ds_load_2addr_b64 v[4:7], v89 offset0:192 offset1:224
	s_wait_dscnt 0x0
	v_pk_fma_f16 v19, v4, v16, v9
	v_pk_fma_f16 v20, v5, v17, v11
	;; [unrolled: 1-line block ×6, first 2 shown]
	v_mul_u32_u24_e32 v18, 0x10001, v139
	ds_load_b128 v[8:11], v82 offset:352
	v_pk_fma_f16 v16, v7, v21, v16
	v_pk_fma_f16 v17, v6, v22, v17
	;; [unrolled: 1-line block ×8, first 2 shown]
	ds_load_b128 v[12:15], v82 offset:368
	v_mul_u32_u24_e32 v22, 0x10001, v143
	s_delay_alu instid0(VALU_DEP_1)
	v_pk_fma_f16 v23, v7, v22, v5
	v_pk_fma_f16 v22, v6, v22, v4
	ds_load_2addr_b64 v[4:7], v90 offset1:32
	s_wait_dscnt 0x2
	v_dual_lshrrev_b32 v128, 16, v8 :: v_dual_lshrrev_b32 v129, 16, v9
	v_and_b32_e32 v130, 0xffff, v8
	v_dual_lshrrev_b32 v132, 16, v10 :: v_dual_lshrrev_b32 v133, 16, v11
	v_and_b32_e32 v134, 0xffff, v10
	v_mul_u32_u24_e32 v8, 0x10001, v55
	v_mul_u32_u24_e32 v10, 0x10001, v56
	v_and_b32_e32 v131, 0xffff, v9
	v_and_b32_e32 v135, 0xffff, v11
	s_wait_dscnt 0x1
	v_dual_lshrrev_b32 v136, 16, v12 :: v_dual_lshrrev_b32 v137, 16, v13
	v_and_b32_e32 v138, 0xffff, v12
	v_dual_lshrrev_b32 v140, 16, v14 :: v_dual_lshrrev_b32 v141, 16, v15
	v_and_b32_e32 v142, 0xffff, v14
	v_mul_u32_u24_e32 v12, 0x10001, v54
	v_mul_u32_u24_e32 v14, 0x10001, v57
	v_and_b32_e32 v139, 0xffff, v13
	s_wait_dscnt 0x0
	v_pk_fma_f16 v9, v4, v8, v18
	v_pk_fma_f16 v8, v5, v8, v16
	;; [unrolled: 1-line block ×8, first 2 shown]
	v_mul_u32_u24_e32 v14, 0x10001, v59
	v_and_b32_e32 v143, 0xffff, v15
	v_mul_u32_u24_e32 v16, 0x10001, v63
	v_mul_u32_u24_e32 v17, 0x10001, v94
	v_mul_u32_u24_e32 v18, 0x10001, v62
	v_pk_fma_f16 v9, v6, v14, v9
	v_pk_fma_f16 v8, v7, v14, v8
	v_mul_u32_u24_e32 v14, 0x10001, v60
	v_mul_u32_u24_e32 v21, 0x10001, v97
	;; [unrolled: 1-line block ×4, first 2 shown]
	s_delay_alu instid0(VALU_DEP_4) | instskip(SKIP_2) | instid1(VALU_DEP_1)
	v_pk_fma_f16 v11, v7, v14, v11
	v_pk_fma_f16 v10, v6, v14, v10
	v_mul_u32_u24_e32 v14, 0x10001, v58
	v_pk_fma_f16 v13, v7, v14, v13
	v_pk_fma_f16 v12, v6, v14, v12
	v_mul_u32_u24_e32 v14, 0x10001, v61
	s_delay_alu instid0(VALU_DEP_1)
	v_pk_fma_f16 v15, v7, v14, v5
	v_pk_fma_f16 v14, v6, v14, v4
	ds_load_2addr_b64 v[4:7], v90 offset0:64 offset1:96
	s_wait_dscnt 0x0
	v_pk_fma_f16 v19, v4, v16, v9
	v_pk_fma_f16 v20, v5, v17, v11
	;; [unrolled: 1-line block ×6, first 2 shown]
	v_mul_u32_u24_e32 v18, 0x10001, v95
	ds_load_b128 v[8:11], v82 offset:384
	v_pk_fma_f16 v16, v7, v21, v16
	v_pk_fma_f16 v17, v6, v22, v17
	;; [unrolled: 1-line block ×8, first 2 shown]
	ds_load_b128 v[12:15], v82 offset:400
	v_mul_u32_u24_e32 v22, 0x10001, v99
	s_delay_alu instid0(VALU_DEP_1)
	v_pk_fma_f16 v23, v7, v22, v5
	v_pk_fma_f16 v22, v6, v22, v4
	ds_load_2addr_b64 v[4:7], v90 offset0:128 offset1:160
	s_wait_dscnt 0x2
	v_dual_lshrrev_b32 v54, 16, v8 :: v_dual_lshrrev_b32 v55, 16, v9
	v_and_b32_e32 v56, 0xffff, v8
	v_dual_lshrrev_b32 v58, 16, v10 :: v_dual_lshrrev_b32 v59, 16, v11
	v_and_b32_e32 v60, 0xffff, v10
	v_mul_u32_u24_e32 v8, 0x10001, v51
	v_mul_u32_u24_e32 v10, 0x10001, v52
	v_and_b32_e32 v57, 0xffff, v9
	v_and_b32_e32 v61, 0xffff, v11
	s_wait_dscnt 0x1
	v_dual_lshrrev_b32 v62, 16, v12 :: v_dual_lshrrev_b32 v63, 16, v13
	v_and_b32_e32 v94, 0xffff, v12
	v_dual_lshrrev_b32 v96, 16, v14 :: v_dual_lshrrev_b32 v97, 16, v15
	v_and_b32_e32 v98, 0xffff, v14
	v_mul_u32_u24_e32 v12, 0x10001, v50
	v_mul_u32_u24_e32 v14, 0x10001, v53
	v_and_b32_e32 v95, 0xffff, v13
	s_wait_dscnt 0x0
	v_pk_fma_f16 v9, v4, v8, v18
	v_pk_fma_f16 v8, v5, v8, v16
	;; [unrolled: 1-line block ×8, first 2 shown]
	v_mul_u32_u24_e32 v14, 0x10001, v101
	v_and_b32_e32 v99, 0xffff, v15
	v_mul_u32_u24_e32 v16, 0x10001, v105
	v_mul_u32_u24_e32 v17, 0x10001, v110
	v_mul_u32_u24_e32 v18, 0x10001, v104
	v_pk_fma_f16 v9, v6, v14, v9
	v_pk_fma_f16 v8, v7, v14, v8
	v_mul_u32_u24_e32 v14, 0x10001, v102
	v_mul_u32_u24_e32 v21, 0x10001, v113
	;; [unrolled: 1-line block ×4, first 2 shown]
	s_delay_alu instid0(VALU_DEP_4) | instskip(SKIP_2) | instid1(VALU_DEP_1)
	v_pk_fma_f16 v11, v7, v14, v11
	v_pk_fma_f16 v10, v6, v14, v10
	v_mul_u32_u24_e32 v14, 0x10001, v100
	v_pk_fma_f16 v13, v7, v14, v13
	v_pk_fma_f16 v12, v6, v14, v12
	v_mul_u32_u24_e32 v14, 0x10001, v103
	s_delay_alu instid0(VALU_DEP_1)
	v_pk_fma_f16 v15, v7, v14, v5
	v_pk_fma_f16 v14, v6, v14, v4
	ds_load_2addr_b64 v[4:7], v90 offset0:192 offset1:224
	s_wait_dscnt 0x0
	v_pk_fma_f16 v19, v4, v16, v9
	v_pk_fma_f16 v20, v5, v17, v11
	;; [unrolled: 1-line block ×6, first 2 shown]
	v_mul_u32_u24_e32 v18, 0x10001, v111
	ds_load_b128 v[8:11], v82 offset:416
	v_pk_fma_f16 v16, v7, v21, v16
	v_pk_fma_f16 v17, v6, v22, v17
	;; [unrolled: 1-line block ×8, first 2 shown]
	ds_load_b128 v[12:15], v82 offset:432
	v_mul_u32_u24_e32 v22, 0x10001, v115
	s_delay_alu instid0(VALU_DEP_1)
	v_pk_fma_f16 v23, v7, v22, v5
	v_pk_fma_f16 v22, v6, v22, v4
	ds_load_2addr_b64 v[4:7], v91 offset1:32
	s_wait_dscnt 0x2
	v_dual_lshrrev_b32 v50, 16, v8 :: v_dual_lshrrev_b32 v51, 16, v9
	v_and_b32_e32 v52, 0xffff, v8
	v_dual_lshrrev_b32 v101, 16, v10 :: v_dual_lshrrev_b32 v102, 16, v11
	v_and_b32_e32 v103, 0xffff, v10
	v_mul_u32_u24_e32 v8, 0x10001, v107
	v_mul_u32_u24_e32 v10, 0x10001, v108
	v_and_b32_e32 v100, 0xffff, v9
	v_and_b32_e32 v104, 0xffff, v11
	s_wait_dscnt 0x1
	v_dual_lshrrev_b32 v105, 16, v12 :: v_dual_lshrrev_b32 v110, 16, v13
	v_and_b32_e32 v111, 0xffff, v12
	v_dual_lshrrev_b32 v113, 16, v14 :: v_dual_lshrrev_b32 v114, 16, v15
	v_and_b32_e32 v115, 0xffff, v14
	v_mul_u32_u24_e32 v12, 0x10001, v106
	v_mul_u32_u24_e32 v14, 0x10001, v109
	v_and_b32_e32 v112, 0xffff, v13
	s_wait_dscnt 0x0
	v_pk_fma_f16 v9, v4, v8, v18
	v_pk_fma_f16 v8, v5, v8, v16
	;; [unrolled: 1-line block ×8, first 2 shown]
	v_mul_u32_u24_e32 v14, 0x10001, v117
	v_and_b32_e32 v144, 0xffff, v15
	v_mul_u32_u24_e32 v16, 0x10001, v121
	v_mul_u32_u24_e32 v17, 0x10001, v122
	;; [unrolled: 1-line block ×3, first 2 shown]
	v_pk_fma_f16 v9, v6, v14, v9
	v_pk_fma_f16 v8, v7, v14, v8
	v_mul_u32_u24_e32 v14, 0x10001, v118
	v_mul_u32_u24_e32 v21, 0x10001, v125
	;; [unrolled: 1-line block ×5, first 2 shown]
	v_pk_fma_f16 v11, v7, v14, v11
	v_pk_fma_f16 v10, v6, v14, v10
	v_mul_u32_u24_e32 v14, 0x10001, v116
	s_delay_alu instid0(VALU_DEP_1) | instskip(SKIP_2) | instid1(VALU_DEP_1)
	v_pk_fma_f16 v13, v7, v14, v13
	v_pk_fma_f16 v12, v6, v14, v12
	v_mul_u32_u24_e32 v14, 0x10001, v119
	v_pk_fma_f16 v15, v7, v14, v5
	v_pk_fma_f16 v14, v6, v14, v4
	ds_load_2addr_b64 v[4:7], v91 offset0:64 offset1:96
	s_wait_dscnt 0x0
	v_pk_fma_f16 v19, v4, v16, v9
	v_pk_fma_f16 v20, v5, v17, v11
	;; [unrolled: 1-line block ×6, first 2 shown]
	v_mul_u32_u24_e32 v18, 0x10001, v123
	ds_load_b128 v[8:11], v82 offset:448
	v_pk_fma_f16 v16, v7, v21, v16
	v_pk_fma_f16 v17, v6, v22, v17
	v_pk_fma_f16 v5, v5, v18, v15
	v_pk_fma_f16 v4, v4, v18, v14
	v_pk_fma_f16 v18, v6, v21, v19
	v_pk_fma_f16 v19, v7, v22, v20
	v_pk_fma_f16 v20, v7, v23, v13
	v_pk_fma_f16 v21, v6, v23, v12
	ds_load_b128 v[12:15], v82 offset:464
	v_mul_u32_u24_e32 v22, 0x10001, v127
	s_delay_alu instid0(VALU_DEP_1)
	v_pk_fma_f16 v23, v7, v22, v5
	v_pk_fma_f16 v22, v6, v22, v4
	ds_load_2addr_b64 v[4:7], v91 offset0:128 offset1:160
	s_wait_dscnt 0x2
	v_dual_lshrrev_b32 v106, 16, v8 :: v_dual_lshrrev_b32 v107, 16, v9
	v_and_b32_e32 v108, 0xffff, v8
	v_dual_lshrrev_b32 v116, 16, v10 :: v_dual_lshrrev_b32 v117, 16, v11
	v_and_b32_e32 v118, 0xffff, v10
	v_mul_u32_u24_e32 v8, 0x10001, v129
	v_mul_u32_u24_e32 v10, 0x10001, v130
	v_and_b32_e32 v109, 0xffff, v9
	v_and_b32_e32 v119, 0xffff, v11
	s_wait_dscnt 0x1
	v_dual_lshrrev_b32 v120, 16, v12 :: v_dual_lshrrev_b32 v121, 16, v13
	v_and_b32_e32 v122, 0xffff, v12
	v_dual_lshrrev_b32 v124, 16, v14 :: v_dual_lshrrev_b32 v125, 16, v15
	v_and_b32_e32 v126, 0xffff, v14
	v_mul_u32_u24_e32 v12, 0x10001, v128
	v_mul_u32_u24_e32 v14, 0x10001, v131
	v_and_b32_e32 v123, 0xffff, v13
	s_wait_dscnt 0x0
	v_pk_fma_f16 v9, v4, v8, v18
	v_pk_fma_f16 v8, v5, v8, v16
	;; [unrolled: 1-line block ×8, first 2 shown]
	v_mul_u32_u24_e32 v14, 0x10001, v133
	v_and_b32_e32 v127, 0xffff, v15
	v_mul_u32_u24_e32 v16, 0x10001, v137
	v_mul_u32_u24_e32 v17, 0x10001, v138
	;; [unrolled: 1-line block ×3, first 2 shown]
	v_pk_fma_f16 v9, v6, v14, v9
	v_pk_fma_f16 v8, v7, v14, v8
	v_mul_u32_u24_e32 v14, 0x10001, v134
	v_mul_u32_u24_e32 v21, 0x10001, v141
	;; [unrolled: 1-line block ×4, first 2 shown]
	s_delay_alu instid0(VALU_DEP_4) | instskip(SKIP_2) | instid1(VALU_DEP_1)
	v_pk_fma_f16 v11, v7, v14, v11
	v_pk_fma_f16 v10, v6, v14, v10
	v_mul_u32_u24_e32 v14, 0x10001, v132
	v_pk_fma_f16 v13, v7, v14, v13
	v_pk_fma_f16 v12, v6, v14, v12
	v_mul_u32_u24_e32 v14, 0x10001, v135
	s_delay_alu instid0(VALU_DEP_1)
	v_pk_fma_f16 v15, v7, v14, v5
	v_pk_fma_f16 v14, v6, v14, v4
	ds_load_2addr_b64 v[4:7], v91 offset0:192 offset1:224
	s_wait_dscnt 0x0
	v_pk_fma_f16 v19, v4, v16, v9
	v_pk_fma_f16 v20, v5, v17, v11
	;; [unrolled: 1-line block ×6, first 2 shown]
	v_mul_u32_u24_e32 v18, 0x10001, v139
	ds_load_b128 v[8:11], v82 offset:480
	v_pk_fma_f16 v20, v7, v22, v20
	v_pk_fma_f16 v13, v7, v23, v13
	;; [unrolled: 1-line block ×8, first 2 shown]
	v_mul_u32_u24_e32 v22, 0x10001, v143
	ds_load_b128 v[16:19], v82 offset:496
	v_pk_fma_f16 v23, v7, v22, v5
	v_pk_fma_f16 v22, v6, v22, v4
	ds_load_2addr_b64 v[4:7], v92 offset1:32
	s_wait_dscnt 0x2
	v_dual_lshrrev_b32 v128, 16, v8 :: v_dual_lshrrev_b32 v129, 16, v9
	v_and_b32_e32 v130, 0xffff, v8
	v_mul_u32_u24_e32 v8, 0x10001, v55
	v_and_b32_e32 v131, 0xffff, v9
	v_dual_lshrrev_b32 v132, 16, v10 :: v_dual_lshrrev_b32 v133, 16, v11
	v_and_b32_e32 v134, 0xffff, v10
	v_mul_u32_u24_e32 v10, 0x10001, v56
	v_and_b32_e32 v135, 0xffff, v11
	s_wait_dscnt 0x0
	v_pk_fma_f16 v9, v4, v8, v14
	v_mul_u32_u24_e32 v14, 0x10001, v54
	v_pk_fma_f16 v11, v5, v10, v20
	v_pk_fma_f16 v10, v4, v10, v21
	v_mul_u32_u24_e32 v21, 0x10001, v58
	v_pk_fma_f16 v8, v5, v8, v15
	v_pk_fma_f16 v13, v5, v14, v13
	;; [unrolled: 1-line block ×3, first 2 shown]
	v_mul_u32_u24_e32 v14, 0x10001, v57
	v_mul_u32_u24_e32 v15, 0x10001, v59
	v_mul_u32_u24_e32 v20, 0x10001, v60
	s_delay_alu instid0(VALU_DEP_3)
	v_pk_fma_f16 v5, v5, v14, v23
	v_pk_fma_f16 v4, v4, v14, v22
	;; [unrolled: 1-line block ×4, first 2 shown]
	v_mul_u32_u24_e32 v12, 0x10001, v61
	v_pk_fma_f16 v14, v6, v15, v9
	v_pk_fma_f16 v15, v7, v15, v8
	;; [unrolled: 1-line block ×6, first 2 shown]
	ds_load_2addr_b64 v[4:7], v92 offset0:64 offset1:96
	v_mul_u32_u24_e32 v12, 0x10001, v63
	v_add_nc_u64_e32 v[8:9], s[2:3], v[40:41]
	v_add_nc_u64_e32 v[10:11], s[2:3], v[44:45]
	s_delay_alu instid0(VALU_DEP_2) | instskip(NEXT) | instid1(VALU_DEP_2)
	v_add_nc_u64_e32 v[54:55], v[8:9], v[42:43]
	v_add_nc_u64_e32 v[58:59], v[10:11], v[42:43]
	v_mul_u32_u24_e32 v8, 0x10001, v95
	v_mul_u32_u24_e32 v9, 0x10001, v97
	;; [unrolled: 1-line block ×7, first 2 shown]
	v_and_b32_e32 v105, 0xffff, v17
	v_mul_u32_u24_e32 v114, 0x10001, v122
	s_wait_dscnt 0x0
	v_pk_fma_f16 v57, v4, v12, v14
	v_pk_fma_f16 v136, v5, v12, v15
	v_mul_u32_u24_e32 v14, 0x10001, v94
	v_mul_u32_u24_e32 v15, 0x10001, v62
	v_add_nc_u64_e32 v[12:13], s[2:3], v[46:47]
	v_mul_u32_u24_e32 v94, 0x10001, v103
	v_mul_u32_u24_e32 v122, 0x10001, v130
	v_pk_fma_f16 v22, v5, v14, v22
	v_pk_fma_f16 v23, v5, v15, v23
	;; [unrolled: 1-line block ×4, first 2 shown]
	v_add_nc_u64_e32 v[14:15], s[2:3], v[48:49]
	v_add_nc_u64_e32 v[60:61], v[12:13], v[42:43]
	v_pk_fma_f16 v5, v5, v8, v53
	v_pk_fma_f16 v4, v4, v8, v56
	;; [unrolled: 1-line block ×5, first 2 shown]
	v_add_nc_u64_e32 v[62:63], v[14:15], v[42:43]
	v_pk_fma_f16 v14, v7, v10, v22
	v_pk_fma_f16 v15, v7, v11, v23
	;; [unrolled: 1-line block ×3, first 2 shown]
	ds_load_2addr_b64 v[8:11], v92 offset0:128 offset1:160
	v_mul_u32_u24_e32 v20, 0x10001, v99
	v_mul_u32_u24_e32 v57, 0x10001, v102
	;; [unrolled: 1-line block ×3, first 2 shown]
	s_delay_alu instid0(VALU_DEP_3)
	v_pk_fma_f16 v5, v7, v20, v5
	v_pk_fma_f16 v4, v6, v20, v4
	ds_load_2addr_b64 v[20:23], v92 offset0:192 offset1:224
	v_mul_u32_u24_e32 v6, 0x10001, v51
	v_mul_u32_u24_e32 v7, 0x10001, v52
	s_wait_dscnt 0x1
	s_delay_alu instid0(VALU_DEP_2) | instskip(SKIP_1) | instid1(VALU_DEP_3)
	v_pk_fma_f16 v12, v8, v6, v12
	v_pk_fma_f16 v6, v9, v6, v13
	;; [unrolled: 1-line block ×5, first 2 shown]
	v_mul_u32_u24_e32 v56, 0x10001, v100
	v_pk_fma_f16 v7, v8, v7, v53
	ds_load_2addr_b64 v[50:53], v93 offset1:32
	v_pk_fma_f16 v6, v11, v57, v6
	v_pk_fma_f16 v96, v11, v95, v14
	;; [unrolled: 1-line block ×4, first 2 shown]
	v_mul_u32_u24_e32 v8, 0x10001, v104
	v_pk_fma_f16 v56, v10, v57, v12
	v_pk_fma_f16 v57, v11, v94, v13
	v_pk_fma_f16 v7, v10, v94, v7
	v_pk_fma_f16 v94, v10, v95, v15
	v_pk_fma_f16 v95, v11, v8, v5
	v_pk_fma_f16 v97, v10, v8, v4
	v_mul_u32_u24_e32 v4, 0x10001, v110
	v_mul_u32_u24_e32 v5, 0x10001, v111
	s_wait_dscnt 0x1
	v_pk_fma_f16 v96, v21, v98, v96
	v_pk_fma_f16 v94, v20, v98, v94
	v_mul_u32_u24_e32 v98, 0x10001, v112
	v_pk_fma_f16 v56, v20, v4, v56
	v_pk_fma_f16 v99, v21, v5, v57
	;; [unrolled: 1-line block ×8, first 2 shown]
	v_mul_u32_u24_e32 v98, 0x10001, v115
	v_mul_u32_u24_e32 v101, 0x10001, v113
	v_pk_fma_f16 v103, v23, v102, v21
	v_pk_fma_f16 v102, v22, v102, v20
	v_mul_u32_u24_e32 v20, 0x10001, v107
	ds_load_2addr_b64 v[12:15], v93 offset0:64 offset1:96
	ds_load_2addr_b64 v[8:11], v93 offset0:128 offset1:160
	;; [unrolled: 1-line block ×3, first 2 shown]
	s_wait_dscnt 0x0
	s_barrier_signal -1
	s_barrier_wait -1
	global_load_b128 v[54:57], v[54:55], off
	v_pk_fma_f16 v99, v23, v98, v99
	v_pk_fma_f16 v98, v22, v98, v100
	v_lshrrev_b32_e32 v100, 16, v16
	v_pk_fma_f16 v96, v23, v101, v96
	v_pk_fma_f16 v94, v22, v101, v94
	v_lshrrev_b32_e32 v101, 16, v17
	v_and_b32_e32 v104, 0xffff, v16
	v_dual_lshrrev_b32 v110, 16, v18 :: v_dual_lshrrev_b32 v111, 16, v19
	v_and_b32_e32 v112, 0xffff, v18
	v_and_b32_e32 v113, 0xffff, v19
	global_load_b128 v[16:19], v[58:59], off
	s_wait_xcnt 0x0
	v_mul_u32_u24_e32 v58, 0x10001, v108
	v_mul_u32_u24_e32 v59, 0x10001, v106
	v_pk_fma_f16 v95, v50, v20, v95
	v_pk_fma_f16 v97, v51, v20, v97
	global_load_b128 v[20:23], v[60:61], off
	v_pk_fma_f16 v99, v51, v58, v99
	v_pk_fma_f16 v96, v51, v59, v96
	v_pk_fma_f16 v98, v50, v58, v98
	v_pk_fma_f16 v94, v50, v59, v94
	global_load_b128 v[58:61], v[62:63], off
	s_wait_xcnt 0x0
	v_mul_u32_u24_e32 v62, 0x10001, v109
	v_mul_u32_u24_e32 v63, 0x10001, v117
	;; [unrolled: 1-line block ×5, first 2 shown]
	v_pk_fma_f16 v51, v51, v62, v103
	v_mul_u32_u24_e32 v109, 0x10001, v121
	v_mul_u32_u24_e32 v115, 0x10001, v120
	;; [unrolled: 1-line block ×3, first 2 shown]
	v_pk_fma_f16 v50, v50, v62, v102
	v_pk_fma_f16 v62, v52, v63, v95
	;; [unrolled: 1-line block ×8, first 2 shown]
	v_mul_u32_u24_e32 v117, 0x10001, v125
	v_mul_u32_u24_e32 v118, 0x10001, v126
	;; [unrolled: 1-line block ×4, first 2 shown]
	v_pk_fma_f16 v102, v52, v108, v50
	s_wait_loadcnt 0x3
	ds_store_b128 v80, v[54:57]
	s_wait_loadcnt 0x2
	ds_store_b128 v83, v[16:19]
	;; [unrolled: 2-line block ×4, first 2 shown]
	v_pk_fma_f16 v62, v12, v109, v62
	v_pk_fma_f16 v63, v13, v109, v63
	;; [unrolled: 1-line block ×5, first 2 shown]
	s_wait_dscnt 0x0
	s_barrier_signal -1
	s_barrier_wait -1
	ds_load_b128 v[16:19], v82 offset:512
	ds_load_b128 v[20:23], v82 offset:528
	;; [unrolled: 1-line block ×6, first 2 shown]
	v_pk_fma_f16 v98, v12, v114, v98
	v_pk_fma_f16 v99, v12, v115, v99
	v_mul_u32_u24_e32 v121, 0x10001, v129
	v_mul_u32_u24_e32 v123, 0x10001, v128
	;; [unrolled: 1-line block ×3, first 2 shown]
	v_pk_fma_f16 v12, v12, v116, v102
	v_pk_fma_f16 v62, v14, v117, v62
	;; [unrolled: 1-line block ×8, first 2 shown]
	v_mul_u32_u24_e32 v125, 0x10001, v133
	v_mul_u32_u24_e32 v126, 0x10001, v134
	v_mul_u32_u24_e32 v127, 0x10001, v132
	v_pk_fma_f16 v12, v14, v120, v12
	v_pk_fma_f16 v14, v8, v121, v62
	;; [unrolled: 1-line block ×8, first 2 shown]
	v_mul_u32_u24_e32 v128, 0x10001, v135
	v_pk_fma_f16 v8, v8, v124, v12
	v_pk_fma_f16 v12, v10, v125, v14
	;; [unrolled: 1-line block ×7, first 2 shown]
	s_wait_dscnt 0x5
	v_dual_lshrrev_b32 v106, 16, v16 :: v_dual_lshrrev_b32 v117, 16, v17
	v_and_b32_e32 v118, 0xffff, v16
	v_and_b32_e32 v121, 0xffff, v17
	v_dual_lshrrev_b32 v122, 16, v18 :: v_dual_lshrrev_b32 v125, 16, v19
	v_and_b32_e32 v126, 0xffff, v18
	v_mul_u32_u24_e32 v16, 0x10001, v101
	v_mul_u32_u24_e32 v17, 0x10001, v104
	v_mul_u32_u24_e32 v18, 0x10001, v100
	v_pk_fma_f16 v9, v11, v128, v9
	v_and_b32_e32 v127, 0xffff, v19
	s_wait_dscnt 0x2
	v_dual_lshrrev_b32 v143, 16, v54 :: v_dual_lshrrev_b32 v144, 16, v55
	v_and_b32_e32 v146, 0xffff, v55
	v_dual_lshrrev_b32 v147, 16, v56 :: v_dual_lshrrev_b32 v148, 16, v57
	v_and_b32_e32 v149, 0xffff, v56
	v_and_b32_e32 v11, 0xffff, v57
	v_pk_fma_f16 v12, v4, v16, v12
	v_pk_fma_f16 v14, v5, v16, v14
	;; [unrolled: 1-line block ×6, first 2 shown]
	ds_load_b128 v[16:19], v82 offset:608
	v_pk_fma_f16 v10, v10, v128, v8
	v_dual_lshrrev_b32 v128, 16, v20 :: v_dual_lshrrev_b32 v129, 16, v21
	v_and_b32_e32 v130, 0xffff, v20
	v_and_b32_e32 v131, 0xffff, v21
	v_dual_lshrrev_b32 v140, 16, v52 :: v_dual_lshrrev_b32 v141, 16, v53
	v_and_b32_e32 v142, 0xffff, v52
	v_mul_u32_u24_e32 v20, 0x10001, v105
	v_mul_u32_u24_e32 v21, 0x10001, v111
	;; [unrolled: 1-line block ×3, first 2 shown]
	s_wait_dscnt 0x2
	v_dual_lshrrev_b32 v115, 16, v58 :: v_dual_lshrrev_b32 v124, 16, v59
	v_and_b32_e32 v123, 0xffff, v58
	v_and_b32_e32 v119, 0xffff, v59
	v_dual_lshrrev_b32 v99, 16, v60 :: v_dual_lshrrev_b32 v114, 16, v61
	v_and_b32_e32 v107, 0xffff, v60
	v_and_b32_e32 v103, 0xffff, v61
	s_wait_dscnt 0x1
	v_dual_lshrrev_b32 v60, 16, v94 :: v_dual_lshrrev_b32 v61, 16, v95
	v_and_b32_e32 v15, 0xffff, v95
	v_pk_fma_f16 v5, v5, v20, v9
	v_pk_fma_f16 v4, v4, v20, v10
	;; [unrolled: 1-line block ×6, first 2 shown]
	ds_load_b128 v[56:59], v82 offset:624
	s_wait_dscnt 0x1
	v_dual_lshrrev_b32 v62, 16, v18 :: v_dual_lshrrev_b32 v104, 16, v19
	v_and_b32_e32 v100, 0xffff, v18
	v_and_b32_e32 v63, 0xffff, v19
	ds_load_2addr_b64 v[18:21], v66 offset1:32
	v_dual_lshrrev_b32 v136, 16, v50 :: v_dual_lshrrev_b32 v137, 16, v51
	v_and_b32_e32 v139, 0xffff, v51
	v_and_b32_e32 v145, 0xffff, v54
	v_mul_u32_u24_e32 v51, 0x10001, v112
	v_mul_u32_u24_e32 v54, 0x10001, v113
	v_and_b32_e32 v98, 0xffff, v94
	v_dual_lshrrev_b32 v108, 16, v16 :: v_dual_lshrrev_b32 v120, 16, v17
	s_delay_alu instid0(VALU_DEP_4) | instskip(NEXT) | instid1(VALU_DEP_4)
	v_pk_fma_f16 v94, v7, v51, v55
	v_pk_fma_f16 v5, v7, v54, v5
	v_mul_u32_u24_e32 v7, 0x10001, v117
	v_pk_fma_f16 v13, v6, v51, v13
	v_pk_fma_f16 v6, v6, v54, v4
	s_wait_dscnt 0x1
	v_dual_lshrrev_b32 v51, 16, v56 :: v_dual_lshrrev_b32 v54, 16, v57
	v_and_b32_e32 v55, 0xffff, v56
	v_and_b32_e32 v9, 0xffff, v57
	;; [unrolled: 1-line block ×3, first 2 shown]
	s_wait_dscnt 0x0
	v_pk_fma_f16 v10, v18, v7, v10
	v_pk_fma_f16 v7, v19, v7, v14
	v_mul_u32_u24_e32 v14, 0x10001, v118
	v_and_b32_e32 v109, 0xffff, v17
	v_dual_lshrrev_b32 v12, 16, v58 :: v_dual_lshrrev_b32 v16, 16, v59
	v_and_b32_e32 v17, 0xffff, v58
	s_delay_alu instid0(VALU_DEP_4)
	v_pk_fma_f16 v56, v19, v14, v94
	v_pk_fma_f16 v13, v18, v14, v13
	v_mul_u32_u24_e32 v14, 0x10001, v106
	v_and_b32_e32 v4, 0xffff, v59
	v_mul_u32_u24_e32 v58, 0x10001, v130
	v_mul_u32_u24_e32 v59, 0x10001, v128
	v_dual_lshrrev_b32 v132, 16, v22 :: v_dual_lshrrev_b32 v133, 16, v23
	v_pk_fma_f16 v57, v19, v14, v95
	v_pk_fma_f16 v14, v18, v14, v52
	v_mul_u32_u24_e32 v52, 0x10001, v121
	v_and_b32_e32 v134, 0xffff, v22
	v_and_b32_e32 v135, 0xffff, v23
	;; [unrolled: 1-line block ×3, first 2 shown]
	v_dual_lshrrev_b32 v22, 16, v96 :: v_dual_lshrrev_b32 v23, 16, v97
	v_pk_fma_f16 v6, v18, v52, v6
	v_mul_u32_u24_e32 v18, 0x10001, v125
	v_pk_fma_f16 v5, v19, v52, v5
	v_and_b32_e32 v50, 0xffff, v96
	v_mul_u32_u24_e32 v95, 0x10001, v131
	v_mul_u32_u24_e32 v96, 0x10001, v133
	v_pk_fma_f16 v10, v20, v18, v10
	v_pk_fma_f16 v7, v21, v18, v7
	v_mul_u32_u24_e32 v18, 0x10001, v126
	v_and_b32_e32 v8, 0xffff, v97
	v_mul_u32_u24_e32 v97, 0x10001, v134
	v_mul_u32_u24_e32 v101, 0x10001, v132
	v_and_b32_e32 v53, 0xffff, v53
	v_pk_fma_f16 v52, v21, v18, v56
	v_pk_fma_f16 v13, v20, v18, v13
	v_mul_u32_u24_e32 v18, 0x10001, v122
	ds_load_b128 v[130:133], v82 offset:672
	v_mul_u32_u24_e32 v53, 0x10001, v53
	v_mul_u32_u24_e32 v11, 0x10001, v11
	;; [unrolled: 1-line block ×3, first 2 shown]
	v_pk_fma_f16 v56, v21, v18, v57
	v_pk_fma_f16 v14, v20, v18, v14
	v_mul_u32_u24_e32 v18, 0x10001, v127
	v_mul_u32_u24_e32 v57, 0x10001, v129
	ds_load_b128 v[126:129], v82 offset:656
	v_mul_u32_u24_e32 v115, 0x10001, v115
	v_mul_u32_u24_e32 v119, 0x10001, v119
	v_pk_fma_f16 v5, v21, v18, v5
	v_pk_fma_f16 v6, v20, v18, v6
	ds_load_2addr_b64 v[18:21], v66 offset0:64 offset1:96
	v_mul_u32_u24_e32 v114, 0x10001, v114
	v_mul_u32_u24_e32 v107, 0x10001, v107
	;; [unrolled: 1-line block ×19, first 2 shown]
	s_wait_dscnt 0x0
	v_pk_fma_f16 v10, v18, v57, v10
	v_pk_fma_f16 v7, v19, v57, v7
	;; [unrolled: 1-line block ×6, first 2 shown]
	ds_load_b128 v[56:59], v82 offset:640
	v_pk_fma_f16 v5, v19, v95, v5
	v_pk_fma_f16 v6, v18, v95, v6
	;; [unrolled: 1-line block ×3, first 2 shown]
	v_mul_u32_u24_e32 v10, 0x10001, v135
	v_pk_fma_f16 v7, v21, v96, v7
	v_pk_fma_f16 v96, v21, v97, v52
	;; [unrolled: 1-line block ×6, first 2 shown]
	v_lshrrev_b32_e32 v52, 16, v126
	v_and_b32_e32 v10, 0xffff, v127
	v_dual_lshrrev_b32 v13, 16, v128 :: v_dual_lshrrev_b32 v18, 16, v129
	v_and_b32_e32 v19, 0xffff, v128
	v_and_b32_e32 v5, 0xffff, v129
	v_pk_fma_f16 v14, v20, v101, v14
	v_mul_u32_u24_e32 v20, 0x10001, v137
	v_mul_u32_u24_e32 v54, 0x10001, v54
	s_wait_dscnt 0x0
	v_dual_lshrrev_b32 v110, 16, v56 :: v_dual_lshrrev_b32 v121, 16, v57
	v_and_b32_e32 v117, 0xffff, v56
	v_and_b32_e32 v111, 0xffff, v57
	v_lshrrev_b32_e32 v56, 16, v127
	v_and_b32_e32 v57, 0xffff, v126
	ds_load_2addr_b64 v[126:129], v66 offset0:128 offset1:160
	v_dual_lshrrev_b32 v94, 16, v58 :: v_dual_lshrrev_b32 v105, 16, v59
	v_and_b32_e32 v101, 0xffff, v58
	v_and_b32_e32 v95, 0xffff, v59
	v_mul_u32_u24_e32 v55, 0x10001, v55
	v_mul_u32_u24_e32 v51, 0x10001, v51
	;; [unrolled: 1-line block ×15, first 2 shown]
	s_wait_dscnt 0x0
	v_pk_fma_f16 v58, v126, v20, v102
	v_pk_fma_f16 v7, v127, v20, v7
	v_mul_u32_u24_e32 v20, 0x10001, v138
	v_mul_u32_u24_e32 v102, 0x10001, v143
	;; [unrolled: 1-line block ×5, first 2 shown]
	v_pk_fma_f16 v59, v127, v20, v96
	v_mul_u32_u24_e32 v96, 0x10001, v136
	v_pk_fma_f16 v20, v126, v20, v97
	ds_load_b128 v[134:137], v82 offset:688
	v_dual_lshrrev_b32 v112, 16, v130 :: v_dual_lshrrev_b32 v122, 16, v131
	v_pk_fma_f16 v97, v127, v96, v106
	v_pk_fma_f16 v14, v126, v96, v14
	v_mul_u32_u24_e32 v96, 0x10001, v139
	v_and_b32_e32 v118, 0xffff, v130
	v_mul_u32_u24_e32 v130, 0x10001, v124
	v_mul_u32_u24_e32 v106, 0x10001, v147
	v_and_b32_e32 v113, 0xffff, v131
	v_pk_fma_f16 v21, v127, v96, v21
	v_pk_fma_f16 v6, v126, v96, v6
	v_mul_u32_u24_e32 v96, 0x10001, v141
	v_mul_u32_u24_e32 v10, 0x10001, v10
	;; [unrolled: 1-line block ×3, first 2 shown]
	v_pk_fma_f16 v21, v129, v53, v21
	v_pk_fma_f16 v6, v128, v53, v6
	;; [unrolled: 1-line block ×4, first 2 shown]
	v_mul_u32_u24_e32 v96, 0x10001, v142
	v_mul_u32_u24_e32 v53, 0x10001, v144
	;; [unrolled: 1-line block ×5, first 2 shown]
	v_pk_fma_f16 v59, v129, v96, v59
	v_pk_fma_f16 v20, v128, v96, v20
	v_mul_u32_u24_e32 v96, 0x10001, v140
	v_mul_u32_u24_e32 v122, 0x10001, v122
	;; [unrolled: 1-line block ×5, first 2 shown]
	v_pk_fma_f16 v97, v129, v96, v97
	v_pk_fma_f16 v14, v128, v96, v14
	ds_load_2addr_b64 v[126:129], v66 offset0:192 offset1:224
	v_mul_u32_u24_e32 v96, 0x10001, v145
	s_wait_dscnt 0x0
	v_pk_fma_f16 v58, v126, v53, v58
	v_pk_fma_f16 v7, v127, v53, v7
	s_delay_alu instid0(VALU_DEP_3)
	v_pk_fma_f16 v53, v127, v96, v59
	v_pk_fma_f16 v20, v126, v96, v20
	v_mul_u32_u24_e32 v96, 0x10001, v146
	v_pk_fma_f16 v59, v127, v102, v97
	v_pk_fma_f16 v14, v126, v102, v14
	v_mul_u32_u24_e32 v97, 0x10001, v148
	v_mul_u32_u24_e32 v102, 0x10001, v149
	v_pk_fma_f16 v21, v127, v96, v21
	v_pk_fma_f16 v6, v126, v96, v6
	ds_load_2addr_b64 v[124:127], v87 offset1:32
	v_pk_fma_f16 v138, v128, v97, v58
	v_pk_fma_f16 v7, v129, v97, v7
	;; [unrolled: 1-line block ×8, first 2 shown]
	v_dual_lshrrev_b32 v96, 16, v132 :: v_dual_lshrrev_b32 v106, 16, v133
	v_and_b32_e32 v102, 0xffff, v132
	v_dual_lshrrev_b32 v14, 16, v136 :: v_dual_lshrrev_b32 v20, 16, v137
	v_and_b32_e32 v6, 0xffff, v137
	v_and_b32_e32 v21, 0xffff, v136
	;; [unrolled: 1-line block ×3, first 2 shown]
	v_dual_lshrrev_b32 v53, 16, v134 :: v_dual_lshrrev_b32 v58, 16, v135
	v_and_b32_e32 v59, 0xffff, v134
	s_wait_dscnt 0x0
	v_pk_fma_f16 v131, v124, v130, v138
	v_pk_fma_f16 v7, v125, v130, v7
	;; [unrolled: 1-line block ×16, first 2 shown]
	ds_load_2addr_b64 v[124:127], v87 offset0:64 offset1:96
	v_and_b32_e32 v11, 0xffff, v135
	ds_load_b128 v[132:135], v82 offset:720
	v_mul_u32_u24_e32 v106, 0x10001, v106
	v_mul_u32_u24_e32 v102, 0x10001, v102
	;; [unrolled: 1-line block ×12, first 2 shown]
	s_wait_dscnt 0x1
	v_pk_fma_f16 v7, v125, v61, v7
	v_pk_fma_f16 v119, v124, v61, v128
	;; [unrolled: 1-line block ×9, first 2 shown]
	v_mul_u32_u24_e32 v7, 0x10001, v8
	ds_load_b128 v[128:131], v82 offset:704
	v_pk_fma_f16 v136, v126, v23, v119
	v_pk_fma_f16 v138, v127, v50, v61
	;; [unrolled: 1-line block ×7, first 2 shown]
	ds_load_2addr_b64 v[124:127], v87 offset0:128 offset1:160
	s_wait_dscnt 0x2
	v_dual_lshrrev_b32 v50, 16, v132 :: v_dual_lshrrev_b32 v60, 16, v133
	v_and_b32_e32 v61, 0xffff, v132
	v_and_b32_e32 v8, 0xffff, v133
	v_dual_lshrrev_b32 v15, 16, v134 :: v_dual_lshrrev_b32 v22, 16, v135
	v_and_b32_e32 v23, 0xffff, v134
	v_and_b32_e32 v7, 0xffff, v135
	ds_load_b128 v[132:135], v82 offset:752
	v_mul_u32_u24_e32 v60, 0x10001, v60
	v_mul_u32_u24_e32 v61, 0x10001, v61
	s_wait_dscnt 0x2
	v_dual_lshrrev_b32 v114, 16, v128 :: v_dual_lshrrev_b32 v123, 16, v129
	v_and_b32_e32 v119, 0xffff, v128
	v_and_b32_e32 v115, 0xffff, v129
	v_dual_lshrrev_b32 v98, 16, v130 :: v_dual_lshrrev_b32 v107, 16, v131
	v_and_b32_e32 v103, 0xffff, v130
	v_and_b32_e32 v99, 0xffff, v131
	s_wait_dscnt 0x1
	v_pk_fma_f16 v128, v124, v120, v136
	v_pk_fma_f16 v120, v125, v120, v137
	;; [unrolled: 1-line block ×16, first 2 shown]
	ds_load_2addr_b64 v[124:127], v87 offset0:192 offset1:224
	v_mul_u32_u24_e32 v123, 0x10001, v123
	v_mul_u32_u24_e32 v119, 0x10001, v119
	;; [unrolled: 1-line block ×14, first 2 shown]
	s_wait_dscnt 0x0
	v_pk_fma_f16 v109, v124, v54, v128
	v_pk_fma_f16 v54, v125, v54, v104
	v_pk_fma_f16 v104, v125, v55, v120
	v_pk_fma_f16 v116, v125, v51, v116
	v_pk_fma_f16 v55, v124, v55, v100
	v_pk_fma_f16 v51, v124, v51, v62
	v_pk_fma_f16 v62, v125, v9, v108
	v_pk_fma_f16 v9, v124, v9, v63
	ds_load_b128 v[128:131], v82 offset:736
	v_pk_fma_f16 v136, v126, v16, v109
	v_pk_fma_f16 v137, v127, v16, v54
	;; [unrolled: 1-line block ×8, first 2 shown]
	ds_load_2addr_b64 v[124:127], v88 offset1:32
	v_dual_lshrrev_b32 v51, 16, v132 :: v_dual_lshrrev_b32 v54, 16, v133
	v_and_b32_e32 v55, 0xffff, v132
	v_and_b32_e32 v9, 0xffff, v133
	v_dual_lshrrev_b32 v12, 16, v134 :: v_dual_lshrrev_b32 v16, 16, v135
	v_and_b32_e32 v17, 0xffff, v134
	v_and_b32_e32 v4, 0xffff, v135
	ds_load_b128 v[132:135], v82 offset:784
	v_mul_u32_u24_e32 v54, 0x10001, v54
	s_wait_dscnt 0x2
	v_dual_lshrrev_b32 v108, 16, v128 :: v_dual_lshrrev_b32 v120, 16, v129
	v_and_b32_e32 v116, 0xffff, v128
	v_and_b32_e32 v109, 0xffff, v129
	v_dual_lshrrev_b32 v62, 16, v130 :: v_dual_lshrrev_b32 v104, 16, v131
	v_and_b32_e32 v100, 0xffff, v130
	v_and_b32_e32 v63, 0xffff, v131
	v_mul_u32_u24_e32 v120, 0x10001, v120
	s_wait_dscnt 0x1
	v_pk_fma_f16 v128, v124, v121, v136
	v_pk_fma_f16 v121, v125, v121, v137
	;; [unrolled: 1-line block ×16, first 2 shown]
	ds_load_2addr_b64 v[124:127], v88 offset0:64 offset1:96
	v_mul_u32_u24_e32 v116, 0x10001, v116
	v_mul_u32_u24_e32 v108, 0x10001, v108
	;; [unrolled: 1-line block ×14, first 2 shown]
	s_wait_dscnt 0x0
	v_pk_fma_f16 v111, v124, v56, v128
	v_pk_fma_f16 v56, v125, v56, v105
	;; [unrolled: 1-line block ×8, first 2 shown]
	ds_load_b128 v[128:131], v82 offset:768
	v_pk_fma_f16 v136, v126, v18, v111
	v_pk_fma_f16 v137, v127, v18, v56
	;; [unrolled: 1-line block ×8, first 2 shown]
	ds_load_2addr_b64 v[124:127], v88 offset0:128 offset1:160
	v_dual_lshrrev_b32 v52, 16, v132 :: v_dual_lshrrev_b32 v56, 16, v133
	v_and_b32_e32 v57, 0xffff, v132
	v_and_b32_e32 v10, 0xffff, v133
	v_dual_lshrrev_b32 v13, 16, v134 :: v_dual_lshrrev_b32 v18, 16, v135
	v_and_b32_e32 v19, 0xffff, v134
	v_and_b32_e32 v5, 0xffff, v135
	ds_load_b128 v[132:135], v82 offset:816
	v_mul_u32_u24_e32 v56, 0x10001, v56
	s_wait_dscnt 0x2
	v_dual_lshrrev_b32 v110, 16, v128 :: v_dual_lshrrev_b32 v121, 16, v129
	v_and_b32_e32 v117, 0xffff, v128
	v_and_b32_e32 v111, 0xffff, v129
	v_dual_lshrrev_b32 v94, 16, v130 :: v_dual_lshrrev_b32 v105, 16, v131
	v_and_b32_e32 v101, 0xffff, v130
	v_and_b32_e32 v95, 0xffff, v131
	v_mul_u32_u24_e32 v121, 0x10001, v121
	s_wait_dscnt 0x1
	v_pk_fma_f16 v128, v124, v122, v136
	v_pk_fma_f16 v122, v125, v122, v137
	;; [unrolled: 1-line block ×16, first 2 shown]
	ds_load_2addr_b64 v[124:127], v88 offset0:192 offset1:224
	v_mul_u32_u24_e32 v117, 0x10001, v117
	v_mul_u32_u24_e32 v110, 0x10001, v110
	;; [unrolled: 1-line block ×14, first 2 shown]
	s_wait_dscnt 0x0
	v_pk_fma_f16 v113, v124, v58, v128
	v_pk_fma_f16 v58, v125, v58, v106
	v_pk_fma_f16 v106, v125, v59, v122
	v_pk_fma_f16 v118, v125, v53, v118
	v_pk_fma_f16 v59, v124, v59, v102
	v_pk_fma_f16 v53, v124, v53, v96
	v_pk_fma_f16 v96, v125, v11, v112
	v_pk_fma_f16 v11, v124, v11, v97
	ds_load_b128 v[128:131], v82 offset:800
	v_pk_fma_f16 v136, v126, v20, v113
	v_pk_fma_f16 v137, v127, v20, v58
	v_pk_fma_f16 v138, v127, v21, v106
	v_pk_fma_f16 v139, v127, v14, v118
	v_pk_fma_f16 v140, v126, v21, v59
	v_pk_fma_f16 v141, v126, v14, v53
	v_pk_fma_f16 v142, v127, v6, v96
	v_pk_fma_f16 v143, v126, v6, v11
	ds_load_2addr_b64 v[124:127], v89 offset1:32
	v_dual_lshrrev_b32 v53, 16, v132 :: v_dual_lshrrev_b32 v58, 16, v133
	v_and_b32_e32 v59, 0xffff, v132
	v_and_b32_e32 v11, 0xffff, v133
	v_dual_lshrrev_b32 v14, 16, v134 :: v_dual_lshrrev_b32 v20, 16, v135
	v_and_b32_e32 v21, 0xffff, v134
	v_and_b32_e32 v6, 0xffff, v135
	ds_load_b128 v[132:135], v82 offset:848
	v_mul_u32_u24_e32 v53, 0x10001, v53
	s_wait_dscnt 0x2
	v_dual_lshrrev_b32 v112, 16, v128 :: v_dual_lshrrev_b32 v122, 16, v129
	v_and_b32_e32 v118, 0xffff, v128
	v_and_b32_e32 v113, 0xffff, v129
	v_dual_lshrrev_b32 v96, 16, v130 :: v_dual_lshrrev_b32 v106, 16, v131
	v_and_b32_e32 v102, 0xffff, v130
	v_and_b32_e32 v97, 0xffff, v131
	v_mul_u32_u24_e32 v122, 0x10001, v122
	s_wait_dscnt 0x1
	v_pk_fma_f16 v128, v124, v123, v136
	v_pk_fma_f16 v123, v125, v123, v137
	;; [unrolled: 1-line block ×16, first 2 shown]
	ds_load_2addr_b64 v[124:127], v89 offset0:64 offset1:96
	v_mul_u32_u24_e32 v118, 0x10001, v118
	v_mul_u32_u24_e32 v112, 0x10001, v112
	;; [unrolled: 1-line block ×14, first 2 shown]
	s_wait_dscnt 0x0
	v_pk_fma_f16 v115, v124, v60, v128
	v_pk_fma_f16 v60, v125, v60, v107
	;; [unrolled: 1-line block ×8, first 2 shown]
	ds_load_b128 v[128:131], v82 offset:832
	v_pk_fma_f16 v136, v126, v22, v115
	v_pk_fma_f16 v137, v127, v22, v60
	;; [unrolled: 1-line block ×8, first 2 shown]
	ds_load_2addr_b64 v[124:127], v89 offset0:128 offset1:160
	v_dual_lshrrev_b32 v50, 16, v132 :: v_dual_lshrrev_b32 v60, 16, v133
	v_and_b32_e32 v61, 0xffff, v132
	v_and_b32_e32 v8, 0xffff, v133
	v_dual_lshrrev_b32 v15, 16, v134 :: v_dual_lshrrev_b32 v22, 16, v135
	v_and_b32_e32 v23, 0xffff, v134
	v_and_b32_e32 v7, 0xffff, v135
	ds_load_b128 v[132:135], v82 offset:880
	v_mul_u32_u24_e32 v50, 0x10001, v50
	s_wait_dscnt 0x2
	v_dual_lshrrev_b32 v114, 16, v128 :: v_dual_lshrrev_b32 v123, 16, v129
	v_and_b32_e32 v119, 0xffff, v128
	v_and_b32_e32 v115, 0xffff, v129
	v_dual_lshrrev_b32 v98, 16, v130 :: v_dual_lshrrev_b32 v107, 16, v131
	v_and_b32_e32 v103, 0xffff, v130
	v_and_b32_e32 v99, 0xffff, v131
	v_mul_u32_u24_e32 v8, 0x10001, v8
	s_wait_dscnt 0x1
	v_pk_fma_f16 v128, v124, v120, v136
	v_pk_fma_f16 v120, v125, v120, v137
	;; [unrolled: 1-line block ×16, first 2 shown]
	ds_load_2addr_b64 v[124:127], v89 offset0:192 offset1:224
	v_mul_u32_u24_e32 v22, 0x10001, v22
	v_mul_u32_u24_e32 v23, 0x10001, v23
	;; [unrolled: 1-line block ×4, first 2 shown]
	s_wait_dscnt 0x0
	v_pk_fma_f16 v109, v124, v54, v128
	v_pk_fma_f16 v54, v125, v54, v104
	;; [unrolled: 1-line block ×8, first 2 shown]
	ds_load_b128 v[128:131], v82 offset:864
	v_pk_fma_f16 v136, v126, v16, v109
	v_pk_fma_f16 v137, v127, v16, v54
	;; [unrolled: 1-line block ×8, first 2 shown]
	ds_load_2addr_b64 v[124:127], v90 offset1:32
	v_dual_lshrrev_b32 v51, 16, v132 :: v_dual_lshrrev_b32 v54, 16, v133
	v_and_b32_e32 v55, 0xffff, v132
	v_and_b32_e32 v9, 0xffff, v133
	v_dual_lshrrev_b32 v12, 16, v134 :: v_dual_lshrrev_b32 v16, 16, v135
	v_and_b32_e32 v17, 0xffff, v134
	v_and_b32_e32 v4, 0xffff, v135
	ds_load_b128 v[132:135], v82 offset:912
	v_mul_u32_u24_e32 v54, 0x10001, v54
	s_wait_dscnt 0x2
	v_dual_lshrrev_b32 v108, 16, v128 :: v_dual_lshrrev_b32 v120, 16, v129
	v_and_b32_e32 v116, 0xffff, v128
	v_and_b32_e32 v109, 0xffff, v129
	v_dual_lshrrev_b32 v62, 16, v130 :: v_dual_lshrrev_b32 v104, 16, v131
	v_and_b32_e32 v100, 0xffff, v130
	v_and_b32_e32 v63, 0xffff, v131
	v_mul_u32_u24_e32 v55, 0x10001, v55
	s_wait_dscnt 0x1
	v_pk_fma_f16 v128, v124, v121, v136
	v_pk_fma_f16 v121, v125, v121, v137
	;; [unrolled: 1-line block ×16, first 2 shown]
	ds_load_2addr_b64 v[124:127], v90 offset0:64 offset1:96
	v_mul_u32_u24_e32 v51, 0x10001, v51
	v_mul_u32_u24_e32 v9, 0x10001, v9
	;; [unrolled: 1-line block ×6, first 2 shown]
	s_wait_dscnt 0x0
	v_pk_fma_f16 v111, v124, v56, v128
	v_pk_fma_f16 v56, v125, v56, v105
	;; [unrolled: 1-line block ×8, first 2 shown]
	ds_load_b128 v[128:131], v82 offset:896
	v_pk_fma_f16 v136, v126, v18, v111
	v_pk_fma_f16 v137, v127, v18, v56
	;; [unrolled: 1-line block ×8, first 2 shown]
	ds_load_2addr_b64 v[124:127], v90 offset0:128 offset1:160
	v_dual_lshrrev_b32 v13, 16, v132 :: v_dual_lshrrev_b32 v18, 16, v133
	v_and_b32_e32 v19, 0xffff, v132
	v_and_b32_e32 v5, 0xffff, v133
	v_dual_lshrrev_b32 v57, 16, v134 :: v_dual_lshrrev_b32 v94, 16, v135
	s_delay_alu instid0(VALU_DEP_4) | instskip(NEXT) | instid1(VALU_DEP_4)
	v_mul_u32_u24_e32 v18, 0x10001, v18
	v_mul_u32_u24_e32 v19, 0x10001, v19
	;; [unrolled: 1-line block ×3, first 2 shown]
	v_and_b32_e32 v95, 0xffff, v134
	s_wait_dscnt 0x1
	v_dual_lshrrev_b32 v110, 16, v128 :: v_dual_lshrrev_b32 v121, 16, v129
	v_and_b32_e32 v117, 0xffff, v128
	v_and_b32_e32 v111, 0xffff, v129
	v_dual_lshrrev_b32 v52, 16, v130 :: v_dual_lshrrev_b32 v105, 16, v131
	v_and_b32_e32 v101, 0xffff, v130
	v_and_b32_e32 v56, 0xffff, v131
	;; [unrolled: 1-line block ×3, first 2 shown]
	s_wait_dscnt 0x0
	v_pk_fma_f16 v128, v124, v122, v136
	v_pk_fma_f16 v122, v125, v122, v137
	v_pk_fma_f16 v129, v125, v118, v138
	v_pk_fma_f16 v118, v124, v118, v140
	v_pk_fma_f16 v130, v125, v112, v139
	v_pk_fma_f16 v112, v124, v112, v141
	v_pk_fma_f16 v125, v125, v113, v142
	v_pk_fma_f16 v113, v124, v113, v143
	v_pk_fma_f16 v128, v126, v106, v128
	v_pk_fma_f16 v106, v127, v106, v122
	v_pk_fma_f16 v122, v127, v102, v129
	v_pk_fma_f16 v102, v126, v102, v118
	v_pk_fma_f16 v118, v127, v96, v130
	v_pk_fma_f16 v96, v126, v96, v112
	v_pk_fma_f16 v112, v127, v97, v125
	v_pk_fma_f16 v97, v126, v97, v113
	ds_load_2addr_b64 v[124:127], v90 offset0:192 offset1:224
	ds_load_b128 v[132:135], v82 offset:944
	v_mul_u32_u24_e32 v5, 0x10001, v5
	v_mul_u32_u24_e32 v10, 0x10001, v10
	s_wait_dscnt 0x1
	v_pk_fma_f16 v118, v125, v53, v118
	v_pk_fma_f16 v53, v124, v53, v96
	;; [unrolled: 1-line block ×12, first 2 shown]
	v_mul_u32_u24_e32 v11, 0x10001, v123
	ds_load_2addr_b64 v[122:125], v91 offset1:32
	v_pk_fma_f16 v97, v126, v20, v113
	v_pk_fma_f16 v20, v127, v20, v58
	;; [unrolled: 1-line block ×4, first 2 shown]
	ds_load_b128 v[128:131], v82 offset:928
	s_wait_dscnt 0x2
	v_dual_lshrrev_b32 v136, 16, v134 :: v_dual_lshrrev_b32 v137, 16, v135
	v_and_b32_e32 v134, 0xffff, v134
	v_and_b32_e32 v135, 0xffff, v135
	s_wait_dscnt 0x1
	v_pk_fma_f16 v59, v122, v11, v97
	v_pk_fma_f16 v11, v123, v11, v20
	v_mul_u32_u24_e32 v20, 0x10001, v119
	s_wait_dscnt 0x0
	v_dual_lshrrev_b32 v106, 16, v128 :: v_dual_lshrrev_b32 v112, 16, v129
	s_delay_alu instid0(VALU_DEP_2)
	v_pk_fma_f16 v58, v123, v20, v58
	v_pk_fma_f16 v20, v122, v20, v21
	v_mul_u32_u24_e32 v21, 0x10001, v114
	v_and_b32_e32 v113, 0xffff, v128
	v_and_b32_e32 v118, 0xffff, v129
	v_dual_lshrrev_b32 v126, 16, v130 :: v_dual_lshrrev_b32 v127, 16, v131
	s_delay_alu instid0(VALU_DEP_4)
	v_pk_fma_f16 v96, v123, v21, v102
	v_pk_fma_f16 v14, v122, v21, v14
	v_mul_u32_u24_e32 v21, 0x10001, v115
	v_and_b32_e32 v128, 0xffff, v130
	v_and_b32_e32 v129, 0xffff, v131
	v_dual_lshrrev_b32 v130, 16, v132 :: v_dual_lshrrev_b32 v131, 16, v133
	s_delay_alu instid0(VALU_DEP_4) | instskip(SKIP_4) | instid1(VALU_DEP_3)
	v_pk_fma_f16 v53, v123, v21, v53
	v_pk_fma_f16 v6, v122, v21, v6
	v_mul_u32_u24_e32 v21, 0x10001, v107
	v_and_b32_e32 v132, 0xffff, v132
	v_and_b32_e32 v133, 0xffff, v133
	v_pk_fma_f16 v59, v124, v21, v59
	v_pk_fma_f16 v11, v125, v21, v11
	v_mul_u32_u24_e32 v21, 0x10001, v103
	s_delay_alu instid0(VALU_DEP_1) | instskip(SKIP_2) | instid1(VALU_DEP_1)
	v_pk_fma_f16 v58, v125, v21, v58
	v_pk_fma_f16 v20, v124, v21, v20
	v_mul_u32_u24_e32 v21, 0x10001, v98
	v_pk_fma_f16 v102, v125, v21, v96
	v_pk_fma_f16 v14, v124, v21, v14
	v_mul_u32_u24_e32 v21, 0x10001, v99
	ds_load_2addr_b64 v[96:99], v91 offset0:64 offset1:96
	v_pk_fma_f16 v53, v125, v21, v53
	v_pk_fma_f16 v6, v124, v21, v6
	v_mul_u32_u24_e32 v21, 0x10001, v60
	v_mul_u32_u24_e32 v60, 0x10001, v61
	s_wait_dscnt 0x0
	s_delay_alu instid0(VALU_DEP_2) | instskip(SKIP_1) | instid1(VALU_DEP_3)
	v_pk_fma_f16 v103, v96, v21, v59
	v_pk_fma_f16 v11, v97, v21, v11
	;; [unrolled: 1-line block ×6, first 2 shown]
	ds_load_b128 v[58:61], v82 offset:960
	v_pk_fma_f16 v50, v97, v8, v53
	v_pk_fma_f16 v6, v96, v8, v6
	;; [unrolled: 1-line block ×6, first 2 shown]
	ds_load_b128 v[20:23], v82 offset:976
	v_pk_fma_f16 v96, v99, v15, v102
	v_pk_fma_f16 v14, v98, v15, v14
	v_pk_fma_f16 v15, v99, v7, v50
	v_pk_fma_f16 v6, v98, v7, v6
	v_mul_u32_u24_e32 v7, 0x10001, v120
	s_wait_dscnt 0x1
	v_dual_lshrrev_b32 v50, 16, v58 :: v_dual_lshrrev_b32 v98, 16, v59
	v_and_b32_e32 v99, 0xffff, v58
	v_mul_u32_u24_e32 v58, 0x10001, v108
	v_and_b32_e32 v102, 0xffff, v59
	v_dual_lshrrev_b32 v103, 16, v60 :: v_dual_lshrrev_b32 v107, 16, v61
	s_wait_dscnt 0x0
	v_dual_lshrrev_b32 v119, 16, v20 :: v_dual_lshrrev_b32 v122, 16, v21
	v_and_b32_e32 v123, 0xffff, v20
	v_and_b32_e32 v124, 0xffff, v21
	v_dual_lshrrev_b32 v125, 16, v22 :: v_dual_lshrrev_b32 v138, 16, v23
	v_and_b32_e32 v139, 0xffff, v22
	v_and_b32_e32 v140, 0xffff, v23
	ds_load_2addr_b64 v[20:23], v91 offset0:128 offset1:160
	v_and_b32_e32 v114, 0xffff, v60
	v_and_b32_e32 v115, 0xffff, v61
	v_mul_u32_u24_e32 v98, 0x10001, v98
	v_mul_u32_u24_e32 v99, 0x10001, v99
	;; [unrolled: 1-line block ×10, first 2 shown]
	s_wait_dscnt 0x0
	v_pk_fma_f16 v8, v20, v7, v8
	v_pk_fma_f16 v7, v21, v7, v11
	v_mul_u32_u24_e32 v11, 0x10001, v116
	v_pk_fma_f16 v59, v21, v58, v96
	v_pk_fma_f16 v14, v20, v58, v14
	v_mul_u32_u24_e32 v58, 0x10001, v109
	s_delay_alu instid0(VALU_DEP_4) | instskip(SKIP_1) | instid1(VALU_DEP_3)
	v_pk_fma_f16 v53, v21, v11, v53
	v_pk_fma_f16 v11, v20, v11, v97
	;; [unrolled: 1-line block ×3, first 2 shown]
	v_mul_u32_u24_e32 v20, 0x10001, v104
	v_pk_fma_f16 v15, v21, v58, v15
	s_delay_alu instid0(VALU_DEP_2) | instskip(SKIP_2) | instid1(VALU_DEP_1)
	v_pk_fma_f16 v8, v22, v20, v8
	v_pk_fma_f16 v7, v23, v20, v7
	v_mul_u32_u24_e32 v20, 0x10001, v100
	v_pk_fma_f16 v53, v23, v20, v53
	v_pk_fma_f16 v11, v22, v20, v11
	v_mul_u32_u24_e32 v20, 0x10001, v62
	s_delay_alu instid0(VALU_DEP_1) | instskip(SKIP_2) | instid1(VALU_DEP_1)
	v_pk_fma_f16 v58, v23, v20, v59
	v_pk_fma_f16 v14, v22, v20, v14
	v_mul_u32_u24_e32 v20, 0x10001, v63
	v_pk_fma_f16 v15, v23, v20, v15
	v_pk_fma_f16 v6, v22, v20, v6
	ds_load_2addr_b64 v[20:23], v91 offset0:192 offset1:224
	s_wait_dscnt 0x0
	v_pk_fma_f16 v8, v20, v54, v8
	v_pk_fma_f16 v7, v21, v54, v7
	;; [unrolled: 1-line block ×6, first 2 shown]
	ds_load_b128 v[58:61], v82 offset:992
	v_pk_fma_f16 v15, v21, v9, v15
	v_pk_fma_f16 v20, v20, v9, v6
	;; [unrolled: 1-line block ×4, first 2 shown]
	ds_load_b128 v[6:9], v82 offset:1008
	v_pk_fma_f16 v51, v23, v17, v53
	v_pk_fma_f16 v53, v23, v12, v54
	;; [unrolled: 1-line block ×4, first 2 shown]
	v_mul_u32_u24_e32 v15, 0x10001, v121
	v_pk_fma_f16 v11, v22, v17, v11
	v_pk_fma_f16 v4, v22, v4, v20
	v_mul_u32_u24_e32 v22, 0x10001, v94
	v_mul_u32_u24_e32 v23, 0x10001, v95
	;; [unrolled: 1-line block ×7, first 2 shown]
	s_wait_dscnt 0x1
	v_dual_lshrrev_b32 v54, 16, v58 :: v_dual_lshrrev_b32 v55, 16, v59
	v_and_b32_e32 v58, 0xffff, v58
	v_and_b32_e32 v59, 0xffff, v59
	v_mul_u32_u24_e32 v124, 0x10001, v138
	s_wait_dscnt 0x0
	v_dual_lshrrev_b32 v96, 16, v6 :: v_dual_lshrrev_b32 v97, 16, v7
	v_and_b32_e32 v100, 0xffff, v6
	v_and_b32_e32 v104, 0xffff, v7
	v_dual_lshrrev_b32 v108, 16, v8 :: v_dual_lshrrev_b32 v109, 16, v9
	v_and_b32_e32 v116, 0xffff, v8
	v_and_b32_e32 v120, 0xffff, v9
	ds_load_2addr_b64 v[6:9], v92 offset1:32
	v_mul_u32_u24_e32 v127, 0x10001, v140
	v_dual_lshrrev_b32 v62, 16, v60 :: v_dual_lshrrev_b32 v63, 16, v61
	v_and_b32_e32 v60, 0xffff, v60
	v_and_b32_e32 v61, 0xffff, v61
	v_mul_u32_u24_e32 v55, 0x10001, v55
	v_mul_u32_u24_e32 v58, 0x10001, v58
	;; [unrolled: 1-line block ×14, first 2 shown]
	s_wait_dscnt 0x0
	v_pk_fma_f16 v17, v6, v15, v21
	v_pk_fma_f16 v15, v7, v15, v16
	v_mul_u32_u24_e32 v16, 0x10001, v117
	v_mul_u32_u24_e32 v117, 0x10001, v136
	;; [unrolled: 1-line block ×4, first 2 shown]
	s_delay_alu instid0(VALU_DEP_4) | instskip(SKIP_4) | instid1(VALU_DEP_3)
	v_pk_fma_f16 v20, v7, v16, v51
	v_pk_fma_f16 v11, v6, v16, v11
	v_mul_u32_u24_e32 v16, 0x10001, v110
	v_mul_u32_u24_e32 v51, 0x10001, v57
	;; [unrolled: 1-line block ×3, first 2 shown]
	v_pk_fma_f16 v21, v7, v16, v53
	v_pk_fma_f16 v12, v6, v16, v12
	v_mul_u32_u24_e32 v16, 0x10001, v111
	v_mul_u32_u24_e32 v53, 0x10001, v106
	;; [unrolled: 1-line block ×4, first 2 shown]
	s_delay_alu instid0(VALU_DEP_4) | instskip(SKIP_3) | instid1(VALU_DEP_3)
	v_pk_fma_f16 v4, v6, v16, v4
	v_mul_u32_u24_e32 v6, 0x10001, v105
	v_pk_fma_f16 v7, v7, v16, v14
	v_mul_u32_u24_e32 v105, 0x10001, v131
	v_pk_fma_f16 v14, v8, v6, v17
	v_pk_fma_f16 v15, v9, v6, v15
	v_mul_u32_u24_e32 v6, 0x10001, v101
	v_mul_u32_u24_e32 v101, 0x10001, v126
	v_mul_u32_u24_e32 v126, 0x10001, v139
	s_delay_alu instid0(VALU_DEP_3) | instskip(SKIP_2) | instid1(VALU_DEP_1)
	v_pk_fma_f16 v16, v9, v6, v20
	v_pk_fma_f16 v11, v8, v6, v11
	v_mul_u32_u24_e32 v6, 0x10001, v52
	v_pk_fma_f16 v17, v9, v6, v21
	v_pk_fma_f16 v12, v8, v6, v12
	v_mul_u32_u24_e32 v6, 0x10001, v56
	s_delay_alu instid0(VALU_DEP_1)
	v_pk_fma_f16 v20, v9, v6, v7
	v_pk_fma_f16 v4, v8, v6, v4
	ds_load_2addr_b64 v[6:9], v92 offset0:64 offset1:96
	s_wait_dscnt 0x0
	v_pk_fma_f16 v21, v6, v18, v14
	v_pk_fma_f16 v18, v7, v18, v15
	v_pk_fma_f16 v16, v7, v19, v16
	v_pk_fma_f16 v17, v7, v13, v17
	v_pk_fma_f16 v11, v6, v19, v11
	v_pk_fma_f16 v19, v6, v13, v12
	ds_load_2addr_b64 v[12:15], v92 offset0:128 offset1:160
	v_pk_fma_f16 v52, v6, v5, v4
	v_pk_fma_f16 v20, v7, v5, v20
	v_pk_fma_f16 v21, v8, v22, v21
	v_pk_fma_f16 v18, v9, v22, v18
	v_pk_fma_f16 v16, v9, v23, v16
	v_pk_fma_f16 v17, v9, v51, v17
	v_pk_fma_f16 v22, v8, v23, v11
	v_pk_fma_f16 v19, v8, v51, v19
	ds_load_2addr_b64 v[4:7], v92 offset0:192 offset1:224
	v_pk_fma_f16 v23, v8, v10, v52
	v_mul_u32_u24_e32 v51, 0x10001, v112
	v_mul_u32_u24_e32 v52, 0x10001, v113
	v_pk_fma_f16 v20, v9, v10, v20
	ds_load_2addr_b64 v[8:11], v93 offset1:32
	v_mul_u32_u24_e32 v112, 0x10001, v137
	v_mul_u32_u24_e32 v113, 0x10001, v134
	s_wait_dscnt 0x2
	v_pk_fma_f16 v21, v12, v51, v21
	v_pk_fma_f16 v51, v13, v51, v18
	;; [unrolled: 1-line block ×6, first 2 shown]
	v_mul_u32_u24_e32 v53, 0x10001, v118
	v_pk_fma_f16 v51, v15, v94, v51
	v_pk_fma_f16 v56, v15, v95, v56
	v_pk_fma_f16 v57, v15, v101, v57
	v_pk_fma_f16 v52, v14, v101, v52
	v_pk_fma_f16 v13, v13, v53, v20
	v_pk_fma_f16 v12, v12, v53, v23
	v_pk_fma_f16 v53, v14, v94, v21
	v_pk_fma_f16 v94, v14, v95, v22
	v_mul_u32_u24_e32 v95, 0x10001, v129
	ds_load_2addr_b64 v[16:19], v93 offset0:64 offset1:96
	v_mul_u32_u24_e32 v118, 0x10001, v135
	s_wait_dscnt 0x2
	v_pk_fma_f16 v53, v4, v105, v53
	v_pk_fma_f16 v51, v5, v105, v51
	;; [unrolled: 1-line block ×18, first 2 shown]
	ds_load_2addr_b64 v[20:23], v93 offset0:128 offset1:160
	s_wait_dscnt 0x2
	v_pk_fma_f16 v6, v8, v98, v53
	v_pk_fma_f16 v51, v9, v98, v51
	;; [unrolled: 1-line block ×16, first 2 shown]
	ds_load_2addr_b64 v[12:15], v93 offset0:192 offset1:224
	s_wait_dscnt 0x2
	v_pk_fma_f16 v6, v16, v121, v6
	v_pk_fma_f16 v10, v17, v122, v50
	;; [unrolled: 1-line block ×8, first 2 shown]
	s_wait_dscnt 0x0
	s_barrier_signal -1
	s_barrier_wait -1
	s_load_b32 s2, s[44:45], 0x4
	v_pk_fma_f16 v6, v18, v124, v6
	v_pk_fma_f16 v10, v19, v126, v10
	;; [unrolled: 1-line block ×32, first 2 shown]
	s_wait_kmcnt 0x0
	s_lshl_b32 s2, s2, 7
	v_pk_fma_f16 v94, v14, v109, v6
	v_pk_fma_f16 v101, v15, v116, v10
	;; [unrolled: 1-line block ×8, first 2 shown]
	s_add_co_i32 s18, s2, s18
	s_delay_alu instid0(SALU_CYCLE_1)
	s_cmp_ge_i32 s18, s36
	s_cbranch_scc0 .LBB5_9
; %bb.10:
	v_mov_b32_e32 v5, v67
.LBB5_11:
	v_cmp_lt_i32_e32 vcc_lo, v73, v68
	s_cmp_lg_u64 s[20:21], 0
	s_cselect_b32 s2, -1, 0
	s_cmp_eq_u32 s33, 0
	v_cndmask_b32_e32 v4, v5, v73, vcc_lo
	v_cmp_lt_i32_e32 vcc_lo, v72, v68
	s_cselect_b32 s3, -1, 0
	s_delay_alu instid0(SALU_CYCLE_1) | instskip(NEXT) | instid1(VALU_DEP_2)
	s_and_b32 s2, s3, s2
	v_lshlrev_b32_e32 v4, 2, v4
	ds_bpermute_b32 v6, v4, v30
	ds_bpermute_b32 v7, v4, v31
	ds_bpermute_b32 v8, v4, v28
	ds_bpermute_b32 v9, v4, v29
	v_cndmask_b32_e32 v4, v5, v72, vcc_lo
	v_cmp_lt_i32_e32 vcc_lo, v71, v68
	s_delay_alu instid0(VALU_DEP_2)
	v_lshlrev_b32_e32 v4, 2, v4
	s_wait_dscnt 0x2
	v_pk_add_f32 v[6:7], v[30:31], v[6:7]
	s_wait_dscnt 0x0
	v_pk_add_f32 v[8:9], v[28:29], v[8:9]
	ds_bpermute_b32 v10, v4, v6
	ds_bpermute_b32 v11, v4, v7
	ds_bpermute_b32 v12, v4, v8
	ds_bpermute_b32 v13, v4, v9
	v_cndmask_b32_e32 v4, v5, v71, vcc_lo
	v_cmp_lt_i32_e32 vcc_lo, v70, v68
	s_delay_alu instid0(VALU_DEP_2)
	v_lshlrev_b32_e32 v4, 2, v4
	s_wait_dscnt 0x2
	v_pk_add_f32 v[6:7], v[6:7], v[10:11]
	s_wait_dscnt 0x0
	v_pk_add_f32 v[8:9], v[8:9], v[12:13]
	;; [unrolled: 12-line block ×3, first 2 shown]
	ds_bpermute_b32 v10, v4, v6
	ds_bpermute_b32 v11, v4, v7
	;; [unrolled: 1-line block ×4, first 2 shown]
	v_cndmask_b32_e32 v4, v5, v69, vcc_lo
	s_and_b32 vcc_lo, exec_lo, s2
	s_delay_alu instid0(VALU_DEP_1)
	v_lshlrev_b32_e32 v14, 2, v4
	s_wait_dscnt 0x2
	v_pk_add_f32 v[4:5], v[6:7], v[10:11]
	s_wait_dscnt 0x0
	v_pk_add_f32 v[8:9], v[8:9], v[12:13]
	ds_bpermute_b32 v6, v14, v4
	ds_bpermute_b32 v7, v14, v5
	;; [unrolled: 1-line block ×4, first 2 shown]
	s_wait_dscnt 0x2
	v_pk_add_f32 v[6:7], v[4:5], v[6:7]
	s_wait_dscnt 0x0
	v_pk_add_f32 v[4:5], v[8:9], v[10:11]
	v_add_nc_u32_e32 v8, s46, v24
	s_cbranch_vccz .LBB5_13
; %bb.12:
	s_delay_alu instid0(VALU_DEP_1) | instskip(SKIP_1) | instid1(VALU_DEP_2)
	v_dual_ashrrev_i32 v9, 31, v8 :: v_dual_max_num_f32 v15, v1, v1
	v_dual_max_num_f32 v16, v2, v2 :: v_dual_max_num_f32 v17, v3, v3
	v_lshl_add_u64 v[10:11], v[8:9], 2, s[20:21]
	v_max_num_f32_e32 v9, v0, v0
	global_load_b128 v[10:13], v[10:11], off
	s_wait_loadcnt 0x0
	v_dual_max_num_f32 v14, v10, v10 :: v_dual_max_num_f32 v18, v11, v11
	v_dual_max_num_f32 v19, v12, v12 :: v_dual_max_num_f32 v20, v13, v13
	s_delay_alu instid0(VALU_DEP_2) | instskip(NEXT) | instid1(VALU_DEP_2)
	v_max_num_f32_e32 v14, v9, v14
	v_dual_max_num_f32 v15, v15, v18 :: v_dual_max_num_f32 v16, v16, v19
	s_delay_alu instid0(VALU_DEP_2) | instskip(NEXT) | instid1(VALU_DEP_2)
	v_dual_max_num_f32 v17, v17, v20 :: v_dual_sub_f32 v0, v0, v14
	v_dual_sub_f32 v9, v10, v14 :: v_dual_sub_f32 v1, v1, v15
	s_delay_alu instid0(VALU_DEP_3) | instskip(NEXT) | instid1(VALU_DEP_3)
	v_dual_sub_f32 v10, v11, v15 :: v_dual_sub_f32 v11, v2, v16
	v_dual_sub_f32 v13, v13, v17 :: v_dual_mul_f32 v2, 0x3fb8aa3b, v0
	v_dual_sub_f32 v12, v12, v16 :: v_dual_sub_f32 v18, v3, v17
	s_delay_alu instid0(VALU_DEP_3) | instskip(NEXT) | instid1(VALU_DEP_2)
	v_dual_mul_f32 v3, 0x3fb8aa3b, v9 :: v_dual_mul_f32 v20, 0x3fb8aa3b, v10
	v_dual_mul_f32 v19, 0x3fb8aa3b, v1 :: v_dual_mul_f32 v22, 0x3fb8aa3b, v12
	s_delay_alu instid0(VALU_DEP_4)
	v_fma_f32 v26, 0x3fb8aa3b, v0, -v2
	v_rndne_f32_e32 v27, v2
	v_dual_mul_f32 v21, 0x3fb8aa3b, v11 :: v_dual_mul_f32 v24, 0x3fb8aa3b, v13
	v_mul_f32_e32 v23, 0x3fb8aa3b, v18
	v_fma_f32 v28, 0x3fb8aa3b, v9, -v3
	v_rndne_f32_e32 v29, v3
	v_fma_f32 v30, 0x3fb8aa3b, v1, -v19
	v_rndne_f32_e32 v31, v19
	v_rndne_f32_e32 v33, v20
	s_delay_alu instid0(VALU_DEP_4)
	v_dual_fmac_f32 v26, 0x32a5705f, v0 :: v_dual_sub_f32 v3, v3, v29
	v_sub_f32_e32 v2, v2, v27
	v_fma_f32 v32, 0x3fb8aa3b, v10, -v20
	v_fma_f32 v34, 0x3fb8aa3b, v11, -v21
	v_rndne_f32_e32 v35, v21
	v_fma_f32 v36, 0x3fb8aa3b, v12, -v22
	v_dual_fmac_f32 v28, 0x32a5705f, v9 :: v_dual_sub_f32 v19, v19, v31
	s_delay_alu instid0(VALU_DEP_3) | instskip(SKIP_1) | instid1(VALU_DEP_3)
	v_dual_fmac_f32 v30, 0x32a5705f, v1 :: v_dual_sub_f32 v21, v21, v35
	v_dual_sub_f32 v20, v20, v33 :: v_dual_add_f32 v2, v2, v26
	v_dual_fmac_f32 v34, 0x32a5705f, v11 :: v_dual_add_f32 v3, v3, v28
	s_delay_alu instid0(VALU_DEP_3) | instskip(NEXT) | instid1(VALU_DEP_3)
	v_dual_fmac_f32 v36, 0x32a5705f, v12 :: v_dual_add_f32 v19, v19, v30
	v_exp_f32_e32 v2, v2
	v_cvt_i32_f32_e32 v27, v27
	v_rndne_f32_e32 v37, v22
	v_rndne_f32_e32 v39, v23
	v_fmac_f32_e32 v32, 0x32a5705f, v10
	v_exp_f32_e32 v3, v3
	v_exp_f32_e32 v19, v19
	v_cvt_i32_f32_e32 v29, v29
	v_cvt_i32_f32_e32 v31, v31
	v_ldexp_f32 v2, v2, v27
	v_cmp_ngt_f32_e32 vcc_lo, 0xc2ce8ed0, v0
	v_fma_f32 v38, 0x3fb8aa3b, v18, -v23
	v_fma_f32 v40, 0x3fb8aa3b, v13, -v24
	v_dual_sub_f32 v23, v23, v39 :: v_dual_sub_f32 v22, v22, v37
	v_add_f32_e32 v20, v20, v32
	v_ldexp_f32 v3, v3, v29
	v_ldexp_f32 v19, v19, v31
	v_cndmask_b32_e32 v2, 0, v2, vcc_lo
	v_cmp_ngt_f32_e32 vcc_lo, 0xc2ce8ed0, v9
	v_rndne_f32_e32 v41, v24
	v_dual_fmac_f32 v40, 0x32a5705f, v13 :: v_dual_add_f32 v21, v21, v34
	v_exp_f32_e32 v20, v20
	v_cvt_i32_f32_e32 v33, v33
	v_dual_fmac_f32 v38, 0x32a5705f, v18 :: v_dual_cndmask_b32 v3, 0, v3
	v_cmp_ngt_f32_e32 vcc_lo, 0xc2ce8ed0, v1
	v_dual_sub_f32 v24, v24, v41 :: v_dual_add_f32 v22, v22, v36
	v_exp_f32_e32 v21, v21
	v_cvt_i32_f32_e32 v35, v35
	v_ldexp_f32 v20, v20, v33
	v_cndmask_b32_e32 v19, 0, v19, vcc_lo
	v_cmp_ngt_f32_e32 vcc_lo, 0xc2ce8ed0, v10
	v_dual_add_f32 v23, v23, v38 :: v_dual_add_f32 v24, v24, v40
	v_exp_f32_e32 v22, v22
	v_cvt_i32_f32_e32 v37, v37
	v_ldexp_f32 v21, v21, v35
	v_cndmask_b32_e32 v20, 0, v20, vcc_lo
	v_cmp_ngt_f32_e32 vcc_lo, 0xc2ce8ed0, v11
	v_exp_f32_e32 v23, v23
	v_cvt_i32_f32_e32 v39, v39
	v_ldexp_f32 v22, v22, v37
	v_exp_f32_e32 v24, v24
	v_cndmask_b32_e32 v21, 0, v21, vcc_lo
	v_cmp_ngt_f32_e32 vcc_lo, 0xc2ce8ed0, v12
	v_cvt_i32_f32_e32 v41, v41
	v_ldexp_f32 v23, v23, v39
	v_cndmask_b32_e32 v22, 0, v22, vcc_lo
	v_cmp_ngt_f32_e32 vcc_lo, 0xc2ce8ed0, v18
	s_delay_alu instid0(VALU_DEP_4) | instskip(NEXT) | instid1(VALU_DEP_4)
	v_ldexp_f32 v24, v24, v41
	v_cndmask_b32_e32 v23, 0, v23, vcc_lo
	v_cmp_ngt_f32_e32 vcc_lo, 0xc2ce8ed0, v13
	s_delay_alu instid0(VALU_DEP_3) | instskip(SKIP_3) | instid1(VALU_DEP_2)
	v_cndmask_b32_e32 v24, 0, v24, vcc_lo
	v_cmp_nlt_f32_e32 vcc_lo, 0x42b17218, v0
	v_cndmask_b32_e32 v0, 0x7f800000, v2, vcc_lo
	v_cmp_nlt_f32_e32 vcc_lo, 0x42b17218, v9
	v_cvt_f16_f32_e32 v9, v0
	v_cndmask_b32_e32 v2, 0x7f800000, v3, vcc_lo
	v_cmp_nlt_f32_e32 vcc_lo, 0x42b17218, v1
	s_delay_alu instid0(VALU_DEP_3) | instskip(SKIP_4) | instid1(VALU_DEP_2)
	v_and_b32_e32 v9, 0xffff, v9
	v_cndmask_b32_e32 v1, 0x7f800000, v19, vcc_lo
	v_cmp_nlt_f32_e32 vcc_lo, 0x42b17218, v10
	v_cndmask_b32_e32 v3, 0x7f800000, v20, vcc_lo
	v_cmp_nlt_f32_e32 vcc_lo, 0x42b17218, v11
	v_pk_fma_f32 v[6:7], v[6:7], v[0:1], v[2:3]
	v_cndmask_b32_e32 v10, 0x7f800000, v21, vcc_lo
	v_cmp_nlt_f32_e32 vcc_lo, 0x42b17218, v12
	v_mul_u32_u24_e32 v3, 0x10001, v9
	s_delay_alu instid0(VALU_DEP_3)
	v_cvt_f16_f32_e32 v19, v10
	v_cndmask_b32_e32 v12, 0x7f800000, v22, vcc_lo
	v_cmp_nlt_f32_e32 vcc_lo, 0x42b17218, v18
	v_cvt_f16_f32_e32 v18, v1
	v_pk_mul_f16 v100, v100, v3
	v_and_b32_e32 v1, 0xffff, v19
	v_pk_mul_f16 v101, v101, v3
	v_cndmask_b32_e32 v11, 0x7f800000, v23, vcc_lo
	v_and_b32_e32 v0, 0xffff, v18
	v_cmp_nlt_f32_e32 vcc_lo, 0x42b17218, v13
	v_mul_u32_u24_e32 v1, 0x10001, v1
	s_delay_alu instid0(VALU_DEP_4) | instskip(NEXT) | instid1(VALU_DEP_4)
	v_cvt_f16_f32_e32 v20, v11
	v_mul_u32_u24_e32 v0, 0x10001, v0
	v_cndmask_b32_e32 v13, 0x7f800000, v24, vcc_lo
	s_delay_alu instid0(VALU_DEP_4)
	v_pk_mul_f16 v97, v97, v1
	v_pk_mul_f16 v96, v96, v1
	v_and_b32_e32 v2, 0xffff, v20
	v_pk_mul_f16 v99, v99, v0
	v_pk_mul_f16 v98, v98, v0
	v_pk_fma_f32 v[4:5], v[4:5], v[10:11], v[12:13]
	s_delay_alu instid0(VALU_DEP_4) | instskip(NEXT) | instid1(VALU_DEP_1)
	v_mul_u32_u24_e32 v2, 0x10001, v2
	v_pk_mul_f16 v94, v94, v2
	v_pk_mul_f16 v95, v95, v2
	v_mov_b64_e32 v[0:1], v[14:15]
	v_mov_b64_e32 v[2:3], v[16:17]
.LBB5_13:
	s_mov_b32 s2, exec_lo
	v_cmpx_gt_i32_e64 s30, v64
	s_cbranch_execz .LBB5_30
; %bb.14:
	s_load_b32 s0, s[0:1], 0xd4
	v_mov_b32_e32 v10, 1.0
	s_wait_kmcnt 0x0
	s_cmp_lg_u32 s0, 1
	s_cselect_b32 s1, -1, 0
	s_cmp_eq_u32 s0, 1
	s_cselect_b32 s2, -1, 0
	s_and_b32 vcc_lo, exec_lo, s1
	s_cbranch_vccnz .LBB5_16
; %bb.15:
	v_div_scale_f32 v9, null, v6, v6, 1.0
	s_delay_alu instid0(VALU_DEP_1) | instskip(SKIP_1) | instid1(TRANS32_DEP_1)
	v_rcp_f32_e32 v10, v9
	v_nop
	v_fma_f32 v11, -v9, v10, 1.0
	s_delay_alu instid0(VALU_DEP_1) | instskip(SKIP_1) | instid1(VALU_DEP_1)
	v_fmac_f32_e32 v10, v11, v10
	v_div_scale_f32 v11, vcc_lo, 1.0, v6, 1.0
	v_mul_f32_e32 v12, v11, v10
	s_delay_alu instid0(VALU_DEP_1) | instskip(NEXT) | instid1(VALU_DEP_1)
	v_fma_f32 v13, -v9, v12, v11
	v_fmac_f32_e32 v12, v13, v10
	s_delay_alu instid0(VALU_DEP_1) | instskip(NEXT) | instid1(VALU_DEP_1)
	v_fma_f32 v9, -v9, v12, v11
	v_div_fmas_f32 v9, v9, v10, v12
	s_delay_alu instid0(VALU_DEP_1)
	v_div_fixup_f32 v10, v9, v6, 1.0
.LBB5_16:
	v_mad_u32 v9, s34, s30, v64
	v_lshrrev_b32_e32 v11, 16, v101
	v_cvt_f32_f16_e32 v12, v100
	v_cvt_f32_f16_e32 v16, v101
	v_cmp_eq_u32_e32 vcc_lo, 0, v65
	v_mov_b32_e32 v15, 0
	v_cvt_f32_f16_e32 v17, v11
	s_and_b32 s1, vcc_lo, s1
	v_mad_u32 v8, v9, s31, v8
	s_delay_alu instid0(VALU_DEP_1) | instskip(SKIP_1) | instid1(VALU_DEP_1)
	v_mad_u32 v9, s0, v8, s33
	v_lshrrev_b32_e32 v8, 16, v100
	v_cvt_f32_f16_e32 v13, v8
	s_delay_alu instid0(VALU_DEP_1) | instskip(NEXT) | instid1(VALU_DEP_4)
	v_pk_mul_f32 v[12:13], v[10:11], v[12:13] op_sel_hi:[0,1]
	v_lshl_add_u32 v14, v9, 7, v25
	s_delay_alu instid0(VALU_DEP_1)
	v_lshl_add_u64 v[18:19], v[14:15], 2, s[24:25]
	v_pk_mul_f32 v[14:15], v[10:11], v[16:17] op_sel_hi:[0,1]
	global_store_b128 v[18:19], v[12:15], off
	s_wait_xcnt 0x0
	s_and_saveexec_b32 s3, s1
	s_cbranch_execz .LBB5_18
; %bb.17:
	v_dual_mov_b32 v10, v0 :: v_dual_mov_b32 v11, v6
	global_store_b64 v9, v[10:11], s[26:27] scale_offset
.LBB5_18:
	s_wait_xcnt 0x0
	s_or_b32 exec_lo, exec_lo, s3
	v_cndmask_b32_e64 v8, 0, 1, s2
	v_mov_b32_e32 v0, 1.0
	s_and_not1_b32 vcc_lo, exec_lo, s2
	s_cbranch_vccnz .LBB5_20
; %bb.19:
	v_div_scale_f32 v0, null, v7, v7, 1.0
	s_delay_alu instid0(VALU_DEP_1) | instskip(SKIP_1) | instid1(TRANS32_DEP_1)
	v_rcp_f32_e32 v6, v0
	v_nop
	v_fma_f32 v10, -v0, v6, 1.0
	s_delay_alu instid0(VALU_DEP_1) | instskip(SKIP_1) | instid1(VALU_DEP_1)
	v_fmac_f32_e32 v6, v10, v6
	v_div_scale_f32 v10, vcc_lo, 1.0, v7, 1.0
	v_mul_f32_e32 v11, v10, v6
	s_delay_alu instid0(VALU_DEP_1) | instskip(NEXT) | instid1(VALU_DEP_1)
	v_fma_f32 v12, -v0, v11, v10
	v_fmac_f32_e32 v11, v12, v6
	s_delay_alu instid0(VALU_DEP_1) | instskip(NEXT) | instid1(VALU_DEP_1)
	v_fma_f32 v0, -v0, v11, v10
	v_div_fmas_f32 v0, v0, v6, v11
	s_delay_alu instid0(VALU_DEP_1)
	v_div_fixup_f32 v0, v0, v7, 1.0
.LBB5_20:
	v_dual_add_nc_u32 v9, s0, v9 :: v_dual_lshrrev_b32 v6, 16, v99
	v_dual_mov_b32 v11, 0 :: v_dual_lshrrev_b32 v15, 16, v98
	v_cvt_f32_f16_e32 v12, v99
	s_delay_alu instid0(VALU_DEP_3) | instskip(NEXT) | instid1(VALU_DEP_4)
	v_lshl_add_u32 v10, v9, 7, v25
	v_cvt_f32_f16_e32 v13, v6
	v_cvt_f32_f16_e32 v14, v98
	;; [unrolled: 1-line block ×3, first 2 shown]
	s_delay_alu instid0(VALU_DEP_4) | instskip(NEXT) | instid1(VALU_DEP_4)
	v_lshl_add_u64 v[16:17], v[10:11], 2, s[24:25]
	v_pk_mul_f32 v[10:11], v[0:1], v[12:13] op_sel_hi:[0,1]
	s_delay_alu instid0(VALU_DEP_3)
	v_pk_mul_f32 v[12:13], v[0:1], v[14:15] op_sel_hi:[0,1]
	global_store_b128 v[16:17], v[10:13], off
	s_wait_xcnt 0x0
	s_and_saveexec_b32 s2, s1
	s_cbranch_execz .LBB5_22
; %bb.21:
	v_mov_b32_e32 v6, v1
	global_store_b64 v9, v[6:7], s[26:27] scale_offset
.LBB5_22:
	s_wait_xcnt 0x0
	s_or_b32 exec_lo, exec_lo, s2
	v_cmp_ne_u32_e32 vcc_lo, 1, v8
	v_mov_b32_e32 v0, 1.0
	s_cbranch_vccnz .LBB5_24
; %bb.23:
	v_div_scale_f32 v0, null, v4, v4, 1.0
	s_delay_alu instid0(VALU_DEP_1) | instskip(SKIP_1) | instid1(TRANS32_DEP_1)
	v_rcp_f32_e32 v1, v0
	v_nop
	v_fma_f32 v6, -v0, v1, 1.0
	s_delay_alu instid0(VALU_DEP_1) | instskip(SKIP_1) | instid1(VALU_DEP_1)
	v_fmac_f32_e32 v1, v6, v1
	v_div_scale_f32 v6, vcc_lo, 1.0, v4, 1.0
	v_mul_f32_e32 v7, v6, v1
	s_delay_alu instid0(VALU_DEP_1) | instskip(NEXT) | instid1(VALU_DEP_1)
	v_fma_f32 v10, -v0, v7, v6
	v_fmac_f32_e32 v7, v10, v1
	s_delay_alu instid0(VALU_DEP_1) | instskip(NEXT) | instid1(VALU_DEP_1)
	v_fma_f32 v0, -v0, v7, v6
	v_div_fmas_f32 v0, v0, v1, v7
	s_delay_alu instid0(VALU_DEP_1)
	v_div_fixup_f32 v0, v0, v4, 1.0
.LBB5_24:
	v_dual_add_nc_u32 v1, s0, v9 :: v_dual_mov_b32 v7, 0
	v_dual_lshrrev_b32 v9, 16, v97 :: v_dual_lshrrev_b32 v13, 16, v96
	v_cvt_f32_f16_e32 v10, v97
	s_delay_alu instid0(VALU_DEP_3) | instskip(SKIP_1) | instid1(VALU_DEP_4)
	v_lshl_add_u32 v6, v1, 7, v25
	v_cvt_f32_f16_e32 v12, v96
	v_cvt_f32_f16_e32 v11, v9
	;; [unrolled: 1-line block ×3, first 2 shown]
	s_delay_alu instid0(VALU_DEP_4) | instskip(NEXT) | instid1(VALU_DEP_3)
	v_lshl_add_u64 v[6:7], v[6:7], 2, s[24:25]
	v_pk_mul_f32 v[10:11], v[0:1], v[10:11] op_sel_hi:[0,1]
	s_delay_alu instid0(VALU_DEP_3)
	v_pk_mul_f32 v[12:13], v[0:1], v[12:13] op_sel_hi:[0,1]
	global_store_b128 v[6:7], v[10:13], off
	s_wait_xcnt 0x0
	s_and_saveexec_b32 s2, s1
	s_cbranch_execz .LBB5_26
; %bb.25:
	v_dual_mov_b32 v6, v2 :: v_dual_mov_b32 v7, v4
	global_store_b64 v1, v[6:7], s[26:27] scale_offset
.LBB5_26:
	s_wait_xcnt 0x0
	s_or_b32 exec_lo, exec_lo, s2
	v_cmp_ne_u32_e32 vcc_lo, 1, v8
	v_mov_b32_e32 v0, 1.0
	s_cbranch_vccnz .LBB5_28
; %bb.27:
	v_div_scale_f32 v0, null, v5, v5, 1.0
	s_delay_alu instid0(VALU_DEP_1) | instskip(SKIP_1) | instid1(TRANS32_DEP_1)
	v_rcp_f32_e32 v2, v0
	v_nop
	v_fma_f32 v4, -v0, v2, 1.0
	s_delay_alu instid0(VALU_DEP_1) | instskip(SKIP_1) | instid1(VALU_DEP_1)
	v_fmac_f32_e32 v2, v4, v2
	v_div_scale_f32 v4, vcc_lo, 1.0, v5, 1.0
	v_mul_f32_e32 v6, v4, v2
	s_delay_alu instid0(VALU_DEP_1) | instskip(NEXT) | instid1(VALU_DEP_1)
	v_fma_f32 v7, -v0, v6, v4
	v_fmac_f32_e32 v6, v7, v2
	s_delay_alu instid0(VALU_DEP_1) | instskip(NEXT) | instid1(VALU_DEP_1)
	v_fma_f32 v0, -v0, v6, v4
	v_div_fmas_f32 v0, v0, v2, v6
	s_delay_alu instid0(VALU_DEP_1)
	v_div_fixup_f32 v0, v0, v5, 1.0
.LBB5_28:
	v_dual_add_nc_u32 v1, s0, v1 :: v_dual_lshrrev_b32 v2, 16, v94
	v_dual_mov_b32 v7, 0 :: v_dual_lshrrev_b32 v4, 16, v95
	v_cvt_f32_f16_e32 v8, v94
	s_delay_alu instid0(VALU_DEP_3) | instskip(NEXT) | instid1(VALU_DEP_4)
	v_lshl_add_u32 v6, v1, 7, v25
	v_cvt_f32_f16_e32 v9, v2
	v_cvt_f32_f16_e32 v10, v95
	;; [unrolled: 1-line block ×3, first 2 shown]
	s_delay_alu instid0(VALU_DEP_4) | instskip(NEXT) | instid1(VALU_DEP_4)
	v_lshl_add_u64 v[12:13], v[6:7], 2, s[24:25]
	v_pk_mul_f32 v[6:7], v[0:1], v[8:9] op_sel_hi:[0,1]
	s_delay_alu instid0(VALU_DEP_3)
	v_pk_mul_f32 v[8:9], v[0:1], v[10:11] op_sel_hi:[0,1]
	global_store_b128 v[12:13], v[6:9], off
	s_wait_xcnt 0x0
	s_and_b32 exec_lo, exec_lo, s1
	s_cbranch_execz .LBB5_30
; %bb.29:
	v_mov_b32_e32 v4, v3
	global_store_b64 v1, v[4:5], s[26:27] scale_offset
.LBB5_30:
	s_sendmsg sendmsg(MSG_DEALLOC_VGPRS)
	s_endpgm
	.section	.rodata,"a",@progbits
	.p2align	6, 0x0
	.amdhsa_kernel _ZL15flash_attn_tileILi128ELi128ELi4ELi8ELb0EEvPKcS1_S1_S1_S1_PKiPfP15HIP_vector_typeIfLj2EEffffjfiS5_IjLj3EEiiiiiiiiiiiliiliiiiil
		.amdhsa_group_segment_fixed_size 34816
		.amdhsa_private_segment_fixed_size 0
		.amdhsa_kernarg_size 464
		.amdhsa_user_sgpr_count 2
		.amdhsa_user_sgpr_dispatch_ptr 0
		.amdhsa_user_sgpr_queue_ptr 0
		.amdhsa_user_sgpr_kernarg_segment_ptr 1
		.amdhsa_user_sgpr_dispatch_id 0
		.amdhsa_user_sgpr_kernarg_preload_length 0
		.amdhsa_user_sgpr_kernarg_preload_offset 0
		.amdhsa_user_sgpr_private_segment_size 0
		.amdhsa_wavefront_size32 1
		.amdhsa_uses_dynamic_stack 0
		.amdhsa_enable_private_segment 0
		.amdhsa_system_sgpr_workgroup_id_x 1
		.amdhsa_system_sgpr_workgroup_id_y 1
		.amdhsa_system_sgpr_workgroup_id_z 1
		.amdhsa_system_sgpr_workgroup_info 0
		.amdhsa_system_vgpr_workitem_id 1
		.amdhsa_next_free_vgpr 164
		.amdhsa_next_free_sgpr 47
		.amdhsa_named_barrier_count 0
		.amdhsa_reserve_vcc 1
		.amdhsa_float_round_mode_32 0
		.amdhsa_float_round_mode_16_64 0
		.amdhsa_float_denorm_mode_32 3
		.amdhsa_float_denorm_mode_16_64 3
		.amdhsa_fp16_overflow 0
		.amdhsa_memory_ordered 1
		.amdhsa_forward_progress 1
		.amdhsa_inst_pref_size 218
		.amdhsa_round_robin_scheduling 0
		.amdhsa_exception_fp_ieee_invalid_op 0
		.amdhsa_exception_fp_denorm_src 0
		.amdhsa_exception_fp_ieee_div_zero 0
		.amdhsa_exception_fp_ieee_overflow 0
		.amdhsa_exception_fp_ieee_underflow 0
		.amdhsa_exception_fp_ieee_inexact 0
		.amdhsa_exception_int_div_zero 0
	.end_amdhsa_kernel
	.section	.text._ZL15flash_attn_tileILi128ELi128ELi4ELi8ELb0EEvPKcS1_S1_S1_S1_PKiPfP15HIP_vector_typeIfLj2EEffffjfiS5_IjLj3EEiiiiiiiiiiiliiliiiiil,"axG",@progbits,_ZL15flash_attn_tileILi128ELi128ELi4ELi8ELb0EEvPKcS1_S1_S1_S1_PKiPfP15HIP_vector_typeIfLj2EEffffjfiS5_IjLj3EEiiiiiiiiiiiliiliiiiil,comdat
.Lfunc_end5:
	.size	_ZL15flash_attn_tileILi128ELi128ELi4ELi8ELb0EEvPKcS1_S1_S1_S1_PKiPfP15HIP_vector_typeIfLj2EEffffjfiS5_IjLj3EEiiiiiiiiiiiliiliiiiil, .Lfunc_end5-_ZL15flash_attn_tileILi128ELi128ELi4ELi8ELb0EEvPKcS1_S1_S1_S1_PKiPfP15HIP_vector_typeIfLj2EEffffjfiS5_IjLj3EEiiiiiiiiiiiliiliiiiil
                                        ; -- End function
	.set _ZL15flash_attn_tileILi128ELi128ELi4ELi8ELb0EEvPKcS1_S1_S1_S1_PKiPfP15HIP_vector_typeIfLj2EEffffjfiS5_IjLj3EEiiiiiiiiiiiliiliiiiil.num_vgpr, 164
	.set _ZL15flash_attn_tileILi128ELi128ELi4ELi8ELb0EEvPKcS1_S1_S1_S1_PKiPfP15HIP_vector_typeIfLj2EEffffjfiS5_IjLj3EEiiiiiiiiiiiliiliiiiil.num_agpr, 0
	.set _ZL15flash_attn_tileILi128ELi128ELi4ELi8ELb0EEvPKcS1_S1_S1_S1_PKiPfP15HIP_vector_typeIfLj2EEffffjfiS5_IjLj3EEiiiiiiiiiiiliiliiiiil.numbered_sgpr, 47
	.set _ZL15flash_attn_tileILi128ELi128ELi4ELi8ELb0EEvPKcS1_S1_S1_S1_PKiPfP15HIP_vector_typeIfLj2EEffffjfiS5_IjLj3EEiiiiiiiiiiiliiliiiiil.num_named_barrier, 0
	.set _ZL15flash_attn_tileILi128ELi128ELi4ELi8ELb0EEvPKcS1_S1_S1_S1_PKiPfP15HIP_vector_typeIfLj2EEffffjfiS5_IjLj3EEiiiiiiiiiiiliiliiiiil.private_seg_size, 0
	.set _ZL15flash_attn_tileILi128ELi128ELi4ELi8ELb0EEvPKcS1_S1_S1_S1_PKiPfP15HIP_vector_typeIfLj2EEffffjfiS5_IjLj3EEiiiiiiiiiiiliiliiiiil.uses_vcc, 1
	.set _ZL15flash_attn_tileILi128ELi128ELi4ELi8ELb0EEvPKcS1_S1_S1_S1_PKiPfP15HIP_vector_typeIfLj2EEffffjfiS5_IjLj3EEiiiiiiiiiiiliiliiiiil.uses_flat_scratch, 0
	.set _ZL15flash_attn_tileILi128ELi128ELi4ELi8ELb0EEvPKcS1_S1_S1_S1_PKiPfP15HIP_vector_typeIfLj2EEffffjfiS5_IjLj3EEiiiiiiiiiiiliiliiiiil.has_dyn_sized_stack, 0
	.set _ZL15flash_attn_tileILi128ELi128ELi4ELi8ELb0EEvPKcS1_S1_S1_S1_PKiPfP15HIP_vector_typeIfLj2EEffffjfiS5_IjLj3EEiiiiiiiiiiiliiliiiiil.has_recursion, 0
	.set _ZL15flash_attn_tileILi128ELi128ELi4ELi8ELb0EEvPKcS1_S1_S1_S1_PKiPfP15HIP_vector_typeIfLj2EEffffjfiS5_IjLj3EEiiiiiiiiiiiliiliiiiil.has_indirect_call, 0
	.section	.AMDGPU.csdata,"",@progbits
; Kernel info:
; codeLenInByte = 27888
; TotalNumSgprs: 49
; NumVgprs: 164
; ScratchSize: 0
; MemoryBound: 0
; FloatMode: 240
; IeeeMode: 1
; LDSByteSize: 34816 bytes/workgroup (compile time only)
; SGPRBlocks: 0
; VGPRBlocks: 10
; NumSGPRsForWavesPerEU: 49
; NumVGPRsForWavesPerEU: 164
; NamedBarCnt: 0
; Occupancy: 5
; WaveLimiterHint : 1
; COMPUTE_PGM_RSRC2:SCRATCH_EN: 0
; COMPUTE_PGM_RSRC2:USER_SGPR: 2
; COMPUTE_PGM_RSRC2:TRAP_HANDLER: 0
; COMPUTE_PGM_RSRC2:TGID_X_EN: 1
; COMPUTE_PGM_RSRC2:TGID_Y_EN: 1
; COMPUTE_PGM_RSRC2:TGID_Z_EN: 1
; COMPUTE_PGM_RSRC2:TIDIG_COMP_CNT: 1
	.section	.text._ZL25flash_attn_mask_to_KV_maxILi4EEvPK7__half2Piiii,"axG",@progbits,_ZL25flash_attn_mask_to_KV_maxILi4EEvPK7__half2Piiii,comdat
	.globl	_ZL25flash_attn_mask_to_KV_maxILi4EEvPK7__half2Piiii ; -- Begin function _ZL25flash_attn_mask_to_KV_maxILi4EEvPK7__half2Piiii
	.p2align	8
	.type	_ZL25flash_attn_mask_to_KV_maxILi4EEvPK7__half2Piiii,@function
_ZL25flash_attn_mask_to_KV_maxILi4EEvPK7__half2Piiii: ; @_ZL25flash_attn_mask_to_KV_maxILi4EEvPK7__half2Piiii
; %bb.0:
	s_load_b128 s[4:7], s[0:1], 0x0
	s_mov_b32 s2, exec_lo
	v_cmpx_gt_u32_e32 32, v0
; %bb.1:
	v_dual_mov_b32 v2, 1 :: v_dual_lshlrev_b32 v1, 2, v0
	ds_store_b32 v1, v2
; %bb.2:
	s_or_b32 exec_lo, exec_lo, s2
	s_clause 0x1
	s_load_b96 s[8:10], s[0:1], 0x10
	s_load_b32 s11, s[0:1], 0x20
	s_wait_xcnt 0x0
	s_bfe_u32 s1, ttmp6, 0x4000c
	s_bfe_u32 s2, ttmp6, 0x40010
	s_add_co_i32 s1, s1, 1
	s_add_co_i32 s2, s2, 1
	s_and_b32 s0, ttmp6, 15
	s_bfe_u32 s3, ttmp6, 0x40004
	s_mul_i32 s1, ttmp9, s1
	s_mul_i32 s2, ttmp7, s2
	s_getreg_b32 s12, hwreg(HW_REG_IB_STS2, 6, 4)
	s_add_co_i32 s0, s0, s1
	s_add_co_i32 s3, s3, s2
	s_cmp_eq_u32 s12, 0
	v_dual_lshrrev_b32 v1, 3, v0 :: v_dual_bitop2_b32 v2, 31, v0 bitop3:0x40
	s_cselect_b32 s1, ttmp9, s0
	s_cselect_b32 s12, ttmp7, s3
	s_wait_dscnt 0x0
	s_barrier_signal -1
	s_wait_kmcnt 0x0
	s_mul_i32 s0, s1, s9
	s_mul_i32 s2, s10, s12
	s_lshl_b32 s0, s0, 2
	s_barrier_wait -1
	s_add_co_i32 s2, s2, s0
	v_cmp_eq_u32_e64 s0, 0, v2
	s_ashr_i32 s3, s2, 31
	v_lshlrev_b32_e32 v2, 2, v2
	s_lshl_b64 s[2:3], s[2:3], 2
	s_delay_alu instid0(SALU_CYCLE_1)
	s_add_nc_u64 s[2:3], s[4:5], s[2:3]
	s_lshl_b32 s5, s8, 8
	s_branch .LBB6_4
.LBB6_3:                                ;   in Loop: Header=BB6_4 Depth=1
	s_or_b32 exec_lo, exec_lo, s8
	s_wait_dscnt 0x0
	s_barrier_signal -1
	s_barrier_wait -1
	ds_load_b32 v3, v2
	s_wait_dscnt 0x0
	s_barrier_signal -1
	s_barrier_wait -1
	v_cmp_ne_u32_e32 vcc_lo, 0, v3
	s_cmp_lg_u32 vcc_lo, exec_lo
	s_cselect_b32 s8, -1, 0
	s_delay_alu instid0(SALU_CYCLE_1)
	s_and_b32 vcc_lo, exec_lo, s8
	s_cbranch_vccnz .LBB6_20
.LBB6_4:                                ; =>This Inner Loop Header: Depth=1
	s_mov_b32 s4, s5
	s_addk_co_i32 s5, 0xff00
	s_delay_alu instid0(SALU_CYCLE_1)
	s_cmp_lt_i32 s5, 0
	s_cbranch_scc1 .LBB6_19
; %bb.5:                                ;   in Loop: Header=BB6_4 Depth=1
	s_lshr_b32 s8, s5, 1
	s_delay_alu instid0(SALU_CYCLE_1) | instskip(SKIP_4) | instid1(VALU_DEP_2)
	v_add_nc_u32_e32 v3, s8, v0
	global_load_b32 v4, v3, s[2:3] scale_offset
	s_wait_loadcnt 0x0
	v_lshrrev_b32_e32 v5, 16, v4
	v_cmp_class_f16_e64 s8, v4, 0x204
	v_cmp_class_f16_e64 s10, v5, 0x204
	s_and_b32 s13, s8, s10
	s_mov_b32 s10, 0
	s_and_saveexec_b32 s8, s13
	s_cbranch_execz .LBB6_17
; %bb.6:                                ;   in Loop: Header=BB6_4 Depth=1
	v_add_nc_u32_e32 v3, s9, v3
	s_mov_b32 s13, 0
	global_load_b32 v4, v3, s[2:3] scale_offset
	s_wait_loadcnt 0x0
	v_cmp_class_f16_e64 s14, v4, 0x204
	s_and_saveexec_b32 s10, s14
	s_cbranch_execz .LBB6_16
; %bb.7:                                ;   in Loop: Header=BB6_4 Depth=1
	v_lshrrev_b32_e32 v4, 16, v4
	s_mov_b32 s14, 0
	s_delay_alu instid0(VALU_DEP_1)
	v_cmp_class_f16_e64 s15, v4, 0x204
	s_and_saveexec_b32 s13, s15
	s_cbranch_execz .LBB6_15
; %bb.8:                                ;   in Loop: Header=BB6_4 Depth=1
	v_add_nc_u32_e32 v3, s9, v3
	s_mov_b32 s15, 0
	global_load_b32 v4, v3, s[2:3] scale_offset
	s_wait_loadcnt 0x0
	v_cmp_class_f16_e64 s16, v4, 0x204
	s_and_saveexec_b32 s14, s16
	s_cbranch_execz .LBB6_14
; %bb.9:                                ;   in Loop: Header=BB6_4 Depth=1
	v_lshrrev_b32_e32 v4, 16, v4
	s_mov_b32 s16, 0
	s_delay_alu instid0(VALU_DEP_1)
	v_cmp_class_f16_e64 s17, v4, 0x204
	s_and_saveexec_b32 s15, s17
	s_cbranch_execz .LBB6_13
; %bb.10:                               ;   in Loop: Header=BB6_4 Depth=1
	v_add_nc_u32_e32 v3, s9, v3
	global_load_b32 v3, v3, s[2:3] scale_offset
	s_wait_loadcnt 0x0
	v_cmp_class_f16_e64 s18, v3, 0x204
	s_and_saveexec_b32 s17, s18
; %bb.11:                               ;   in Loop: Header=BB6_4 Depth=1
	v_lshrrev_b32_e32 v3, 16, v3
	s_delay_alu instid0(VALU_DEP_1)
	v_cmp_class_f16_e64 s16, v3, 0x204
	s_and_b32 s16, s16, exec_lo
; %bb.12:                               ;   in Loop: Header=BB6_4 Depth=1
	s_or_b32 exec_lo, exec_lo, s17
	s_delay_alu instid0(SALU_CYCLE_1)
	s_and_b32 s16, s16, exec_lo
.LBB6_13:                               ;   in Loop: Header=BB6_4 Depth=1
	s_or_b32 exec_lo, exec_lo, s15
	s_delay_alu instid0(SALU_CYCLE_1)
	s_and_b32 s15, s16, exec_lo
.LBB6_14:                               ;   in Loop: Header=BB6_4 Depth=1
	s_or_b32 exec_lo, exec_lo, s14
	s_delay_alu instid0(SALU_CYCLE_1)
	s_and_b32 s14, s15, exec_lo
.LBB6_15:                               ;   in Loop: Header=BB6_4 Depth=1
	s_or_b32 exec_lo, exec_lo, s13
	s_delay_alu instid0(SALU_CYCLE_1)
	s_and_b32 s13, s14, exec_lo
.LBB6_16:                               ;   in Loop: Header=BB6_4 Depth=1
	s_or_b32 exec_lo, exec_lo, s10
	s_delay_alu instid0(SALU_CYCLE_1)
	s_and_b32 s10, s13, exec_lo
.LBB6_17:                               ;   in Loop: Header=BB6_4 Depth=1
	s_or_b32 exec_lo, exec_lo, s8
	v_cndmask_b32_e64 v3, 0, 1, s10
	s_mov_b32 s13, exec_lo
	s_delay_alu instid0(VALU_DEP_1)
	v_cmp_ne_u32_e32 vcc_lo, 0, v3
	s_and_saveexec_b32 s8, s0
	s_cbranch_execz .LBB6_3
; %bb.18:                               ;   in Loop: Header=BB6_4 Depth=1
	s_cmp_eq_u32 vcc_lo, s13
	s_cselect_b32 s10, -1, 0
	s_delay_alu instid0(SALU_CYCLE_1)
	v_cndmask_b32_e64 v3, 0, 1, s10
	ds_store_b32 v1, v3
	s_branch .LBB6_3
.LBB6_19:                               ;   in Loop: Header=BB6_4 Depth=1
	s_cbranch_execz .LBB6_4
.LBB6_20:
	s_mov_b32 s0, exec_lo
	v_cmpx_eq_u32_e32 0, v0
	s_cbranch_execz .LBB6_22
; %bb.21:
	s_mul_i32 s0, s11, s12
	v_mov_b32_e32 v1, s4
	s_add_co_i32 s0, s0, s1
	s_delay_alu instid0(SALU_CYCLE_1)
	v_mov_b32_e32 v0, s0
	global_store_b32 v0, v1, s[6:7] scale_offset
.LBB6_22:
	s_endpgm
	.section	.rodata,"a",@progbits
	.p2align	6, 0x0
	.amdhsa_kernel _ZL25flash_attn_mask_to_KV_maxILi4EEvPK7__half2Piiii
		.amdhsa_group_segment_fixed_size 128
		.amdhsa_private_segment_fixed_size 0
		.amdhsa_kernarg_size 288
		.amdhsa_user_sgpr_count 2
		.amdhsa_user_sgpr_dispatch_ptr 0
		.amdhsa_user_sgpr_queue_ptr 0
		.amdhsa_user_sgpr_kernarg_segment_ptr 1
		.amdhsa_user_sgpr_dispatch_id 0
		.amdhsa_user_sgpr_kernarg_preload_length 0
		.amdhsa_user_sgpr_kernarg_preload_offset 0
		.amdhsa_user_sgpr_private_segment_size 0
		.amdhsa_wavefront_size32 1
		.amdhsa_uses_dynamic_stack 0
		.amdhsa_enable_private_segment 0
		.amdhsa_system_sgpr_workgroup_id_x 1
		.amdhsa_system_sgpr_workgroup_id_y 1
		.amdhsa_system_sgpr_workgroup_id_z 0
		.amdhsa_system_sgpr_workgroup_info 0
		.amdhsa_system_vgpr_workitem_id 0
		.amdhsa_next_free_vgpr 6
		.amdhsa_next_free_sgpr 19
		.amdhsa_named_barrier_count 0
		.amdhsa_reserve_vcc 1
		.amdhsa_float_round_mode_32 0
		.amdhsa_float_round_mode_16_64 0
		.amdhsa_float_denorm_mode_32 3
		.amdhsa_float_denorm_mode_16_64 3
		.amdhsa_fp16_overflow 0
		.amdhsa_memory_ordered 1
		.amdhsa_forward_progress 1
		.amdhsa_inst_pref_size 6
		.amdhsa_round_robin_scheduling 0
		.amdhsa_exception_fp_ieee_invalid_op 0
		.amdhsa_exception_fp_denorm_src 0
		.amdhsa_exception_fp_ieee_div_zero 0
		.amdhsa_exception_fp_ieee_overflow 0
		.amdhsa_exception_fp_ieee_underflow 0
		.amdhsa_exception_fp_ieee_inexact 0
		.amdhsa_exception_int_div_zero 0
	.end_amdhsa_kernel
	.section	.text._ZL25flash_attn_mask_to_KV_maxILi4EEvPK7__half2Piiii,"axG",@progbits,_ZL25flash_attn_mask_to_KV_maxILi4EEvPK7__half2Piiii,comdat
.Lfunc_end6:
	.size	_ZL25flash_attn_mask_to_KV_maxILi4EEvPK7__half2Piiii, .Lfunc_end6-_ZL25flash_attn_mask_to_KV_maxILi4EEvPK7__half2Piiii
                                        ; -- End function
	.set _ZL25flash_attn_mask_to_KV_maxILi4EEvPK7__half2Piiii.num_vgpr, 6
	.set _ZL25flash_attn_mask_to_KV_maxILi4EEvPK7__half2Piiii.num_agpr, 0
	.set _ZL25flash_attn_mask_to_KV_maxILi4EEvPK7__half2Piiii.numbered_sgpr, 19
	.set _ZL25flash_attn_mask_to_KV_maxILi4EEvPK7__half2Piiii.num_named_barrier, 0
	.set _ZL25flash_attn_mask_to_KV_maxILi4EEvPK7__half2Piiii.private_seg_size, 0
	.set _ZL25flash_attn_mask_to_KV_maxILi4EEvPK7__half2Piiii.uses_vcc, 1
	.set _ZL25flash_attn_mask_to_KV_maxILi4EEvPK7__half2Piiii.uses_flat_scratch, 0
	.set _ZL25flash_attn_mask_to_KV_maxILi4EEvPK7__half2Piiii.has_dyn_sized_stack, 0
	.set _ZL25flash_attn_mask_to_KV_maxILi4EEvPK7__half2Piiii.has_recursion, 0
	.set _ZL25flash_attn_mask_to_KV_maxILi4EEvPK7__half2Piiii.has_indirect_call, 0
	.section	.AMDGPU.csdata,"",@progbits
; Kernel info:
; codeLenInByte = 748
; TotalNumSgprs: 21
; NumVgprs: 6
; ScratchSize: 0
; MemoryBound: 0
; FloatMode: 240
; IeeeMode: 1
; LDSByteSize: 128 bytes/workgroup (compile time only)
; SGPRBlocks: 0
; VGPRBlocks: 0
; NumSGPRsForWavesPerEU: 21
; NumVGPRsForWavesPerEU: 6
; NamedBarCnt: 0
; Occupancy: 16
; WaveLimiterHint : 0
; COMPUTE_PGM_RSRC2:SCRATCH_EN: 0
; COMPUTE_PGM_RSRC2:USER_SGPR: 2
; COMPUTE_PGM_RSRC2:TRAP_HANDLER: 0
; COMPUTE_PGM_RSRC2:TGID_X_EN: 1
; COMPUTE_PGM_RSRC2:TGID_Y_EN: 1
; COMPUTE_PGM_RSRC2:TGID_Z_EN: 0
; COMPUTE_PGM_RSRC2:TIDIG_COMP_CNT: 0
	.section	.text._ZL33flash_attn_stream_k_fixup_uniformILi128ELi4ELi8EEvPfPK15HIP_vector_typeIfLj2EEiiiiiiS1_IjLj3EES5_S5_,"axG",@progbits,_ZL33flash_attn_stream_k_fixup_uniformILi128ELi4ELi8EEvPfPK15HIP_vector_typeIfLj2EEiiiiiiS1_IjLj3EES5_S5_,comdat
	.globl	_ZL33flash_attn_stream_k_fixup_uniformILi128ELi4ELi8EEvPfPK15HIP_vector_typeIfLj2EEiiiiiiS1_IjLj3EES5_S5_ ; -- Begin function _ZL33flash_attn_stream_k_fixup_uniformILi128ELi4ELi8EEvPfPK15HIP_vector_typeIfLj2EEiiiiiiS1_IjLj3EES5_S5_
	.p2align	8
	.type	_ZL33flash_attn_stream_k_fixup_uniformILi128ELi4ELi8EEvPfPK15HIP_vector_typeIfLj2EEiiiiiiS1_IjLj3EES5_S5_,@function
_ZL33flash_attn_stream_k_fixup_uniformILi128ELi4ELi8EEvPfPK15HIP_vector_typeIfLj2EEiiiiiiS1_IjLj3EES5_S5_: ; @_ZL33flash_attn_stream_k_fixup_uniformILi128ELi4ELi8EEvPfPK15HIP_vector_typeIfLj2EEiiiiiiS1_IjLj3EES5_S5_
; %bb.0:
	s_load_b256 s[4:11], s[0:1], 0x1c
	s_bfe_u32 s2, ttmp6, 0x40014
	s_lshr_b32 s3, ttmp7, 16
	s_add_co_i32 s2, s2, 1
	s_bfe_u32 s13, ttmp6, 0x40010
	s_mul_i32 s2, s3, s2
	s_bfe_u32 s12, ttmp6, 0x40008
	s_and_b32 s15, ttmp7, 0xffff
	s_add_co_i32 s13, s13, 1
	s_bfe_u32 s14, ttmp6, 0x4000c
	s_add_co_i32 s12, s12, s2
	s_mul_i32 s2, s15, s13
	s_bfe_u32 s13, ttmp6, 0x40004
	s_add_co_i32 s14, s14, 1
	s_add_co_i32 s13, s13, s2
	s_and_b32 s2, ttmp6, 15
	s_mul_i32 s14, ttmp9, s14
	s_getreg_b32 s20, hwreg(HW_REG_IB_STS2, 6, 4)
	s_add_co_i32 s2, s2, s14
	s_load_b128 s[16:19], s[0:1], 0x3c
	s_cmp_eq_u32 s20, 0
	s_cselect_b32 s14, ttmp9, s2
	s_cselect_b32 s13, s15, s13
	s_wait_kmcnt 0x0
	s_mul_hi_u32 s2, s7, s14
	s_cselect_b32 s12, s3, s12
	s_add_co_i32 s2, s14, s2
	s_delay_alu instid0(SALU_CYCLE_1) | instskip(NEXT) | instid1(SALU_CYCLE_1)
	s_lshr_b32 s7, s2, s8
	s_mul_i32 s2, s7, s9
	s_delay_alu instid0(SALU_CYCLE_1) | instskip(NEXT) | instid1(SALU_CYCLE_1)
	s_sub_co_i32 s8, s14, s2
	s_mul_hi_u32 s2, s8, s10
	s_delay_alu instid0(SALU_CYCLE_1) | instskip(SKIP_2) | instid1(SALU_CYCLE_1)
	s_add_co_i32 s9, s8, s2
	s_load_b64 s[2:3], s[0:1], 0x10
	s_lshr_b32 s15, s9, s11
	s_mul_i32 s9, s15, s16
	s_delay_alu instid0(SALU_CYCLE_1) | instskip(NEXT) | instid1(SALU_CYCLE_1)
	s_sub_co_i32 s8, s8, s9
	s_mul_hi_u32 s9, s8, s17
	s_delay_alu instid0(SALU_CYCLE_1) | instskip(NEXT) | instid1(SALU_CYCLE_1)
	s_add_co_i32 s9, s8, s9
	s_lshr_b32 s9, s9, s18
	s_delay_alu instid0(SALU_CYCLE_1) | instskip(SKIP_2) | instid1(SALU_CYCLE_1)
	s_mul_i32 s10, s9, s19
	s_lshl_b32 s17, s9, 3
	s_sub_co_i32 s16, s8, s10
	s_lshl_b32 s8, s16, 2
	s_delay_alu instid0(SALU_CYCLE_1) | instskip(SKIP_4) | instid1(SALU_CYCLE_1)
	s_add_co_i32 s8, s8, s13
	s_wait_kmcnt 0x0
	s_cmp_lt_i32 s8, s2
	s_cselect_b32 s8, -1, 0
	s_add_co_i32 s9, s17, s12
	s_cmp_lt_i32 s9, s5
	s_cselect_b32 s9, -1, 0
	s_delay_alu instid0(SALU_CYCLE_1) | instskip(NEXT) | instid1(SALU_CYCLE_1)
	s_and_b32 s8, s8, s9
	s_and_not1_b32 vcc_lo, exec_lo, s8
	s_cbranch_vccnz .LBB7_6
; %bb.1:
	s_mul_i32 s2, s7, s2
	s_load_b128 s[8:11], s[0:1], 0x0
	s_wait_xcnt 0x0
	s_add_co_i32 s0, s2, s13
	s_mul_i32 s15, s15, s5
	s_mul_i32 s0, s0, s3
	;; [unrolled: 1-line block ×3, first 2 shown]
	s_add_co_i32 s0, s0, s12
	s_lshl_b32 s1, s1, 9
	s_add_co_i32 s0, s0, s15
	s_mul_i32 s7, s6, s14
	s_add_co_i32 s0, s0, s17
	s_lshl_b32 s5, s13, 3
	s_lshl_b32 s0, s0, 7
	s_add_co_i32 s15, s7, s6
	s_add_co_i32 s1, s1, s0
	;; [unrolled: 1-line block ×3, first 2 shown]
	v_or_b32_e32 v4, s1, v0
	s_lshl_b32 s1, s15, 5
	s_add_co_i32 s2, s15, -2
	s_add_co_i32 s0, s0, s1
	s_delay_alu instid0(SALU_CYCLE_1)
	s_sub_co_i32 s0, s0, 32
	s_wait_kmcnt 0x0
	global_load_b32 v3, v4, s[8:9] scale_offset
	s_ashr_i32 s1, s0, 31
	v_ashrrev_i32_e32 v5, 31, v4
	s_lshl_b64 s[0:1], s[0:1], 3
	s_cmp_lt_i32 s2, s7
	s_add_nc_u64 s[0:1], s[10:11], s[0:1]
	s_load_b32 s16, s[0:1], 0x4
	s_cbranch_scc1 .LBB7_4
; %bb.2:
	s_wait_xcnt 0x0
	s_load_b32 s0, s[0:1], 0x0
	s_add_co_i32 s14, s14, 1
	s_lshl_b32 s3, s13, 10
	s_wait_xcnt 0x0
	s_mul_i32 s1, s6, s14
	s_lshl_b32 s6, s12, 7
	s_lshl_b32 s13, s1, 12
	s_add_co_i32 s6, s6, s3
	s_lshl_b32 s1, s1, 5
	s_add_co_i32 s6, s6, s13
	s_lshl_b32 s2, s4, 7
	s_wait_kmcnt 0x0
	v_dual_mov_b32 v2, s16 :: v_dual_bitop2_b32 v0, s6, v0 bitop3:0x54
	s_add_co_i32 s1, s12, s1
	s_lshl_b32 s4, s4, 5
	s_ashr_i32 s3, s2, 31
	s_add_co_i32 s1, s1, s4
	v_add_nc_u32_e32 v0, 0xffffe000, v0
	s_lshl_b64 s[2:3], s[2:3], 2
	s_add_co_i32 s4, s1, s5
	s_add_nc_u64 s[2:3], s[10:11], s[2:3]
	s_add_co_i32 s1, s15, -1
	s_sub_co_i32 s4, s4, 64
.LBB7_3:                                ; =>This Inner Loop Header: Depth=1
	global_load_b32 v7, v0, s[2:3] scale_offset
	s_ashr_i32 s5, s4, 31
	v_max_num_f32_e64 v1, s0, s0
	s_lshl_b64 s[12:13], s[4:5], 3
	s_delay_alu instid0(SALU_CYCLE_1) | instskip(SKIP_1) | instid1(VALU_DEP_1)
	s_add_nc_u64 s[12:13], s[10:11], s[12:13]
	s_load_b64 s[12:13], s[12:13], 0x0
	v_readfirstlane_b32 s5, v1
	v_add_nc_u32_e32 v0, 0xfffff000, v0
	s_wait_kmcnt 0x0
	v_max_num_f32_e64 v1, s12, s12
	s_delay_alu instid0(VALU_DEP_1) | instskip(SKIP_1) | instid1(SALU_CYCLE_3)
	v_readfirstlane_b32 s6, v1
	s_max_num_f32 s5, s5, s6
	s_sub_f32 s0, s0, s5
	s_sub_f32 s6, s12, s5
	s_delay_alu instid0(SALU_CYCLE_2) | instskip(NEXT) | instid1(SALU_CYCLE_2)
	s_mul_f32 s12, s0, 0x3fb8aa3b
	s_mul_f32 s14, s6, 0x3fb8aa3b
	s_delay_alu instid0(SALU_CYCLE_2)
	s_xor_b32 s15, s12, 0x80000000
	s_rndne_f32 s16, s12
	s_fmamk_f32 s15, s0, 0x3fb8aa3b, s15
	s_cmp_nlt_f32 s0, 0xc2ce8ed0
	s_rndne_f32 s17, s14
	s_sub_f32 s12, s12, s16
	s_fmamk_f32 s15, s0, 0x32a5705f, s15
	s_cselect_b32 vcc_lo, -1, 0
	s_cmp_ngt_f32 s0, 0x42b17218
	s_delay_alu instid0(SALU_CYCLE_1) | instskip(SKIP_2) | instid1(SALU_CYCLE_1)
	s_add_f32 s12, s12, s15
	s_cvt_i32_f32 s15, s16
	s_sub_f32 s16, s14, s17
	v_s_exp_f32 s12, s12
	v_nop
	s_delay_alu instid0(TRANS32_DEP_1) | instskip(SKIP_1) | instid1(VALU_DEP_1)
	v_ldexp_f32 v1, s12, s15
	s_cvt_i32_f32 s12, s17
	v_cndmask_b32_e32 v1, 0, v1, vcc_lo
	s_cselect_b32 vcc_lo, -1, 0
	s_cmp_ge_f32 s0, 0xc1a00000
	s_delay_alu instid0(VALU_DEP_1)
	v_cndmask_b32_e32 v1, 0x7f800000, v1, vcc_lo
	s_cselect_b32 vcc_lo, -1, 0
	s_xor_b32 s0, s14, 0x80000000
	s_cmp_nlt_f32 s6, 0xc2ce8ed0
	s_fmamk_f32 s0, s6, 0x3fb8aa3b, s0
	v_cndmask_b32_e32 v10, 0, v1, vcc_lo
	s_delay_alu instid0(SALU_CYCLE_2) | instskip(NEXT) | instid1(SALU_CYCLE_3)
	s_fmamk_f32 s0, s6, 0x32a5705f, s0
	s_add_f32 s0, s16, s0
	s_delay_alu instid0(SALU_CYCLE_3) | instskip(SKIP_1) | instid1(TRANS32_DEP_1)
	v_s_exp_f32 s0, s0
	v_nop
	v_ldexp_f32 v6, s0, s12
	s_cselect_b32 s0, -1, 0
	s_cmp_ngt_f32 s6, 0x42b17218
	s_delay_alu instid0(VALU_DEP_1) | instskip(SKIP_2) | instid1(VALU_DEP_1)
	v_cndmask_b32_e64 v6, 0, v6, s0
	s_cselect_b32 s0, -1, 0
	s_cmp_ge_f32 s6, 0xc1a00000
	v_cndmask_b32_e64 v8, 0x7f800000, v6, s0
	s_cselect_b32 s0, -1, 0
	v_mov_b32_e32 v6, s13
	s_add_co_i32 s1, s1, -1
	s_sub_co_i32 s4, s4, 32
	v_cndmask_b32_e64 v8, 0, v8, s0
	s_cmp_le_i32 s1, s7
	s_mov_b32 s0, s5
	s_wait_loadcnt 0x0
	s_delay_alu instid0(VALU_DEP_1) | instskip(NEXT) | instid1(VALU_DEP_1)
	v_pk_mul_f32 v[6:7], v[6:7], v[8:9] op_sel_hi:[1,0]
	v_pk_fma_f32 v[2:3], v[2:3], v[10:11], v[6:7] op_sel_hi:[1,0,1]
	s_cbranch_scc0 .LBB7_3
	s_branch .LBB7_5
.LBB7_4:
	s_wait_kmcnt 0x0
	v_mov_b32_e32 v2, s16
.LBB7_5:
	v_lshl_add_u64 v[0:1], v[4:5], 2, s[8:9]
	s_wait_loadcnt 0x0
	s_delay_alu instid0(VALU_DEP_2) | instskip(NEXT) | instid1(VALU_DEP_1)
	v_div_scale_f32 v4, null, v2, v2, v3
	v_rcp_f32_e32 v5, v4
	v_nop
	s_delay_alu instid0(TRANS32_DEP_1) | instskip(NEXT) | instid1(VALU_DEP_1)
	v_fma_f32 v6, -v4, v5, 1.0
	v_fmac_f32_e32 v5, v6, v5
	v_div_scale_f32 v6, vcc_lo, v3, v2, v3
	s_delay_alu instid0(VALU_DEP_1) | instskip(NEXT) | instid1(VALU_DEP_1)
	v_mul_f32_e32 v7, v6, v5
	v_fma_f32 v8, -v4, v7, v6
	s_delay_alu instid0(VALU_DEP_1) | instskip(NEXT) | instid1(VALU_DEP_1)
	v_fmac_f32_e32 v7, v8, v5
	v_fma_f32 v4, -v4, v7, v6
	s_delay_alu instid0(VALU_DEP_1) | instskip(NEXT) | instid1(VALU_DEP_1)
	v_div_fmas_f32 v4, v4, v5, v7
	v_div_fixup_f32 v2, v4, v2, v3
	global_store_b32 v[0:1], v2, off
.LBB7_6:
	s_endpgm
	.section	.rodata,"a",@progbits
	.p2align	6, 0x0
	.amdhsa_kernel _ZL33flash_attn_stream_k_fixup_uniformILi128ELi4ELi8EEvPfPK15HIP_vector_typeIfLj2EEiiiiiiS1_IjLj3EES5_S5_
		.amdhsa_group_segment_fixed_size 0
		.amdhsa_private_segment_fixed_size 0
		.amdhsa_kernarg_size 76
		.amdhsa_user_sgpr_count 2
		.amdhsa_user_sgpr_dispatch_ptr 0
		.amdhsa_user_sgpr_queue_ptr 0
		.amdhsa_user_sgpr_kernarg_segment_ptr 1
		.amdhsa_user_sgpr_dispatch_id 0
		.amdhsa_user_sgpr_kernarg_preload_length 0
		.amdhsa_user_sgpr_kernarg_preload_offset 0
		.amdhsa_user_sgpr_private_segment_size 0
		.amdhsa_wavefront_size32 1
		.amdhsa_uses_dynamic_stack 0
		.amdhsa_enable_private_segment 0
		.amdhsa_system_sgpr_workgroup_id_x 1
		.amdhsa_system_sgpr_workgroup_id_y 1
		.amdhsa_system_sgpr_workgroup_id_z 1
		.amdhsa_system_sgpr_workgroup_info 0
		.amdhsa_system_vgpr_workitem_id 0
		.amdhsa_next_free_vgpr 12
		.amdhsa_next_free_sgpr 21
		.amdhsa_named_barrier_count 0
		.amdhsa_reserve_vcc 1
		.amdhsa_float_round_mode_32 0
		.amdhsa_float_round_mode_16_64 0
		.amdhsa_float_denorm_mode_32 3
		.amdhsa_float_denorm_mode_16_64 3
		.amdhsa_fp16_overflow 0
		.amdhsa_memory_ordered 1
		.amdhsa_forward_progress 1
		.amdhsa_inst_pref_size 9
		.amdhsa_round_robin_scheduling 0
		.amdhsa_exception_fp_ieee_invalid_op 0
		.amdhsa_exception_fp_denorm_src 0
		.amdhsa_exception_fp_ieee_div_zero 0
		.amdhsa_exception_fp_ieee_overflow 0
		.amdhsa_exception_fp_ieee_underflow 0
		.amdhsa_exception_fp_ieee_inexact 0
		.amdhsa_exception_int_div_zero 0
	.end_amdhsa_kernel
	.section	.text._ZL33flash_attn_stream_k_fixup_uniformILi128ELi4ELi8EEvPfPK15HIP_vector_typeIfLj2EEiiiiiiS1_IjLj3EES5_S5_,"axG",@progbits,_ZL33flash_attn_stream_k_fixup_uniformILi128ELi4ELi8EEvPfPK15HIP_vector_typeIfLj2EEiiiiiiS1_IjLj3EES5_S5_,comdat
.Lfunc_end7:
	.size	_ZL33flash_attn_stream_k_fixup_uniformILi128ELi4ELi8EEvPfPK15HIP_vector_typeIfLj2EEiiiiiiS1_IjLj3EES5_S5_, .Lfunc_end7-_ZL33flash_attn_stream_k_fixup_uniformILi128ELi4ELi8EEvPfPK15HIP_vector_typeIfLj2EEiiiiiiS1_IjLj3EES5_S5_
                                        ; -- End function
	.set _ZL33flash_attn_stream_k_fixup_uniformILi128ELi4ELi8EEvPfPK15HIP_vector_typeIfLj2EEiiiiiiS1_IjLj3EES5_S5_.num_vgpr, 12
	.set _ZL33flash_attn_stream_k_fixup_uniformILi128ELi4ELi8EEvPfPK15HIP_vector_typeIfLj2EEiiiiiiS1_IjLj3EES5_S5_.num_agpr, 0
	.set _ZL33flash_attn_stream_k_fixup_uniformILi128ELi4ELi8EEvPfPK15HIP_vector_typeIfLj2EEiiiiiiS1_IjLj3EES5_S5_.numbered_sgpr, 21
	.set _ZL33flash_attn_stream_k_fixup_uniformILi128ELi4ELi8EEvPfPK15HIP_vector_typeIfLj2EEiiiiiiS1_IjLj3EES5_S5_.num_named_barrier, 0
	.set _ZL33flash_attn_stream_k_fixup_uniformILi128ELi4ELi8EEvPfPK15HIP_vector_typeIfLj2EEiiiiiiS1_IjLj3EES5_S5_.private_seg_size, 0
	.set _ZL33flash_attn_stream_k_fixup_uniformILi128ELi4ELi8EEvPfPK15HIP_vector_typeIfLj2EEiiiiiiS1_IjLj3EES5_S5_.uses_vcc, 1
	.set _ZL33flash_attn_stream_k_fixup_uniformILi128ELi4ELi8EEvPfPK15HIP_vector_typeIfLj2EEiiiiiiS1_IjLj3EES5_S5_.uses_flat_scratch, 0
	.set _ZL33flash_attn_stream_k_fixup_uniformILi128ELi4ELi8EEvPfPK15HIP_vector_typeIfLj2EEiiiiiiS1_IjLj3EES5_S5_.has_dyn_sized_stack, 0
	.set _ZL33flash_attn_stream_k_fixup_uniformILi128ELi4ELi8EEvPfPK15HIP_vector_typeIfLj2EEiiiiiiS1_IjLj3EES5_S5_.has_recursion, 0
	.set _ZL33flash_attn_stream_k_fixup_uniformILi128ELi4ELi8EEvPfPK15HIP_vector_typeIfLj2EEiiiiiiS1_IjLj3EES5_S5_.has_indirect_call, 0
	.section	.AMDGPU.csdata,"",@progbits
; Kernel info:
; codeLenInByte = 1092
; TotalNumSgprs: 23
; NumVgprs: 12
; ScratchSize: 0
; MemoryBound: 0
; FloatMode: 240
; IeeeMode: 1
; LDSByteSize: 0 bytes/workgroup (compile time only)
; SGPRBlocks: 0
; VGPRBlocks: 0
; NumSGPRsForWavesPerEU: 23
; NumVGPRsForWavesPerEU: 12
; NamedBarCnt: 0
; Occupancy: 16
; WaveLimiterHint : 0
; COMPUTE_PGM_RSRC2:SCRATCH_EN: 0
; COMPUTE_PGM_RSRC2:USER_SGPR: 2
; COMPUTE_PGM_RSRC2:TRAP_HANDLER: 0
; COMPUTE_PGM_RSRC2:TGID_X_EN: 1
; COMPUTE_PGM_RSRC2:TGID_Y_EN: 1
; COMPUTE_PGM_RSRC2:TGID_Z_EN: 1
; COMPUTE_PGM_RSRC2:TIDIG_COMP_CNT: 0
	.section	.text._ZL33flash_attn_stream_k_fixup_generalILi128ELi4ELi8EEvPfPK15HIP_vector_typeIfLj2EEiiiiS1_IjLj3EES5_S5_S5_,"axG",@progbits,_ZL33flash_attn_stream_k_fixup_generalILi128ELi4ELi8EEvPfPK15HIP_vector_typeIfLj2EEiiiiS1_IjLj3EES5_S5_S5_,comdat
	.globl	_ZL33flash_attn_stream_k_fixup_generalILi128ELi4ELi8EEvPfPK15HIP_vector_typeIfLj2EEiiiiS1_IjLj3EES5_S5_S5_ ; -- Begin function _ZL33flash_attn_stream_k_fixup_generalILi128ELi4ELi8EEvPfPK15HIP_vector_typeIfLj2EEiiiiS1_IjLj3EES5_S5_S5_
	.p2align	8
	.type	_ZL33flash_attn_stream_k_fixup_generalILi128ELi4ELi8EEvPfPK15HIP_vector_typeIfLj2EEiiiiS1_IjLj3EES5_S5_S5_,@function
_ZL33flash_attn_stream_k_fixup_generalILi128ELi4ELi8EEvPfPK15HIP_vector_typeIfLj2EEiiiiS1_IjLj3EES5_S5_S5_: ; @_ZL33flash_attn_stream_k_fixup_generalILi128ELi4ELi8EEvPfPK15HIP_vector_typeIfLj2EEiiiiS1_IjLj3EES5_S5_S5_
; %bb.0:
	s_clause 0x1
	s_load_b128 s[4:7], s[0:1], 0x10
	s_load_b32 s16, s[0:1], 0x50
	s_bfe_u32 s2, ttmp6, 0x4000c
	s_and_b32 s3, ttmp6, 15
	s_add_co_i32 s2, s2, 1
	s_getreg_b32 s15, hwreg(HW_REG_IB_STS2, 6, 4)
	s_mul_i32 s2, ttmp9, s2
	s_mov_b32 s17, 0
	s_add_co_i32 s3, s3, s2
	s_cmp_eq_u32 s15, 0
	s_cselect_b32 s2, ttmp9, s3
	s_delay_alu instid0(SALU_CYCLE_1) | instskip(SKIP_3) | instid1(SALU_CYCLE_1)
	s_ashr_i32 s3, s2, 31
	s_wait_kmcnt 0x0
	s_ashr_i32 s19, s7, 31
	s_mov_b32 s18, s7
	s_mul_u64 s[8:9], s[18:19], s[2:3]
	s_delay_alu instid0(SALU_CYCLE_1) | instskip(NEXT) | instid1(SALU_CYCLE_1)
	s_and_b64 s[10:11], s[8:9], 0xffffffff00000000
	s_cmp_lg_u64 s[10:11], 0
	s_cbranch_scc0 .LBB8_21
; %bb.1:
	s_add_nc_u64 s[10:11], s[16:17], 0
	s_mov_b32 s23, s17
	s_xor_b64 s[10:11], s[10:11], 0
	s_mov_b32 s27, s17
	s_cvt_f32_u32 s3, s10
	s_cvt_f32_u32 s7, s11
	s_sub_nc_u64 s[20:21], 0, s[10:11]
	s_delay_alu instid0(SALU_CYCLE_2) | instskip(NEXT) | instid1(SALU_CYCLE_3)
	s_fmamk_f32 s3, s7, 0x4f800000, s3
	v_s_rcp_f32 s3, s3
	s_delay_alu instid0(TRANS32_DEP_1) | instskip(NEXT) | instid1(SALU_CYCLE_3)
	s_mul_f32 s3, s3, 0x5f7ffffc
	s_mul_f32 s7, s3, 0x2f800000
	s_delay_alu instid0(SALU_CYCLE_3) | instskip(NEXT) | instid1(SALU_CYCLE_3)
	s_trunc_f32 s7, s7
	s_fmamk_f32 s3, s7, 0xcf800000, s3
	s_cvt_u32_f32 s13, s7
	s_delay_alu instid0(SALU_CYCLE_2) | instskip(NEXT) | instid1(SALU_CYCLE_3)
	s_cvt_u32_f32 s12, s3
	s_mul_u64 s[24:25], s[20:21], s[12:13]
	s_delay_alu instid0(SALU_CYCLE_1)
	s_mul_hi_u32 s29, s12, s25
	s_mul_i32 s28, s12, s25
	s_mul_hi_u32 s22, s12, s24
	s_mul_i32 s7, s13, s24
	s_add_nc_u64 s[22:23], s[22:23], s[28:29]
	s_mul_hi_u32 s3, s13, s24
	s_mul_hi_u32 s14, s13, s25
	s_add_co_u32 s7, s22, s7
	s_add_co_ci_u32 s26, s23, s3
	s_mul_i32 s24, s13, s25
	s_add_co_ci_u32 s25, s14, 0
	s_delay_alu instid0(SALU_CYCLE_1) | instskip(SKIP_3) | instid1(SALU_CYCLE_1)
	s_add_nc_u64 s[22:23], s[26:27], s[24:25]
	s_mov_b32 s25, s17
	s_add_co_u32 s12, s12, s22
	s_cselect_b32 s3, -1, 0
	s_cmp_lg_u32 s3, 0
	s_add_co_ci_u32 s13, s13, s23
	s_mov_b32 s23, s17
	s_mul_u64 s[20:21], s[20:21], s[12:13]
	s_delay_alu instid0(SALU_CYCLE_1)
	s_mul_hi_u32 s27, s12, s21
	s_mul_i32 s26, s12, s21
	s_mul_hi_u32 s22, s12, s20
	s_mul_i32 s7, s13, s20
	s_add_nc_u64 s[22:23], s[22:23], s[26:27]
	s_mul_hi_u32 s3, s13, s20
	s_mul_hi_u32 s14, s13, s21
	s_add_co_u32 s7, s22, s7
	s_add_co_ci_u32 s24, s23, s3
	s_mul_i32 s20, s13, s21
	s_add_co_ci_u32 s21, s14, 0
	s_mov_b32 s23, s17
	s_add_nc_u64 s[20:21], s[24:25], s[20:21]
	s_delay_alu instid0(SALU_CYCLE_1) | instskip(SKIP_1) | instid1(SALU_CYCLE_1)
	s_add_co_u32 s3, s12, s20
	s_cselect_b32 s7, -1, 0
	s_cmp_lg_u32 s7, 0
	s_add_co_ci_u32 s7, s13, s21
	s_ashr_i32 s12, s9, 31
	s_delay_alu instid0(SALU_CYCLE_1) | instskip(NEXT) | instid1(SALU_CYCLE_1)
	s_mov_b32 s13, s12
	s_add_nc_u64 s[20:21], s[8:9], s[12:13]
	s_delay_alu instid0(SALU_CYCLE_1) | instskip(NEXT) | instid1(SALU_CYCLE_1)
	s_xor_b64 s[20:21], s[20:21], s[12:13]
	s_mul_hi_u32 s27, s20, s7
	s_mul_i32 s26, s20, s7
	s_mul_hi_u32 s22, s20, s3
	s_mul_hi_u32 s14, s21, s3
	s_mul_i32 s3, s21, s3
	s_add_nc_u64 s[22:23], s[22:23], s[26:27]
	s_mul_hi_u32 s9, s21, s7
	s_add_co_u32 s3, s22, s3
	s_add_co_ci_u32 s24, s23, s14
	s_mul_i32 s26, s21, s7
	s_add_co_ci_u32 s27, s9, 0
	s_delay_alu instid0(SALU_CYCLE_1) | instskip(NEXT) | instid1(SALU_CYCLE_1)
	s_add_nc_u64 s[22:23], s[24:25], s[26:27]
	s_and_b64 s[24:25], s[22:23], 0xffffffff00000000
	s_delay_alu instid0(SALU_CYCLE_1) | instskip(NEXT) | instid1(SALU_CYCLE_1)
	s_or_b32 s24, s24, s22
	s_mul_u64 s[22:23], s[10:11], s[24:25]
	s_add_nc_u64 s[26:27], s[24:25], 1
	s_sub_co_u32 s3, s20, s22
	s_cselect_b32 s7, -1, 0
	s_sub_co_i32 s9, s21, s23
	s_cmp_lg_u32 s7, 0
	s_add_nc_u64 s[28:29], s[24:25], 2
	s_sub_co_ci_u32 s9, s9, s11
	s_sub_co_u32 s14, s3, s10
	s_cselect_b32 s20, -1, 0
	s_delay_alu instid0(SALU_CYCLE_1) | instskip(SKIP_1) | instid1(SALU_CYCLE_1)
	s_cmp_lg_u32 s20, 0
	s_sub_co_ci_u32 s9, s9, 0
	s_cmp_ge_u32 s9, s11
	s_cselect_b32 s20, -1, 0
	s_cmp_ge_u32 s14, s10
	s_cselect_b32 s14, -1, 0
	s_cmp_eq_u32 s9, s11
	s_cselect_b32 s9, s14, s20
	s_delay_alu instid0(SALU_CYCLE_1) | instskip(SKIP_4) | instid1(SALU_CYCLE_1)
	s_cmp_lg_u32 s9, 0
	s_cselect_b32 s9, s28, s26
	s_cselect_b32 s14, s29, s27
	s_cmp_lg_u32 s7, 0
	s_sub_co_ci_u32 s7, s21, s23
	s_cmp_ge_u32 s7, s11
	s_cselect_b32 s20, -1, 0
	s_cmp_ge_u32 s3, s10
	s_cselect_b32 s3, -1, 0
	s_cmp_eq_u32 s7, s11
	s_cselect_b32 s3, s3, s20
	s_delay_alu instid0(SALU_CYCLE_1) | instskip(SKIP_4) | instid1(SALU_CYCLE_1)
	s_cmp_lg_u32 s3, 0
	s_mov_b32 s3, s17
	s_cselect_b32 s11, s14, s25
	s_cselect_b32 s10, s9, s24
	s_xor_b64 s[12:13], s[12:13], 0
	s_xor_b64 s[10:11], s[10:11], s[12:13]
	s_delay_alu instid0(SALU_CYCLE_1)
	s_sub_nc_u64 s[20:21], s[10:11], s[12:13]
	s_and_not1_b32 vcc_lo, exec_lo, s3
	s_cbranch_vccnz .LBB8_3
.LBB8_2:
	v_cvt_f32_u32_e32 v1, s16
	s_sub_co_i32 s7, 0, s16
	s_mov_b32 s21, 0
	s_delay_alu instid0(VALU_DEP_1) | instskip(SKIP_1) | instid1(TRANS32_DEP_1)
	v_rcp_iflag_f32_e32 v1, v1
	v_nop
	v_mul_f32_e32 v1, 0x4f7ffffe, v1
	s_delay_alu instid0(VALU_DEP_1) | instskip(NEXT) | instid1(VALU_DEP_1)
	v_cvt_u32_f32_e32 v1, v1
	v_readfirstlane_b32 s3, v1
	s_mul_i32 s7, s7, s3
	s_delay_alu instid0(SALU_CYCLE_1) | instskip(NEXT) | instid1(SALU_CYCLE_1)
	s_mul_hi_u32 s7, s3, s7
	s_add_co_i32 s3, s3, s7
	s_delay_alu instid0(SALU_CYCLE_1) | instskip(NEXT) | instid1(SALU_CYCLE_1)
	s_mul_hi_u32 s3, s8, s3
	s_mul_i32 s7, s3, s16
	s_delay_alu instid0(SALU_CYCLE_1)
	s_sub_co_i32 s7, s8, s7
	s_add_co_i32 s8, s3, 1
	s_sub_co_i32 s9, s7, s16
	s_cmp_ge_u32 s7, s16
	s_cselect_b32 s3, s8, s3
	s_cselect_b32 s7, s9, s7
	s_add_co_i32 s8, s3, 1
	s_cmp_ge_u32 s7, s16
	s_cselect_b32 s20, s8, s3
.LBB8_3:
	s_add_co_i32 s8, s2, 1
	s_delay_alu instid0(SALU_CYCLE_1) | instskip(NEXT) | instid1(SALU_CYCLE_1)
	s_ashr_i32 s9, s8, 31
	s_mul_u64 s[8:9], s[18:19], s[8:9]
	s_delay_alu instid0(SALU_CYCLE_1) | instskip(NEXT) | instid1(SALU_CYCLE_1)
	s_and_b64 s[10:11], s[8:9], 0xffffffff00000000
	s_cmp_lg_u64 s[10:11], 0
	s_cbranch_scc0 .LBB8_22
; %bb.4:
	s_add_nc_u64 s[10:11], s[16:17], 0
	s_delay_alu instid0(SALU_CYCLE_1) | instskip(SKIP_4) | instid1(SALU_CYCLE_2)
	s_xor_b64 s[12:13], s[10:11], 0
	s_mov_b32 s11, 0
	s_cvt_f32_u32 s3, s12
	s_cvt_f32_u32 s7, s13
	s_sub_nc_u64 s[24:25], 0, s[12:13]
	s_fmamk_f32 s3, s7, 0x4f800000, s3
	s_delay_alu instid0(SALU_CYCLE_3) | instskip(NEXT) | instid1(TRANS32_DEP_1)
	v_s_rcp_f32 s3, s3
	s_mul_f32 s3, s3, 0x5f7ffffc
	s_delay_alu instid0(SALU_CYCLE_3) | instskip(NEXT) | instid1(SALU_CYCLE_3)
	s_mul_f32 s7, s3, 0x2f800000
	s_trunc_f32 s7, s7
	s_delay_alu instid0(SALU_CYCLE_3) | instskip(SKIP_1) | instid1(SALU_CYCLE_2)
	s_fmamk_f32 s3, s7, 0xcf800000, s3
	s_cvt_u32_f32 s23, s7
	s_cvt_u32_f32 s22, s3
	s_delay_alu instid0(SALU_CYCLE_3) | instskip(NEXT) | instid1(SALU_CYCLE_1)
	s_mul_u64 s[26:27], s[24:25], s[22:23]
	s_mul_hi_u32 s29, s22, s27
	s_mul_i32 s28, s22, s27
	s_mul_hi_u32 s10, s22, s26
	s_mul_i32 s7, s23, s26
	s_add_nc_u64 s[28:29], s[10:11], s[28:29]
	s_mul_hi_u32 s3, s23, s26
	s_mul_hi_u32 s14, s23, s27
	s_add_co_u32 s7, s28, s7
	s_add_co_ci_u32 s10, s29, s3
	s_mul_i32 s26, s23, s27
	s_add_co_ci_u32 s27, s14, 0
	s_delay_alu instid0(SALU_CYCLE_1) | instskip(NEXT) | instid1(SALU_CYCLE_1)
	s_add_nc_u64 s[26:27], s[10:11], s[26:27]
	s_add_co_u32 s22, s22, s26
	s_cselect_b32 s3, -1, 0
	s_delay_alu instid0(SALU_CYCLE_1) | instskip(SKIP_1) | instid1(SALU_CYCLE_1)
	s_cmp_lg_u32 s3, 0
	s_add_co_ci_u32 s23, s23, s27
	s_mul_u64 s[24:25], s[24:25], s[22:23]
	s_delay_alu instid0(SALU_CYCLE_1)
	s_mul_hi_u32 s27, s22, s25
	s_mul_i32 s26, s22, s25
	s_mul_hi_u32 s10, s22, s24
	s_mul_i32 s7, s23, s24
	s_add_nc_u64 s[26:27], s[10:11], s[26:27]
	s_mul_hi_u32 s3, s23, s24
	s_mul_hi_u32 s14, s23, s25
	s_add_co_u32 s7, s26, s7
	s_add_co_ci_u32 s10, s27, s3
	s_mul_i32 s24, s23, s25
	s_add_co_ci_u32 s25, s14, 0
	s_delay_alu instid0(SALU_CYCLE_1) | instskip(NEXT) | instid1(SALU_CYCLE_1)
	s_add_nc_u64 s[24:25], s[10:11], s[24:25]
	s_add_co_u32 s3, s22, s24
	s_cselect_b32 s7, -1, 0
	s_delay_alu instid0(SALU_CYCLE_1) | instskip(SKIP_2) | instid1(SALU_CYCLE_1)
	s_cmp_lg_u32 s7, 0
	s_add_co_ci_u32 s7, s23, s25
	s_ashr_i32 s22, s9, 31
	s_mov_b32 s23, s22
	s_delay_alu instid0(SALU_CYCLE_1) | instskip(NEXT) | instid1(SALU_CYCLE_1)
	s_add_nc_u64 s[24:25], s[8:9], s[22:23]
	s_xor_b64 s[24:25], s[24:25], s[22:23]
	s_delay_alu instid0(SALU_CYCLE_1)
	s_mul_hi_u32 s27, s24, s7
	s_mul_i32 s26, s24, s7
	s_mul_hi_u32 s10, s24, s3
	s_mul_hi_u32 s14, s25, s3
	s_mul_i32 s3, s25, s3
	s_add_nc_u64 s[26:27], s[10:11], s[26:27]
	s_mul_hi_u32 s9, s25, s7
	s_add_co_u32 s3, s26, s3
	s_add_co_ci_u32 s10, s27, s14
	s_mul_i32 s28, s25, s7
	s_add_co_ci_u32 s29, s9, 0
	s_delay_alu instid0(SALU_CYCLE_1) | instskip(NEXT) | instid1(SALU_CYCLE_1)
	s_add_nc_u64 s[26:27], s[10:11], s[28:29]
	s_and_b64 s[28:29], s[26:27], 0xffffffff00000000
	s_delay_alu instid0(SALU_CYCLE_1) | instskip(NEXT) | instid1(SALU_CYCLE_1)
	s_or_b32 s28, s28, s26
	s_mul_u64 s[26:27], s[12:13], s[28:29]
	s_add_nc_u64 s[30:31], s[28:29], 1
	s_sub_co_u32 s3, s24, s26
	s_cselect_b32 s7, -1, 0
	s_sub_co_i32 s9, s25, s27
	s_cmp_lg_u32 s7, 0
	s_add_nc_u64 s[34:35], s[28:29], 2
	s_sub_co_ci_u32 s9, s9, s13
	s_sub_co_u32 s10, s3, s12
	s_cselect_b32 s14, -1, 0
	s_delay_alu instid0(SALU_CYCLE_1) | instskip(SKIP_1) | instid1(SALU_CYCLE_1)
	s_cmp_lg_u32 s14, 0
	s_sub_co_ci_u32 s9, s9, 0
	s_cmp_ge_u32 s9, s13
	s_cselect_b32 s14, -1, 0
	s_cmp_ge_u32 s10, s12
	s_cselect_b32 s10, -1, 0
	s_cmp_eq_u32 s9, s13
	s_cselect_b32 s9, s10, s14
	s_delay_alu instid0(SALU_CYCLE_1) | instskip(SKIP_4) | instid1(SALU_CYCLE_1)
	s_cmp_lg_u32 s9, 0
	s_cselect_b32 s9, s34, s30
	s_cselect_b32 s10, s35, s31
	s_cmp_lg_u32 s7, 0
	s_sub_co_ci_u32 s7, s25, s27
	s_cmp_ge_u32 s7, s13
	s_cselect_b32 s14, -1, 0
	s_cmp_ge_u32 s3, s12
	s_cselect_b32 s3, -1, 0
	s_cmp_eq_u32 s7, s13
	s_cselect_b32 s3, s3, s14
	s_delay_alu instid0(SALU_CYCLE_1) | instskip(SKIP_3) | instid1(SALU_CYCLE_1)
	s_cmp_lg_u32 s3, 0
	s_cselect_b32 s13, s10, s29
	s_cselect_b32 s12, s9, s28
	s_xor_b64 s[22:23], s[22:23], 0
	s_xor_b64 s[12:13], s[12:13], s[22:23]
	s_delay_alu instid0(SALU_CYCLE_1)
	s_sub_nc_u64 s[24:25], s[12:13], s[22:23]
	s_load_b96 s[12:14], s[0:1], 0x44
	s_cbranch_execnz .LBB8_6
.LBB8_5:
	v_cvt_f32_u32_e32 v1, s16
	s_sub_co_i32 s7, 0, s16
	s_delay_alu instid0(VALU_DEP_1) | instskip(SKIP_1) | instid1(TRANS32_DEP_1)
	v_rcp_iflag_f32_e32 v1, v1
	v_nop
	v_mul_f32_e32 v1, 0x4f7ffffe, v1
	s_delay_alu instid0(VALU_DEP_1) | instskip(NEXT) | instid1(VALU_DEP_1)
	v_cvt_u32_f32_e32 v1, v1
	v_readfirstlane_b32 s3, v1
	s_mul_i32 s7, s7, s3
	s_delay_alu instid0(SALU_CYCLE_1) | instskip(NEXT) | instid1(SALU_CYCLE_1)
	s_mul_hi_u32 s7, s3, s7
	s_add_co_i32 s3, s3, s7
	s_delay_alu instid0(SALU_CYCLE_1) | instskip(NEXT) | instid1(SALU_CYCLE_1)
	s_mul_hi_u32 s3, s8, s3
	s_mul_i32 s7, s3, s16
	s_delay_alu instid0(SALU_CYCLE_1)
	s_sub_co_i32 s7, s8, s7
	s_add_co_i32 s8, s3, 1
	s_sub_co_i32 s9, s7, s16
	s_cmp_ge_u32 s7, s16
	s_cselect_b32 s3, s8, s3
	s_cselect_b32 s7, s9, s7
	s_add_co_i32 s8, s3, 1
	s_cmp_ge_u32 s7, s16
	s_cselect_b32 s24, s8, s3
.LBB8_6:
	s_delay_alu instid0(SALU_CYCLE_1)
	s_cmp_eq_u32 s20, s24
	s_mov_b64 s[8:9], 0xffffffff
	s_cselect_b32 s3, -1, 0
	s_and_b64 s[8:9], s[20:21], s[8:9]
	s_mov_b32 s23, 0
	s_wait_kmcnt 0x0
	s_mov_b32 s22, s12
	s_mov_b32 s25, s23
	s_mul_u64 s[10:11], s[8:9], s[22:23]
	s_delay_alu instid0(SALU_CYCLE_1) | instskip(SKIP_2) | instid1(SALU_CYCLE_1)
	s_add_co_i32 s7, s11, s20
	s_mul_u64 s[10:11], s[24:25], s[22:23]
	s_lshr_b32 s12, s7, s13
	s_mul_i32 s7, s12, s14
	s_delay_alu instid0(SALU_CYCLE_1) | instskip(SKIP_2) | instid1(SALU_CYCLE_1)
	s_cmp_eq_u32 s7, s20
	s_cselect_b32 s7, -1, 0
	s_add_co_i32 s10, s11, s24
	s_lshr_b32 s10, s10, s13
	s_delay_alu instid0(SALU_CYCLE_1)
	s_cmp_eq_u32 s12, s10
	s_mul_i32 s10, s10, s14
	s_cselect_b32 s11, -1, 0
	s_cmp_lg_u32 s10, s24
	s_cselect_b32 s10, -1, 0
	s_or_b32 s3, s3, s7
	s_and_b32 s10, s11, s10
	s_delay_alu instid0(SALU_CYCLE_1) | instskip(NEXT) | instid1(SALU_CYCLE_1)
	s_or_b32 s3, s3, s10
	s_and_b32 vcc_lo, exec_lo, s3
	s_cbranch_vccnz .LBB8_24
; %bb.7:
	s_load_b256 s[24:31], s[0:1], 0x20
	s_bfe_u32 s7, ttmp6, 0x40014
	s_bfe_u32 s33, ttmp6, 0x40010
	s_lshr_b32 s3, ttmp7, 16
	s_add_co_i32 s7, s7, 1
	s_and_b32 s21, ttmp7, 0xffff
	s_add_co_i32 s33, s33, 1
	s_bfe_u32 s10, ttmp6, 0x40008
	s_mul_i32 s7, s3, s7
	s_bfe_u32 s34, ttmp6, 0x40004
	s_mul_i32 s33, s21, s33
	s_mov_b32 s11, s23
	s_add_co_i32 s35, s10, s7
	s_add_co_i32 s34, s34, s33
	s_cmp_eq_u32 s15, 0
	s_cselect_b32 s7, s21, s34
	s_cselect_b32 s3, s3, s35
	s_wait_kmcnt 0x0
	s_mov_b32 s10, s24
	s_delay_alu instid0(SALU_CYCLE_1) | instskip(NEXT) | instid1(SALU_CYCLE_1)
	s_mul_u64 s[8:9], s[8:9], s[10:11]
	s_add_co_i32 s8, s9, s20
	s_load_b32 s9, s[0:1], 0x40
	s_lshr_b32 s8, s8, s25
	s_delay_alu instid0(SALU_CYCLE_1) | instskip(NEXT) | instid1(SALU_CYCLE_1)
	s_mul_i32 s10, s8, s26
	s_sub_co_i32 s10, s20, s10
	s_delay_alu instid0(SALU_CYCLE_1) | instskip(NEXT) | instid1(SALU_CYCLE_1)
	s_mul_hi_u32 s11, s10, s27
	s_add_co_i32 s11, s10, s11
	s_delay_alu instid0(SALU_CYCLE_1) | instskip(NEXT) | instid1(SALU_CYCLE_1)
	s_lshr_b32 s15, s11, s28
	s_mul_i32 s11, s15, s29
	s_delay_alu instid0(SALU_CYCLE_1) | instskip(NEXT) | instid1(SALU_CYCLE_1)
	s_sub_co_i32 s10, s10, s11
	s_mul_hi_u32 s11, s10, s30
	s_delay_alu instid0(SALU_CYCLE_1) | instskip(NEXT) | instid1(SALU_CYCLE_1)
	s_add_co_i32 s11, s10, s11
	s_lshr_b32 s26, s11, s31
	s_mov_b32 s11, s23
	s_wait_kmcnt 0x0
	s_mul_i32 s9, s26, s9
	s_delay_alu instid0(SALU_CYCLE_1) | instskip(NEXT) | instid1(SALU_CYCLE_1)
	s_sub_co_i32 s10, s10, s9
	s_mul_u64 s[24:25], s[10:11], s[22:23]
	s_lshl_b32 s24, s26, 3
	s_add_co_i32 s9, s10, s25
	s_delay_alu instid0(SALU_CYCLE_1) | instskip(NEXT) | instid1(SALU_CYCLE_1)
	s_lshr_b32 s21, s9, s13
	s_lshl_b32 s9, s21, 2
	s_delay_alu instid0(SALU_CYCLE_1) | instskip(NEXT) | instid1(SALU_CYCLE_1)
	s_add_co_i32 s9, s9, s7
	s_cmp_lt_i32 s9, s4
	s_cselect_b32 s9, -1, 0
	s_add_co_i32 s10, s24, s3
	s_delay_alu instid0(SALU_CYCLE_1) | instskip(SKIP_1) | instid1(SALU_CYCLE_1)
	s_cmp_lt_i32 s10, s6
	s_cselect_b32 s10, -1, 0
	s_and_b32 s9, s9, s10
	s_delay_alu instid0(SALU_CYCLE_1)
	s_and_not1_b32 vcc_lo, exec_lo, s9
	s_cbranch_vccnz .LBB8_24
; %bb.8:
	s_mul_i32 s4, s8, s4
	s_load_b128 s[8:11], s[0:1], 0x0
	s_wait_xcnt 0x0
	s_add_co_i32 s0, s4, s7
	s_mul_i32 s15, s15, s6
	s_mul_i32 s0, s0, s5
	;; [unrolled: 1-line block ×3, first 2 shown]
	s_add_co_i32 s0, s0, s3
	s_lshl_b32 s1, s1, 9
	s_add_co_i32 s0, s0, s15
	s_lshl_b32 s15, s7, 3
	s_add_co_i32 s0, s0, s24
	s_add_co_i32 s15, s15, s3
	s_lshl_b32 s0, s0, 7
	v_lshl_or_b32 v6, s15, 7, v0
	s_add_co_i32 s1, s1, s0
	v_cvt_f32_u32_e32 v4, s16
	v_or_b32_e32 v2, s1, v0
	s_add_nc_u64 s[0:1], s[16:17], 0
	s_lshl_b32 s24, s16, 7
	s_xor_b64 s[6:7], s[0:1], 0
	s_lshl_b32 s0, s2, 5
	s_cvt_f32_u32 s3, s6
	s_add_co_i32 s0, s15, s0
	s_cvt_f32_u32 s4, s7
	s_ashr_i32 s1, s0, 31
	v_rcp_iflag_f32_e32 v4, v4
	s_lshl_b64 s[0:1], s[0:1], 3
	s_fmamk_f32 s3, s4, 0x4f800000, s3
	s_wait_kmcnt 0x0
	s_add_nc_u64 s[0:1], s[10:11], s[0:1]
	s_mov_b32 s25, 0
	s_load_b64 s[28:29], s[0:1], 0x0
	v_s_rcp_f32 s3, s3
	s_wait_xcnt 0x0
	s_lshl_b64 s[0:1], s[24:25], 2
	s_add_co_i32 s36, s2, -1
	s_add_nc_u64 s[26:27], s[10:11], s[0:1]
	s_sub_nc_u64 s[34:35], 0, s[6:7]
	v_mul_f32_e32 v4, 0x4f7ffffe, v4
	s_delay_alu instid0(TRANS32_DEP_1) | instskip(NEXT) | instid1(VALU_DEP_1)
	s_mul_f32 s3, s3, 0x5f7ffffc
	v_cvt_u32_f32_e32 v7, v4
	s_delay_alu instid0(SALU_CYCLE_2) | instskip(NEXT) | instid1(SALU_CYCLE_3)
	s_mul_f32 s4, s3, 0x2f800000
	s_trunc_f32 s4, s4
	s_wait_kmcnt 0x0
	v_mov_b32_e32 v0, s29
	global_load_b32 v1, v2, s[8:9] scale_offset
	v_ashrrev_i32_e32 v3, 31, v2
	s_fmamk_f32 s0, s4, 0xcf800000, s3
	s_cvt_u32_f32 s31, s4
	s_wait_xcnt 0x0
	s_delay_alu instid0(VALU_DEP_1)
	v_lshl_add_u64 v[2:3], v[2:3], 2, s[8:9]
	s_cvt_u32_f32 s30, s0
	s_mov_b64 s[8:9], 0xffffffff
.LBB8_9:                                ; =>This Inner Loop Header: Depth=1
	s_ashr_i32 s37, s36, 31
                                        ; implicit-def: $sgpr40_sgpr41
	s_delay_alu instid0(SALU_CYCLE_1) | instskip(NEXT) | instid1(SALU_CYCLE_1)
	s_mul_u64 s[0:1], s[36:37], s[18:19]
	s_and_b64 s[2:3], s[0:1], 0xffffffff00000000
	s_delay_alu instid0(SALU_CYCLE_1)
	s_cmp_lg_u64 s[2:3], 0
	s_mov_b32 s2, -1
	s_cbranch_scc0 .LBB8_11
; %bb.10:                               ;   in Loop: Header=BB8_9 Depth=1
	s_mul_u64 s[2:3], s[34:35], s[30:31]
	s_delay_alu instid0(SALU_CYCLE_1)
	s_mul_hi_u32 s5, s30, s3
	s_mul_i32 s4, s30, s3
	s_mul_hi_u32 s24, s30, s2
	s_mul_hi_u32 s17, s31, s2
	s_add_nc_u64 s[4:5], s[24:25], s[4:5]
	s_mul_i32 s2, s31, s2
	s_mul_hi_u32 s21, s31, s3
	s_add_co_u32 s2, s4, s2
	s_add_co_ci_u32 s24, s5, s17
	s_add_co_ci_u32 s5, s21, 0
	s_mul_i32 s4, s31, s3
	s_delay_alu instid0(SALU_CYCLE_1) | instskip(NEXT) | instid1(SALU_CYCLE_1)
	s_add_nc_u64 s[2:3], s[24:25], s[4:5]
	s_add_co_u32 s2, s30, s2
	s_cselect_b32 s4, -1, 0
	s_delay_alu instid0(SALU_CYCLE_1) | instskip(SKIP_1) | instid1(SALU_CYCLE_1)
	s_cmp_lg_u32 s4, 0
	s_add_co_ci_u32 s3, s31, s3
	s_mul_u64 s[4:5], s[34:35], s[2:3]
	s_delay_alu instid0(SALU_CYCLE_1)
	s_mul_hi_u32 s39, s2, s5
	s_mul_i32 s38, s2, s5
	s_mul_hi_u32 s24, s2, s4
	s_mul_hi_u32 s17, s3, s4
	s_mul_i32 s4, s3, s4
	s_add_nc_u64 s[38:39], s[24:25], s[38:39]
	s_mul_hi_u32 s21, s3, s5
	s_add_co_u32 s4, s38, s4
	s_add_co_ci_u32 s24, s39, s17
	s_mul_i32 s4, s3, s5
	s_add_co_ci_u32 s5, s21, 0
	s_delay_alu instid0(SALU_CYCLE_1) | instskip(NEXT) | instid1(SALU_CYCLE_1)
	s_add_nc_u64 s[4:5], s[24:25], s[4:5]
	s_add_co_u32 s17, s2, s4
	s_cselect_b32 s2, -1, 0
	s_delay_alu instid0(SALU_CYCLE_1) | instskip(SKIP_2) | instid1(SALU_CYCLE_1)
	s_cmp_lg_u32 s2, 0
	s_add_co_ci_u32 s21, s3, s5
	s_ashr_i32 s2, s1, 31
	s_mov_b32 s3, s2
	s_delay_alu instid0(SALU_CYCLE_1) | instskip(NEXT) | instid1(SALU_CYCLE_1)
	s_add_nc_u64 s[4:5], s[0:1], s[2:3]
	s_xor_b64 s[4:5], s[4:5], s[2:3]
	s_delay_alu instid0(SALU_CYCLE_1)
	s_mul_hi_u32 s39, s4, s21
	s_mul_i32 s38, s4, s21
	s_mul_hi_u32 s24, s4, s17
	s_mul_hi_u32 s29, s5, s17
	s_mul_i32 s17, s5, s17
	s_add_nc_u64 s[38:39], s[24:25], s[38:39]
	s_mul_hi_u32 s1, s5, s21
	s_add_co_u32 s17, s38, s17
	s_add_co_ci_u32 s24, s39, s29
	s_mul_i32 s40, s5, s21
	s_add_co_ci_u32 s41, s1, 0
	s_delay_alu instid0(SALU_CYCLE_1) | instskip(NEXT) | instid1(SALU_CYCLE_1)
	s_add_nc_u64 s[38:39], s[24:25], s[40:41]
	s_and_b64 s[40:41], s[38:39], 0xffffffff00000000
	s_delay_alu instid0(SALU_CYCLE_1) | instskip(NEXT) | instid1(SALU_CYCLE_1)
	s_or_b32 s40, s40, s38
	s_mul_u64 s[38:39], s[6:7], s[40:41]
	s_add_nc_u64 s[42:43], s[40:41], 1
	s_sub_co_u32 s1, s4, s38
	s_cselect_b32 s4, -1, 0
	s_sub_co_i32 s17, s5, s39
	s_cmp_lg_u32 s4, 0
	s_add_nc_u64 s[44:45], s[40:41], 2
	s_sub_co_ci_u32 s17, s17, s7
	s_sub_co_u32 s21, s1, s6
	s_cselect_b32 s24, -1, 0
	s_delay_alu instid0(SALU_CYCLE_1) | instskip(SKIP_1) | instid1(SALU_CYCLE_1)
	s_cmp_lg_u32 s24, 0
	s_sub_co_ci_u32 s17, s17, 0
	s_cmp_ge_u32 s17, s7
	s_cselect_b32 s24, -1, 0
	s_cmp_ge_u32 s21, s6
	s_cselect_b32 s21, -1, 0
	s_cmp_eq_u32 s17, s7
	s_cselect_b32 s17, s21, s24
	s_delay_alu instid0(SALU_CYCLE_1) | instskip(SKIP_4) | instid1(SALU_CYCLE_1)
	s_cmp_lg_u32 s17, 0
	s_cselect_b32 s17, s44, s42
	s_cselect_b32 s21, s45, s43
	s_cmp_lg_u32 s4, 0
	s_sub_co_ci_u32 s4, s5, s39
	s_cmp_ge_u32 s4, s7
	s_cselect_b32 s5, -1, 0
	s_cmp_ge_u32 s1, s6
	s_cselect_b32 s1, -1, 0
	s_cmp_eq_u32 s4, s7
	s_cselect_b32 s1, s1, s5
	s_delay_alu instid0(SALU_CYCLE_1) | instskip(SKIP_3) | instid1(SALU_CYCLE_1)
	s_cmp_lg_u32 s1, 0
	s_cselect_b32 s5, s21, s41
	s_cselect_b32 s4, s17, s40
	s_xor_b64 s[2:3], s[2:3], 0
	s_xor_b64 s[4:5], s[4:5], s[2:3]
	s_delay_alu instid0(SALU_CYCLE_1)
	s_sub_nc_u64 s[40:41], s[4:5], s[2:3]
	s_mov_b32 s2, 0
.LBB8_11:                               ;   in Loop: Header=BB8_9 Depth=1
	s_delay_alu instid0(SALU_CYCLE_1)
	s_and_not1_b32 vcc_lo, exec_lo, s2
	s_cbranch_vccnz .LBB8_13
; %bb.12:                               ;   in Loop: Header=BB8_9 Depth=1
	v_readfirstlane_b32 s1, v7
	s_sub_co_i32 s2, 0, s16
	s_delay_alu instid0(SALU_CYCLE_1) | instskip(NEXT) | instid1(SALU_CYCLE_1)
	s_mul_i32 s2, s2, s1
	s_mul_hi_u32 s2, s1, s2
	s_delay_alu instid0(SALU_CYCLE_1) | instskip(NEXT) | instid1(SALU_CYCLE_1)
	s_add_co_i32 s1, s1, s2
	s_mul_hi_u32 s1, s0, s1
	s_delay_alu instid0(SALU_CYCLE_1) | instskip(NEXT) | instid1(SALU_CYCLE_1)
	s_mul_i32 s2, s1, s16
	s_sub_co_i32 s0, s0, s2
	s_add_co_i32 s2, s1, 1
	s_sub_co_i32 s3, s0, s16
	s_cmp_ge_u32 s0, s16
	s_cselect_b32 s1, s2, s1
	s_cselect_b32 s0, s3, s0
	s_add_co_i32 s2, s1, 1
	s_cmp_ge_u32 s0, s16
	s_cselect_b32 s24, s2, s1
	s_delay_alu instid0(SALU_CYCLE_1)
	s_mov_b64 s[40:41], s[24:25]
.LBB8_13:                               ;   in Loop: Header=BB8_9 Depth=1
	s_delay_alu instid0(SALU_CYCLE_1)
	s_cmp_lg_u32 s20, s40
	s_mov_b32 s0, -1
                                        ; implicit-def: $vgpr4_vgpr5
                                        ; implicit-def: $sgpr24
                                        ; implicit-def: $sgpr17
                                        ; implicit-def: $sgpr21
                                        ; implicit-def: $sgpr29
	s_cbranch_scc0 .LBB8_18
; %bb.14:                               ;   in Loop: Header=BB8_9 Depth=1
	s_add_co_i32 s0, s36, s16
	v_max_num_f32_e64 v4, s28, s28
	s_lshl_b32 s0, s0, 5
	s_mov_b32 s29, s20
	s_add_co_i32 s0, s0, s15
	s_load_b64 s[38:39], s[10:11], s0 offset:0x0 scale_offset
	s_wait_xcnt 0x0
	v_readfirstlane_b32 s0, v4
	s_wait_kmcnt 0x0
	v_max_num_f32_e64 v5, s38, s38
	s_delay_alu instid0(VALU_DEP_1) | instskip(SKIP_1) | instid1(SALU_CYCLE_3)
	v_readfirstlane_b32 s1, v5
	s_max_num_f32 s17, s0, s1
	s_sub_f32 s33, s28, s17
	s_sub_f32 s37, s38, s17
	s_delay_alu instid0(SALU_CYCLE_2)
	s_cmp_nlt_f32 s33, 0xc2ce8ed0
	s_cselect_b32 s1, -1, 0
	s_cmp_ngt_f32 s33, 0x42b17218
	s_cselect_b32 s2, -1, 0
	s_cmp_ge_f32 s33, 0xc1a00000
	s_cselect_b32 s0, -1, 0
	s_cmp_nlt_f32 s37, 0xc2ce8ed0
	s_cselect_b32 s3, -1, 0
	s_cmp_ngt_f32 s37, 0x42b17218
	s_cselect_b32 s4, -1, 0
	s_cmp_ge_f32 s37, 0xc1a00000
	s_cselect_b32 s5, -1, 0
	s_and_b64 s[42:43], s[40:41], s[8:9]
	s_delay_alu instid0(SALU_CYCLE_1) | instskip(NEXT) | instid1(SALU_CYCLE_1)
	s_mul_u64 s[42:43], s[42:43], s[22:23]
	s_add_co_i32 s21, s43, s40
	s_delay_alu instid0(SALU_CYCLE_1) | instskip(NEXT) | instid1(SALU_CYCLE_1)
	s_lshr_b32 s21, s21, s13
	s_mul_i32 s24, s21, s14
	s_delay_alu instid0(SALU_CYCLE_1) | instskip(SKIP_3) | instid1(SALU_CYCLE_1)
	s_cmp_eq_u32 s24, s40
	s_cselect_b32 s24, -1, 0
	s_cmp_lt_u32 s21, s12
	s_cselect_b32 s21, -1, 0
	s_or_b32 s21, s21, s24
	s_mov_b32 s24, -1
	s_and_b32 vcc_lo, exec_lo, s21
	s_mov_b32 s21, s36
	s_cbranch_vccnz .LBB8_16
; %bb.15:                               ;   in Loop: Header=BB8_9 Depth=1
	s_add_co_i32 s21, s36, -1
	s_mov_b32 s24, 0
	s_mov_b32 s29, s40
.LBB8_16:                               ;   in Loop: Header=BB8_9 Depth=1
	v_lshl_add_u32 v4, s36, 12, v6
	s_mul_f32 s40, s33, 0x3fb8aa3b
	s_mul_f32 s38, s37, 0x3fb8aa3b
	s_delay_alu instid0(SALU_CYCLE_2)
	s_xor_b32 s42, s40, 0x80000000
	global_load_b32 v5, v4, s[26:27] scale_offset
	s_fmamk_f32 s42, s33, 0x3fb8aa3b, s42
	s_rndne_f32 s44, s40
	s_xor_b32 s41, s38, 0x80000000
	s_rndne_f32 s43, s38
	s_fmamk_f32 s33, s33, 0x32a5705f, s42
	s_sub_f32 s40, s40, s44
	s_fmamk_f32 s41, s37, 0x3fb8aa3b, s41
	s_sub_f32 s38, s38, s43
	s_delay_alu instid0(SALU_CYCLE_1) | instskip(NEXT) | instid1(SALU_CYCLE_1)
	s_add_f32 s33, s40, s33
	s_fmamk_f32 s37, s37, 0x32a5705f, s41
	s_cvt_i32_f32 s40, s44
	s_delay_alu instid0(SALU_CYCLE_1) | instskip(NEXT) | instid1(SALU_CYCLE_1)
	v_s_exp_f32 s33, s33
	s_add_f32 s37, s38, s37
	s_cvt_i32_f32 s38, s43
	s_delay_alu instid0(SALU_CYCLE_2) | instskip(NEXT) | instid1(TRANS32_DEP_2)
	v_s_exp_f32 s37, s37
	v_ldexp_f32 v8, s33, s40
	s_wait_xcnt 0x0
	s_delay_alu instid0(TRANS32_DEP_1) | instskip(NEXT) | instid1(VALU_DEP_2)
	v_ldexp_f32 v4, s37, s38
	v_cndmask_b32_e64 v8, 0, v8, s1
	s_delay_alu instid0(VALU_DEP_1) | instskip(NEXT) | instid1(VALU_DEP_1)
	v_cndmask_b32_e64 v9, 0x7f800000, v8, s2
	v_dual_cndmask_b32 v4, 0, v4, s3 :: v_dual_cndmask_b32 v10, 0, v9, s0
	s_delay_alu instid0(VALU_DEP_1) | instskip(NEXT) | instid1(VALU_DEP_1)
	v_cndmask_b32_e64 v4, 0x7f800000, v4, s4
	v_dual_cndmask_b32 v8, 0, v4, s5 :: v_dual_mov_b32 v4, s39
	s_wait_loadcnt 0x0
	s_delay_alu instid0(VALU_DEP_1) | instskip(NEXT) | instid1(VALU_DEP_1)
	v_pk_mul_f32 v[4:5], v[4:5], v[8:9] op_sel_hi:[1,0]
	v_pk_fma_f32 v[4:5], v[0:1], v[10:11], v[4:5] op_sel_hi:[1,0,1]
	s_cbranch_execz .LBB8_19
.LBB8_17:                               ;   in Loop: Header=BB8_9 Depth=1
	s_and_not1_b32 vcc_lo, exec_lo, s24
	s_cbranch_vccnz .LBB8_20
	s_branch .LBB8_23
.LBB8_18:                               ;   in Loop: Header=BB8_9 Depth=1
	s_and_not1_b32 vcc_lo, exec_lo, s0
	s_cbranch_vccnz .LBB8_17
.LBB8_19:                               ;   in Loop: Header=BB8_9 Depth=1
	s_wait_loadcnt 0x0
	v_mov_b64_e32 v[4:5], v[0:1]
	s_add_co_i32 s21, s36, -1
	s_mov_b32 s29, s20
	s_mov_b32 s17, s28
	s_cbranch_execz .LBB8_23
.LBB8_20:                               ;   in Loop: Header=BB8_9 Depth=1
	s_wait_loadcnt 0x0
	s_delay_alu instid0(VALU_DEP_1)
	v_mov_b64_e32 v[0:1], v[4:5]
	s_mov_b32 s20, s29
	s_mov_b32 s36, s21
	s_mov_b32 s28, s17
	s_branch .LBB8_9
.LBB8_21:
                                        ; implicit-def: $sgpr20_sgpr21
	s_branch .LBB8_2
.LBB8_22:
                                        ; implicit-def: $sgpr24_sgpr25
	s_load_b96 s[12:14], s[0:1], 0x44
	s_branch .LBB8_5
.LBB8_23:
	s_delay_alu instid0(VALU_DEP_1) | instskip(SKIP_1) | instid1(VALU_DEP_1)
	v_div_scale_f32 v0, null, v4, v4, v5
	s_wait_loadcnt 0x0
	v_rcp_f32_e32 v1, v0
	v_nop
	s_delay_alu instid0(TRANS32_DEP_1) | instskip(NEXT) | instid1(VALU_DEP_1)
	v_fma_f32 v6, -v0, v1, 1.0
	v_fmac_f32_e32 v1, v6, v1
	v_div_scale_f32 v6, vcc_lo, v5, v4, v5
	s_delay_alu instid0(VALU_DEP_1) | instskip(NEXT) | instid1(VALU_DEP_1)
	v_mul_f32_e32 v7, v6, v1
	v_fma_f32 v8, -v0, v7, v6
	s_delay_alu instid0(VALU_DEP_1) | instskip(NEXT) | instid1(VALU_DEP_1)
	v_fmac_f32_e32 v7, v8, v1
	v_fma_f32 v0, -v0, v7, v6
	s_delay_alu instid0(VALU_DEP_1) | instskip(NEXT) | instid1(VALU_DEP_1)
	v_div_fmas_f32 v0, v0, v1, v7
	v_div_fixup_f32 v0, v0, v4, v5
	global_store_b32 v[2:3], v0, off
.LBB8_24:
	s_endpgm
	.section	.rodata,"a",@progbits
	.p2align	6, 0x0
	.amdhsa_kernel _ZL33flash_attn_stream_k_fixup_generalILi128ELi4ELi8EEvPfPK15HIP_vector_typeIfLj2EEiiiiS1_IjLj3EES5_S5_S5_
		.amdhsa_group_segment_fixed_size 0
		.amdhsa_private_segment_fixed_size 0
		.amdhsa_kernarg_size 336
		.amdhsa_user_sgpr_count 2
		.amdhsa_user_sgpr_dispatch_ptr 0
		.amdhsa_user_sgpr_queue_ptr 0
		.amdhsa_user_sgpr_kernarg_segment_ptr 1
		.amdhsa_user_sgpr_dispatch_id 0
		.amdhsa_user_sgpr_kernarg_preload_length 0
		.amdhsa_user_sgpr_kernarg_preload_offset 0
		.amdhsa_user_sgpr_private_segment_size 0
		.amdhsa_wavefront_size32 1
		.amdhsa_uses_dynamic_stack 0
		.amdhsa_enable_private_segment 0
		.amdhsa_system_sgpr_workgroup_id_x 1
		.amdhsa_system_sgpr_workgroup_id_y 1
		.amdhsa_system_sgpr_workgroup_id_z 1
		.amdhsa_system_sgpr_workgroup_info 0
		.amdhsa_system_vgpr_workitem_id 0
		.amdhsa_next_free_vgpr 12
		.amdhsa_next_free_sgpr 46
		.amdhsa_named_barrier_count 0
		.amdhsa_reserve_vcc 1
		.amdhsa_float_round_mode_32 0
		.amdhsa_float_round_mode_16_64 0
		.amdhsa_float_denorm_mode_32 3
		.amdhsa_float_denorm_mode_16_64 3
		.amdhsa_fp16_overflow 0
		.amdhsa_memory_ordered 1
		.amdhsa_forward_progress 1
		.amdhsa_inst_pref_size 27
		.amdhsa_round_robin_scheduling 0
		.amdhsa_exception_fp_ieee_invalid_op 0
		.amdhsa_exception_fp_denorm_src 0
		.amdhsa_exception_fp_ieee_div_zero 0
		.amdhsa_exception_fp_ieee_overflow 0
		.amdhsa_exception_fp_ieee_underflow 0
		.amdhsa_exception_fp_ieee_inexact 0
		.amdhsa_exception_int_div_zero 0
	.end_amdhsa_kernel
	.section	.text._ZL33flash_attn_stream_k_fixup_generalILi128ELi4ELi8EEvPfPK15HIP_vector_typeIfLj2EEiiiiS1_IjLj3EES5_S5_S5_,"axG",@progbits,_ZL33flash_attn_stream_k_fixup_generalILi128ELi4ELi8EEvPfPK15HIP_vector_typeIfLj2EEiiiiS1_IjLj3EES5_S5_S5_,comdat
.Lfunc_end8:
	.size	_ZL33flash_attn_stream_k_fixup_generalILi128ELi4ELi8EEvPfPK15HIP_vector_typeIfLj2EEiiiiS1_IjLj3EES5_S5_S5_, .Lfunc_end8-_ZL33flash_attn_stream_k_fixup_generalILi128ELi4ELi8EEvPfPK15HIP_vector_typeIfLj2EEiiiiS1_IjLj3EES5_S5_S5_
                                        ; -- End function
	.set _ZL33flash_attn_stream_k_fixup_generalILi128ELi4ELi8EEvPfPK15HIP_vector_typeIfLj2EEiiiiS1_IjLj3EES5_S5_S5_.num_vgpr, 12
	.set _ZL33flash_attn_stream_k_fixup_generalILi128ELi4ELi8EEvPfPK15HIP_vector_typeIfLj2EEiiiiS1_IjLj3EES5_S5_S5_.num_agpr, 0
	.set _ZL33flash_attn_stream_k_fixup_generalILi128ELi4ELi8EEvPfPK15HIP_vector_typeIfLj2EEiiiiS1_IjLj3EES5_S5_S5_.numbered_sgpr, 46
	.set _ZL33flash_attn_stream_k_fixup_generalILi128ELi4ELi8EEvPfPK15HIP_vector_typeIfLj2EEiiiiS1_IjLj3EES5_S5_S5_.num_named_barrier, 0
	.set _ZL33flash_attn_stream_k_fixup_generalILi128ELi4ELi8EEvPfPK15HIP_vector_typeIfLj2EEiiiiS1_IjLj3EES5_S5_S5_.private_seg_size, 0
	.set _ZL33flash_attn_stream_k_fixup_generalILi128ELi4ELi8EEvPfPK15HIP_vector_typeIfLj2EEiiiiS1_IjLj3EES5_S5_S5_.uses_vcc, 1
	.set _ZL33flash_attn_stream_k_fixup_generalILi128ELi4ELi8EEvPfPK15HIP_vector_typeIfLj2EEiiiiS1_IjLj3EES5_S5_S5_.uses_flat_scratch, 0
	.set _ZL33flash_attn_stream_k_fixup_generalILi128ELi4ELi8EEvPfPK15HIP_vector_typeIfLj2EEiiiiS1_IjLj3EES5_S5_S5_.has_dyn_sized_stack, 0
	.set _ZL33flash_attn_stream_k_fixup_generalILi128ELi4ELi8EEvPfPK15HIP_vector_typeIfLj2EEiiiiS1_IjLj3EES5_S5_S5_.has_recursion, 0
	.set _ZL33flash_attn_stream_k_fixup_generalILi128ELi4ELi8EEvPfPK15HIP_vector_typeIfLj2EEiiiiS1_IjLj3EES5_S5_S5_.has_indirect_call, 0
	.section	.AMDGPU.csdata,"",@progbits
; Kernel info:
; codeLenInByte = 3360
; TotalNumSgprs: 48
; NumVgprs: 12
; ScratchSize: 0
; MemoryBound: 0
; FloatMode: 240
; IeeeMode: 1
; LDSByteSize: 0 bytes/workgroup (compile time only)
; SGPRBlocks: 0
; VGPRBlocks: 0
; NumSGPRsForWavesPerEU: 48
; NumVGPRsForWavesPerEU: 12
; NamedBarCnt: 0
; Occupancy: 16
; WaveLimiterHint : 0
; COMPUTE_PGM_RSRC2:SCRATCH_EN: 0
; COMPUTE_PGM_RSRC2:USER_SGPR: 2
; COMPUTE_PGM_RSRC2:TRAP_HANDLER: 0
; COMPUTE_PGM_RSRC2:TGID_X_EN: 1
; COMPUTE_PGM_RSRC2:TGID_Y_EN: 1
; COMPUTE_PGM_RSRC2:TGID_Z_EN: 1
; COMPUTE_PGM_RSRC2:TIDIG_COMP_CNT: 0
	.section	.text._ZL15flash_attn_tileILi128ELi128ELi2ELi8ELb0EEvPKcS1_S1_S1_S1_PKiPfP15HIP_vector_typeIfLj2EEffffjfiS5_IjLj3EEiiiiiiiiiiiliiliiiiil,"axG",@progbits,_ZL15flash_attn_tileILi128ELi128ELi2ELi8ELb0EEvPKcS1_S1_S1_S1_PKiPfP15HIP_vector_typeIfLj2EEffffjfiS5_IjLj3EEiiiiiiiiiiiliiliiiiil,comdat
	.globl	_ZL15flash_attn_tileILi128ELi128ELi2ELi8ELb0EEvPKcS1_S1_S1_S1_PKiPfP15HIP_vector_typeIfLj2EEffffjfiS5_IjLj3EEiiiiiiiiiiiliiliiiiil ; -- Begin function _ZL15flash_attn_tileILi128ELi128ELi2ELi8ELb0EEvPKcS1_S1_S1_S1_PKiPfP15HIP_vector_typeIfLj2EEffffjfiS5_IjLj3EEiiiiiiiiiiiliiliiiiil
	.p2align	8
	.type	_ZL15flash_attn_tileILi128ELi128ELi2ELi8ELb0EEvPKcS1_S1_S1_S1_PKiPfP15HIP_vector_typeIfLj2EEffffjfiS5_IjLj3EEiiiiiiiiiiiliiliiiiil,@function
_ZL15flash_attn_tileILi128ELi128ELi2ELi8ELb0EEvPKcS1_S1_S1_S1_PKiPfP15HIP_vector_typeIfLj2EEffffjfiS5_IjLj3EEiiiiiiiiiiiliiliiiiil: ; @_ZL15flash_attn_tileILi128ELi128ELi2ELi8ELb0EEvPKcS1_S1_S1_S1_PKiPfP15HIP_vector_typeIfLj2EEffffjfiS5_IjLj3EEiiiiiiiiiiiliiliiiiil
; %bb.0:
	s_clause 0x1
	s_load_b128 s[20:23], s[0:1], 0x5c
	s_load_b64 s[30:31], s[0:1], 0x80
	s_bfe_u32 s5, ttmp6, 0x40014
	s_lshr_b32 s4, ttmp7, 16
	s_add_co_i32 s5, s5, 1
	s_bfe_u32 s6, ttmp6, 0x40008
	s_mul_i32 s5, s4, s5
	s_getreg_b32 s27, hwreg(HW_REG_IB_STS2, 6, 4)
	s_add_co_i32 s6, s6, s5
	s_load_b64 s[36:37], s[0:1], 0xb8
	s_mov_b64 s[34:35], 0
	s_wait_kmcnt 0x0
	s_ashr_i32 s2, s23, 31
	s_delay_alu instid0(SALU_CYCLE_1) | instskip(NEXT) | instid1(SALU_CYCLE_1)
	s_lshr_b32 s2, s2, 29
	s_add_co_i32 s2, s23, s2
	s_delay_alu instid0(SALU_CYCLE_1) | instskip(NEXT) | instid1(SALU_CYCLE_1)
	s_ashr_i32 s2, s2, 3
	s_cvt_f32_u32 s3, s2
	s_sub_co_i32 s7, 0, s2
	s_delay_alu instid0(SALU_CYCLE_2) | instskip(SKIP_1) | instid1(TRANS32_DEP_1)
	v_rcp_iflag_f32_e32 v1, s3
	v_nop
	v_readfirstlane_b32 s3, v1
	s_mul_f32 s3, s3, 0x4f7ffffe
	s_delay_alu instid0(SALU_CYCLE_3) | instskip(NEXT) | instid1(SALU_CYCLE_3)
	s_cvt_u32_f32 s3, s3
	s_mul_i32 s7, s7, s3
	s_delay_alu instid0(SALU_CYCLE_1) | instskip(NEXT) | instid1(SALU_CYCLE_1)
	s_mul_hi_u32 s7, s3, s7
	s_add_co_i32 s3, s3, s7
	s_cmp_eq_u32 s27, 0
	s_cselect_b32 s4, s4, s6
	s_delay_alu instid0(SALU_CYCLE_1) | instskip(NEXT) | instid1(SALU_CYCLE_1)
	s_mul_hi_u32 s3, s4, s3
	s_mul_i32 s5, s3, s2
	s_add_co_i32 s6, s3, 1
	s_sub_co_i32 s5, s4, s5
	s_delay_alu instid0(SALU_CYCLE_1)
	s_sub_co_i32 s7, s5, s2
	s_cmp_ge_u32 s5, s2
	s_cselect_b32 s3, s6, s3
	s_cselect_b32 s5, s7, s5
	s_add_co_i32 s6, s3, 1
	s_cmp_ge_u32 s5, s2
	s_cselect_b32 s28, s6, s3
	s_abs_i32 s2, s31
	s_abs_i32 s7, s23
	s_cvt_f32_u32 s3, s2
	s_sub_co_i32 s5, 0, s2
	s_lshl_b32 s4, s4, 3
	s_mul_i32 s6, s28, s23
	v_rcp_iflag_f32_e32 v1, s3
	s_sub_co_i32 s33, s4, s6
	s_xor_b32 s4, s23, s31
	s_delay_alu instid0(SALU_CYCLE_1) | instskip(SKIP_1) | instid1(TRANS32_DEP_1)
	s_ashr_i32 s24, s4, 31
	v_nop
	v_readfirstlane_b32 s3, v1
	s_mul_f32 s3, s3, 0x4f7ffffe
	s_delay_alu instid0(SALU_CYCLE_3) | instskip(NEXT) | instid1(SALU_CYCLE_3)
	s_cvt_u32_f32 s3, s3
	s_mul_i32 s5, s5, s3
	s_delay_alu instid0(SALU_CYCLE_1) | instskip(NEXT) | instid1(SALU_CYCLE_1)
	s_mul_hi_u32 s5, s3, s5
	s_add_co_i32 s3, s3, s5
	s_delay_alu instid0(SALU_CYCLE_1) | instskip(NEXT) | instid1(SALU_CYCLE_1)
	s_mul_hi_u32 s3, s7, s3
	s_mul_i32 s5, s3, s2
	s_delay_alu instid0(SALU_CYCLE_1)
	s_sub_co_i32 s4, s7, s5
	s_add_co_i32 s5, s3, 1
	s_sub_co_i32 s6, s4, s2
	s_cmp_ge_u32 s4, s2
	s_cselect_b32 s3, s5, s3
	s_cselect_b32 s4, s6, s4
	s_add_co_i32 s5, s3, 1
	s_cmp_ge_u32 s4, s2
	s_cselect_b32 s2, s5, s3
	s_load_b512 s[4:19], s[0:1], 0x0
	s_xor_b32 s2, s2, s24
	s_mov_b32 s3, 0
	s_sub_co_i32 s29, s2, s24
	s_delay_alu instid0(SALU_CYCLE_1) | instskip(NEXT) | instid1(SALU_CYCLE_1)
	s_abs_i32 s38, s29
	s_cvt_f32_u32 s2, s38
	s_delay_alu instid0(SALU_CYCLE_3) | instskip(SKIP_1) | instid1(TRANS32_DEP_1)
	v_rcp_iflag_f32_e32 v1, s2
	v_nop
	v_readfirstlane_b32 s2, v1
	s_wait_kmcnt 0x0
	s_cmp_eq_u64 s[10:11], 0
	s_cbranch_scc1 .LBB9_2
; %bb.1:
	s_abs_i32 s26, s36
	s_abs_i32 s31, s28
	s_cvt_f32_u32 s24, s26
	s_sub_co_i32 s25, 0, s26
	s_delay_alu instid0(SALU_CYCLE_2) | instskip(SKIP_1) | instid1(TRANS32_DEP_1)
	v_rcp_iflag_f32_e32 v1, s24
	v_nop
	v_readfirstlane_b32 s24, v1
	s_mul_f32 s24, s24, 0x4f7ffffe
	s_delay_alu instid0(SALU_CYCLE_3) | instskip(NEXT) | instid1(SALU_CYCLE_3)
	s_cvt_u32_f32 s24, s24
	s_mul_i32 s25, s25, s24
	s_delay_alu instid0(SALU_CYCLE_1) | instskip(NEXT) | instid1(SALU_CYCLE_1)
	s_mul_hi_u32 s25, s24, s25
	s_add_co_i32 s24, s24, s25
	s_delay_alu instid0(SALU_CYCLE_1) | instskip(SKIP_2) | instid1(SALU_CYCLE_1)
	s_mul_hi_u32 s34, s31, s24
	s_load_b64 s[24:25], s[0:1], 0xc8
	s_mul_i32 s34, s34, s26
	s_sub_co_i32 s31, s31, s34
	s_ashr_i32 s34, s28, 31
	s_sub_co_i32 s35, s31, s26
	s_cmp_ge_u32 s31, s26
	s_cselect_b32 s31, s35, s31
	s_delay_alu instid0(SALU_CYCLE_1) | instskip(SKIP_2) | instid1(SALU_CYCLE_1)
	s_sub_co_i32 s35, s31, s26
	s_cmp_ge_u32 s31, s26
	s_cselect_b32 s26, s35, s31
	s_xor_b32 s26, s26, s34
	s_delay_alu instid0(SALU_CYCLE_1) | instskip(NEXT) | instid1(SALU_CYCLE_1)
	s_sub_co_i32 s34, s26, s34
	s_ashr_i32 s35, s34, 31
	s_wait_kmcnt 0x0
	s_mul_u64 s[24:25], s[24:25], s[34:35]
	s_delay_alu instid0(SALU_CYCLE_1)
	s_add_nc_u64 s[34:35], s[10:11], s[24:25]
.LBB9_2:
	s_bfe_u32 s10, ttmp6, 0x4000c
	v_dual_lshrrev_b32 v1, 10, v0 :: v_dual_mov_b32 v3, 0
	s_add_co_i32 s10, s10, 1
	s_and_b32 s11, ttmp6, 15
	s_mul_i32 s10, ttmp9, s10
	s_delay_alu instid0(VALU_DEP_1)
	v_bfe_u32 v1, v1, 2, 8
	s_add_co_i32 s11, s11, s10
	s_cmp_eq_u32 s27, 0
	s_load_b96 s[24:26], s[0:1], 0x70
	s_cselect_b32 s10, ttmp9, s11
	v_bfe_u32 v16, v0, 10, 10
	v_lshl_add_u32 v78, s10, 1, v1
	v_dual_mov_b32 v29, v3 :: v_dual_mov_b32 v7, v3
	v_mov_b32_e32 v11, v3
	s_delay_alu instid0(VALU_DEP_3) | instskip(NEXT) | instid1(VALU_DEP_1)
	v_mul_hi_u32 v1, s20, v78
	v_add_nc_u32_e32 v1, v78, v1
	s_wait_kmcnt 0x0
	s_mul_i32 s20, s33, s25
	s_ashr_i32 s41, s25, 31
	s_mov_b32 s40, s25
	s_ashr_i32 s25, s24, 31
	v_lshrrev_b32_e32 v1, s21, v1
	s_lshr_b64 s[24:25], s[24:25], 2
	s_ashr_i32 s21, s20, 31
	s_delay_alu instid0(VALU_DEP_1) | instskip(NEXT) | instid1(VALU_DEP_1)
	v_mul_lo_u32 v1, v1, s22
	v_dual_sub_nc_u32 v2, v78, v1 :: v_dual_lshlrev_b32 v1, 1, v16
	s_delay_alu instid0(VALU_DEP_1) | instskip(NEXT) | instid1(VALU_DEP_2)
	v_mul_u64_e32 v[4:5], s[24:25], v[2:3]
	v_and_b32_e32 v28, 6, v1
	v_bitop3_b32 v6, v1, 7, 1 bitop3:0xc8
	s_lshr_b64 s[24:25], s[40:41], 2
	s_delay_alu instid0(VALU_DEP_2) | instid1(SALU_CYCLE_1)
	v_mul_u64_e32 v[8:9], s[24:25], v[28:29]
	s_delay_alu instid0(VALU_DEP_2)
	v_mul_u64_e32 v[6:7], s[24:25], v[6:7]
	s_mul_i32 s24, s28, s26
	v_and_b32_e32 v29, 0x3ff, v0
	s_ashr_i32 s25, s24, 31
	v_lshlrev_b32_e32 v0, 9, v16
	s_add_nc_u64 s[4:5], s[4:5], s[24:25]
	s_cmp_eq_u64 s[14:15], 0
	s_add_nc_u64 s[4:5], s[4:5], s[20:21]
	v_dual_lshlrev_b32 v10, 4, v29 :: v_dual_lshlrev_b32 v80, 3, v29
	s_delay_alu instid0(VALU_DEP_1) | instskip(SKIP_2) | instid1(VALU_DEP_1)
	v_add_nc_u32_e32 v3, 0x9800, v80
	v_lshl_add_u64 v[4:5], v[4:5], 2, s[4:5]
	s_load_b32 s4, s[0:1], 0x40
	v_add_nc_u64_e32 v[4:5], v[4:5], v[10:11]
	s_delay_alu instid0(VALU_DEP_1)
	v_lshl_add_u64 v[12:13], v[8:9], 2, v[4:5]
	v_lshl_add_u64 v[14:15], v[6:7], 2, v[4:5]
	s_clause 0x1
	global_load_b128 v[4:7], v[12:13], off
	global_load_b128 v[8:11], v[14:15], off
	s_wait_xcnt 0x1
	v_or_b32_e32 v12, 1, v1
	s_wait_loadcnt 0x1
	s_wait_kmcnt 0x0
	v_fma_mixlo_f16 v4, s4, v4, 0
	v_fma_mixlo_f16 v5, s4, v5, 0
	;; [unrolled: 1-line block ×3, first 2 shown]
	s_wait_loadcnt 0x0
	v_fma_mixlo_f16 v8, s4, v8, 0
	v_fma_mixlo_f16 v9, s4, v9, 0
	v_dual_add_nc_u32 v13, v3, v0 :: v_dual_lshlrev_b32 v5, 16, v5
	v_fma_mixlo_f16 v6, s4, v6, 0
	v_fma_mixlo_f16 v11, s4, v11, 0
	v_and_b32_e32 v4, 0xffff, v4
	v_fma_mixlo_f16 v10, s4, v10, 0
	v_dual_lshlrev_b32 v7, 16, v7 :: v_dual_lshlrev_b32 v9, 16, v9
	v_and_b32_e32 v8, 0xffff, v8
	v_and_b32_e32 v6, 0xffff, v6
	v_dual_lshlrev_b32 v11, 16, v11 :: v_dual_bitop2_b32 v4, v5, v4 bitop3:0x54
	v_and_b32_e32 v10, 0xffff, v10
	s_delay_alu instid0(VALU_DEP_4) | instskip(NEXT) | instid1(VALU_DEP_4)
	v_or_b32_e32 v8, v9, v8
	v_or3_b32 v5, v7, v6, 0
	v_lshl_add_u32 v3, v12, 8, v3
	v_or3_b32 v4, 0, 0, v4
	v_or3_b32 v7, v11, v10, 0
	;; [unrolled: 1-line block ×3, first 2 shown]
	ds_store_b64 v13, v[4:5]
	ds_store_b64 v3, v[6:7]
	s_wait_dscnt 0x0
	s_barrier_signal -1
	s_barrier_wait -1
	s_cbranch_scc1 .LBB9_4
; %bb.3:
	s_load_b32 s4, s[0:1], 0xd0
	s_wait_kmcnt 0x0
	s_mul_i32 s4, s4, s28
	s_delay_alu instid0(SALU_CYCLE_1)
	s_add_co_i32 s4, s4, s10
	s_load_b32 s30, s[14:15], s4 offset:0x0 scale_offset
.LBB9_4:
	s_wait_xcnt 0x0
	s_bfe_u32 s4, ttmp6, 0x40010
	s_and_b32 s5, ttmp7, 0xffff
	s_add_co_i32 s4, s4, 1
	s_bfe_u32 s10, ttmp6, 0x40004
	s_mul_i32 s4, s5, s4
	v_mbcnt_lo_u32_b32 v81, -1, 0
	s_add_co_i32 s10, s10, s4
	s_cmp_eq_u32 s27, 0
	s_mov_b32 s4, 0
	s_cselect_b32 s31, s5, s10
	s_delay_alu instid0(SALU_CYCLE_1)
	s_lshl_b32 s10, s31, 7
	s_wait_kmcnt 0x0
	s_cmp_lt_i32 s10, s30
	s_cbranch_scc1 .LBB9_7
; %bb.5:
	v_mbcnt_lo_u32_b32 v3, -1, 0
	s_delay_alu instid0(VALU_DEP_1)
	v_dual_mov_b32 v82, 32 :: v_dual_bitop2_b32 v90, 16, v3 bitop3:0x14
	v_xor_b32_e32 v87, 8, v3
	v_xor_b32_e32 v86, 4, v3
	;; [unrolled: 1-line block ×3, first 2 shown]
	v_dual_lshlrev_b32 v79, 2, v29 :: v_dual_bitop2_b32 v83, 1, v3 bitop3:0x14
	s_and_not1_b32 vcc_lo, exec_lo, s4
	s_cbranch_vccz .LBB9_8
; %bb.6:
	v_dual_mov_b32 v67, 0xfeffffff :: v_dual_mov_b32 v124, 0
	v_dual_mov_b32 v55, 0 :: v_dual_mov_b32 v123, 0
	;; [unrolled: 1-line block ×3, first 2 shown]
	s_delay_alu instid0(VALU_DEP_2)
	v_dual_mov_b32 v66, v67 :: v_dual_mov_b32 v54, v55
	s_branch .LBB9_11
.LBB9_7:
                                        ; implicit-def: $vgpr3
                                        ; implicit-def: $vgpr82
                                        ; implicit-def: $vgpr90
                                        ; implicit-def: $vgpr87
                                        ; implicit-def: $vgpr86
                                        ; implicit-def: $vgpr85
                                        ; implicit-def: $vgpr83
	v_lshlrev_b32_e32 v79, 2, v29
.LBB9_8:
	s_clause 0x1
	s_load_b64 s[4:5], s[0:1], 0x8c
	s_load_b128 s[24:27], s[0:1], 0x98
	s_mul_f32 s11, s2, 0x4f7ffffe
	s_sub_co_i32 s14, 0, s38
	s_abs_i32 s2, s33
	s_mov_b32 s15, s3
	s_cvt_u32_f32 s11, s11
	s_ashr_i32 s20, s33, 31
	s_ashr_i32 s21, s29, 31
	;; [unrolled: 1-line block ×3, first 2 shown]
	s_mul_i32 s14, s14, s11
	s_ashr_i32 s29, s28, 31
	s_mul_hi_u32 s14, s11, s14
	v_mad_u32 v96, v2, s36, v29
	s_add_co_i32 s14, s11, s14
	s_xor_b32 s11, s20, s21
	s_mul_u64 s[14:15], s[2:3], s[14:15]
	v_mul_u32_u24_e32 v94, 0x110, v29
	s_mul_i32 s3, s15, s38
	s_add_co_i32 s21, s15, 1
	s_sub_co_i32 s37, s2, s3
	s_wait_kmcnt 0x0
	s_ashr_i32 s14, s26, 2
	s_ashr_i32 s20, s4, 2
	s_sub_co_i32 s4, s37, s38
	s_cmp_ge_u32 s37, s38
	s_load_b64 s[2:3], s[0:1], 0xa8
	s_cselect_b32 s15, s21, s15
	s_cselect_b32 s4, s4, s37
	s_add_co_i32 s21, s15, 1
	s_cmp_ge_u32 s4, s38
	s_mul_u64 s[24:25], s[24:25], s[28:29]
	s_cselect_b32 s4, s21, s15
	s_lshl_b32 s15, s20, 4
	v_dual_lshrrev_b32 v3, 4, v29 :: v_dual_bitop2_b32 v4, 60, v79 bitop3:0x40
	s_xor_b32 s4, s4, s11
	v_xor_b32_e32 v86, 4, v81
	s_sub_co_i32 s11, s4, s11
	s_delay_alu instid0(VALU_DEP_2)
	v_add_nc_u32_e32 v1, v3, v1
	s_mul_i32 s26, s11, s27
	s_mul_i32 s4, s11, s5
	s_ashr_i32 s27, s26, 31
	v_dual_lshlrev_b32 v42, 2, v4 :: v_dual_bitop2_b32 v90, 16, v81 bitop3:0x14
	v_mul_lo_u32 v30, s20, v1
	v_mul_lo_u32 v38, s14, v1
	s_wait_kmcnt 0x0
	s_mul_u64 s[2:3], s[2:3], s[28:29]
	v_xor_b32_e32 v85, 2, v81
	s_add_nc_u64 s[2:3], s[8:9], s[2:3]
	v_xor_b32_e32 v83, 1, v81
	s_add_nc_u64 s[26:27], s[2:3], s[26:27]
	s_lshl_b32 s2, s14, 4
	v_add_nc_u32_e32 v106, 0x800, v80
	v_add_nc_u32_e32 v107, 0x1000, v80
	;; [unrolled: 1-line block ×3, first 2 shown]
	v_dual_mov_b32 v43, 0 :: v_dual_add_nc_u32 v32, s15, v30
	v_add_nc_u32_e32 v97, 0x8800, v0
	v_add_nc_u32_e32 v93, 0x9800, v0
	;; [unrolled: 1-line block ×3, first 2 shown]
	s_delay_alu instid0(VALU_DEP_4)
	v_add_nc_u32_e32 v34, s15, v32
	v_lshlrev_b32_e32 v3, 2, v4
	v_ashrrev_i32_e32 v33, 31, v32
	v_add_nc_u32_e32 v110, 0x2800, v80
	v_add_nc_u32_e32 v111, 0x3000, v80
	;; [unrolled: 1-line block ×3, first 2 shown]
	v_ashrrev_i32_e32 v31, 31, v30
	v_mad_u32_u24 v84, 0x110, v1, v3
	v_lshl_or_b32 v95, v1, 8, v3
	s_delay_alu instid0(VALU_DEP_4) | instskip(SKIP_1) | instid1(VALU_DEP_4)
	v_dual_ashrrev_i32 v35, 31, v34 :: v_dual_add_nc_u32 v40, s15, v36
	v_dual_add_nc_u32 v46, s2, v38 :: v_dual_ashrrev_i32 v37, 31, v36
	v_dual_mov_b32 v54, v43 :: v_dual_add_nc_u32 v89, 0x5500, v84
	s_delay_alu instid0(VALU_DEP_2) | instskip(SKIP_2) | instid1(VALU_DEP_3)
	v_dual_add_nc_u32 v44, s15, v40 :: v_dual_add_nc_u32 v50, s2, v46
	v_ashrrev_i32_e32 v41, 31, v40
	v_dual_mov_b32 v82, 32 :: v_dual_add_nc_u32 v91, 0x6600, v84
	v_dual_add_nc_u32 v48, s15, v44 :: v_dual_ashrrev_i32 v45, 31, v44
	s_delay_alu instid0(VALU_DEP_4) | instskip(SKIP_1) | instid1(VALU_DEP_3)
	v_add_nc_u32_e32 v56, s2, v50
	v_dual_mov_b32 v55, v43 :: v_dual_add_nc_u32 v92, 0x7700, v84
	v_dual_ashrrev_i32 v47, 31, v46 :: v_dual_add_nc_u32 v52, s15, v48
	v_ashrrev_i32_e32 v49, 31, v48
	s_delay_alu instid0(VALU_DEP_4) | instskip(SKIP_2) | instid1(VALU_DEP_3)
	v_dual_add_nc_u32 v58, s2, v56 :: v_dual_ashrrev_i32 v39, 31, v38
	v_dual_mov_b32 v66, 0xfeffffff :: v_dual_ashrrev_i32 v57, 31, v56
	v_add_nc_u32_e32 v88, 0x4400, v84
	v_add_nc_u32_e32 v60, s2, v58
	v_ashrrev_i32_e32 v51, 31, v50
	v_dual_ashrrev_i32 v59, 31, v58 :: v_dual_ashrrev_i32 v53, 31, v52
	v_dual_mov_b32 v121, v43 :: v_dual_add_nc_u32 v98, 0x1000, v95
	s_delay_alu instid0(VALU_DEP_4) | instskip(SKIP_3) | instid1(VALU_DEP_4)
	v_add_nc_u32_e32 v62, s2, v60
	v_add_nc_u32_e32 v99, 0x2000, v95
	v_dual_mov_b32 v123, v43 :: v_dual_add_nc_u32 v100, 0x3000, v95
	v_add_nc_u32_e32 v101, 0x4000, v95
	v_dual_add_nc_u32 v64, s2, v62 :: v_dual_ashrrev_i32 v61, 31, v60
	v_add_nc_u32_e32 v102, 0x5000, v95
	v_dual_ashrrev_i32 v63, 31, v62 :: v_dual_mov_b32 v67, v66
	s_delay_alu instid0(VALU_DEP_3)
	v_ashrrev_i32_e32 v65, 31, v64
	v_add_nc_u32_e32 v103, 0x6000, v95
	v_add_nc_u32_e32 v104, 0x7000, v95
	;; [unrolled: 1-line block ×11, first 2 shown]
	v_dual_mov_b32 v122, v43 :: v_dual_mov_b32 v124, v43
	v_dual_add_nc_u32 v105, v97, v79 :: v_dual_bitop2_b32 v87, 8, v81 bitop3:0x14
	s_add_nc_u64 s[6:7], s[6:7], s[24:25]
	s_ashr_i32 s5, s4, 31
	s_ashr_i32 s21, s20, 31
	s_add_nc_u64 s[24:25], s[6:7], s[4:5]
	s_ashr_i32 s15, s14, 31
	s_add_nc_u64 s[36:37], s[0:1], 0xd0
.LBB9_9:                                ; =>This Inner Loop Header: Depth=1
	v_cmp_gt_i32_e32 vcc_lo, 32, v90
	v_mov_b32_e32 v27, v67
	s_ashr_i32 s11, s10, 31
	v_dual_add_nc_u32 v24, s10, v96 :: v_dual_mov_b32 v26, v66
	v_cndmask_b32_e32 v0, v81, v90, vcc_lo
	v_cmp_gt_i32_e32 vcc_lo, 32, v87
	s_mul_u64 s[2:3], s[10:11], s[20:21]
	v_add_nc_u32_e32 v125, 0x1100, v84
	s_lshl_b64 s[2:3], s[2:3], 2
	v_dual_mov_b32 v70, 0 :: v_dual_mov_b32 v71, 0
	v_cndmask_b32_e32 v1, v81, v87, vcc_lo
	v_cmp_gt_i32_e32 vcc_lo, 32, v86
	s_add_nc_u64 s[6:7], s[24:25], s[2:3]
	v_dual_mov_b32 v72, 0 :: v_dual_mov_b32 v73, 0
	v_lshl_add_u64 v[6:7], v[36:37], 2, s[6:7]
	v_cndmask_b32_e32 v2, v81, v86, vcc_lo
	v_cmp_gt_i32_e32 vcc_lo, 32, v85
	v_dual_lshlrev_b32 v69, 2, v0 :: v_dual_lshlrev_b32 v68, 2, v1
	v_lshl_add_u64 v[0:1], v[30:31], 2, s[6:7]
	v_lshl_add_u64 v[8:9], v[40:41], 2, s[6:7]
	v_cndmask_b32_e32 v3, v81, v85, vcc_lo
	v_cmp_gt_i32_e32 vcc_lo, 32, v83
	v_lshl_add_u64 v[10:11], v[44:45], 2, s[6:7]
	v_add_nc_u64_e32 v[126:127], v[0:1], v[42:43]
	v_add_nc_u64_e32 v[132:133], v[6:7], v[42:43]
	;; [unrolled: 1-line block ×3, first 2 shown]
	v_dual_cndmask_b32 v4, v81, v83 :: v_dual_lshlrev_b32 v67, 2, v2
	v_lshlrev_b32_e32 v66, 2, v3
	v_lshl_add_u64 v[2:3], v[32:33], 2, s[6:7]
	v_add_nc_u64_e32 v[136:137], v[10:11], v[42:43]
	s_delay_alu instid0(VALU_DEP_4)
	v_lshlrev_b32_e32 v25, 2, v4
	v_lshl_add_u64 v[4:5], v[34:35], 2, s[6:7]
	v_lshl_add_u64 v[12:13], v[48:49], 2, s[6:7]
	v_add_nc_u64_e32 v[128:129], v[2:3], v[42:43]
	v_lshl_add_u64 v[14:15], v[52:53], 2, s[6:7]
	v_dual_mov_b32 v74, 0 :: v_dual_mov_b32 v75, 0
	v_add_nc_u64_e32 v[130:131], v[4:5], v[42:43]
	s_clause 0x3
	global_load_b128 v[8:11], v[126:127], off
	global_load_b128 v[16:19], v[128:129], off
	;; [unrolled: 1-line block ×4, first 2 shown]
	v_add_nc_u64_e32 v[20:21], v[12:13], v[42:43]
	v_add_nc_u64_e32 v[22:23], v[14:15], v[42:43]
	v_dual_mov_b32 v76, 0 :: v_dual_mov_b32 v77, 0
	s_mul_u64 s[4:5], s[10:11], s[14:15]
	s_delay_alu instid0(SALU_CYCLE_1) | instskip(NEXT) | instid1(SALU_CYCLE_1)
	s_lshl_b64 s[4:5], s[4:5], 2
	s_add_nc_u64 s[2:3], s[26:27], s[4:5]
	s_wait_loadcnt 0x3
	ds_store_b128 v84, v[8:11]
	s_clause 0x1
	global_load_b128 v[8:11], v[134:135], off
	global_load_b128 v[12:15], v[136:137], off
	s_wait_loadcnt 0x4
	ds_store_b128 v125, v[16:19]
	s_clause 0x1
	global_load_b128 v[16:19], v[20:21], off
	global_load_b128 v[126:129], v[22:23], off
	s_wait_xcnt 0x1
	v_add_nc_u32_e32 v20, 0x2200, v84
	s_wait_loadcnt 0x5
	ds_store_b128 v20, v[4:7]
	v_add_nc_u32_e32 v4, 0x3300, v84
	s_wait_loadcnt 0x4
	ds_store_b128 v4, v[0:3]
	s_wait_loadcnt 0x3
	ds_store_b128 v88, v[8:11]
	;; [unrolled: 2-line block ×5, first 2 shown]
	s_wait_dscnt 0x0
	s_barrier_signal -1
	s_barrier_wait -1
	ds_load_b128 v[0:3], v94
	ds_load_b128 v[4:7], v93
	ds_load_b128 v[8:11], v93 offset:256
	ds_load_b128 v[12:15], v94 offset:8704
	;; [unrolled: 1-line block ×4, first 2 shown]
	s_wait_dscnt 0x4
	;;#ASMSTART
	v_dot2_f32_f16 v70, v0, v4, v70
	;;#ASMEND
	;;#ASMSTART
	v_dot2_f32_f16 v70, v1, v5, v70
	;;#ASMEND
	;;#ASMSTART
	v_dot2_f32_f16 v70, v2, v6, v70
	;;#ASMEND
	;;#ASMSTART
	v_dot2_f32_f16 v70, v3, v7, v70
	;;#ASMEND
	s_wait_dscnt 0x3
	;;#ASMSTART
	v_dot2_f32_f16 v71, v0, v8, v71
	;;#ASMEND
	;;#ASMSTART
	v_dot2_f32_f16 v71, v1, v9, v71
	;;#ASMEND
	;;#ASMSTART
	v_dot2_f32_f16 v71, v2, v10, v71
	;;#ASMEND
	;;#ASMSTART
	v_dot2_f32_f16 v71, v3, v11, v71
	;;#ASMEND
	;; [unrolled: 13-line block ×3, first 2 shown]
	;;#ASMSTART
	v_dot2_f32_f16 v73, v12, v8, v73
	;;#ASMEND
	;;#ASMSTART
	v_dot2_f32_f16 v73, v13, v9, v73
	;;#ASMEND
	;; [unrolled: 3-line block ×4, first 2 shown]
	s_wait_dscnt 0x1
	;;#ASMSTART
	v_dot2_f32_f16 v74, v16, v4, v74
	;;#ASMEND
	;;#ASMSTART
	v_dot2_f32_f16 v74, v17, v5, v74
	;;#ASMEND
	;; [unrolled: 3-line block ×8, first 2 shown]
	s_wait_dscnt 0x0
	;;#ASMSTART
	v_dot2_f32_f16 v76, v20, v4, v76
	;;#ASMEND
	;;#ASMSTART
	v_dot2_f32_f16 v76, v21, v5, v76
	;;#ASMEND
	;; [unrolled: 3-line block ×8, first 2 shown]
	ds_load_b128 v[0:3], v94 offset:16
	ds_load_b128 v[4:7], v93 offset:16
	;; [unrolled: 1-line block ×6, first 2 shown]
	s_wait_dscnt 0x4
	;;#ASMSTART
	v_dot2_f32_f16 v70, v0, v4, v70
	;;#ASMEND
	;;#ASMSTART
	v_dot2_f32_f16 v70, v1, v5, v70
	;;#ASMEND
	;;#ASMSTART
	v_dot2_f32_f16 v70, v2, v6, v70
	;;#ASMEND
	;;#ASMSTART
	v_dot2_f32_f16 v70, v3, v7, v70
	;;#ASMEND
	s_wait_dscnt 0x3
	;;#ASMSTART
	v_dot2_f32_f16 v71, v0, v8, v71
	;;#ASMEND
	;;#ASMSTART
	v_dot2_f32_f16 v71, v1, v9, v71
	;;#ASMEND
	;;#ASMSTART
	v_dot2_f32_f16 v71, v2, v10, v71
	;;#ASMEND
	;;#ASMSTART
	v_dot2_f32_f16 v71, v3, v11, v71
	;;#ASMEND
	;; [unrolled: 13-line block ×3, first 2 shown]
	;;#ASMSTART
	v_dot2_f32_f16 v73, v12, v8, v73
	;;#ASMEND
	;;#ASMSTART
	v_dot2_f32_f16 v73, v13, v9, v73
	;;#ASMEND
	;;#ASMSTART
	v_dot2_f32_f16 v73, v14, v10, v73
	;;#ASMEND
	;;#ASMSTART
	v_dot2_f32_f16 v73, v15, v11, v73
	;;#ASMEND
	s_wait_dscnt 0x1
	;;#ASMSTART
	v_dot2_f32_f16 v74, v16, v4, v74
	;;#ASMEND
	;;#ASMSTART
	v_dot2_f32_f16 v74, v17, v5, v74
	;;#ASMEND
	;; [unrolled: 3-line block ×8, first 2 shown]
	s_wait_dscnt 0x0
	;;#ASMSTART
	v_dot2_f32_f16 v76, v20, v4, v76
	;;#ASMEND
	;;#ASMSTART
	v_dot2_f32_f16 v76, v21, v5, v76
	;;#ASMEND
	;; [unrolled: 3-line block ×8, first 2 shown]
	ds_load_b128 v[0:3], v94 offset:32
	ds_load_b128 v[4:7], v93 offset:32
	ds_load_b128 v[8:11], v93 offset:288
	ds_load_b128 v[12:15], v94 offset:8736
	ds_load_b128 v[16:19], v94 offset:17440
	ds_load_b128 v[20:23], v94 offset:26144
	s_wait_dscnt 0x4
	;;#ASMSTART
	v_dot2_f32_f16 v70, v0, v4, v70
	;;#ASMEND
	;;#ASMSTART
	v_dot2_f32_f16 v70, v1, v5, v70
	;;#ASMEND
	;;#ASMSTART
	v_dot2_f32_f16 v70, v2, v6, v70
	;;#ASMEND
	;;#ASMSTART
	v_dot2_f32_f16 v70, v3, v7, v70
	;;#ASMEND
	s_wait_dscnt 0x3
	;;#ASMSTART
	v_dot2_f32_f16 v71, v0, v8, v71
	;;#ASMEND
	;;#ASMSTART
	v_dot2_f32_f16 v71, v1, v9, v71
	;;#ASMEND
	;;#ASMSTART
	v_dot2_f32_f16 v71, v2, v10, v71
	;;#ASMEND
	;;#ASMSTART
	v_dot2_f32_f16 v71, v3, v11, v71
	;;#ASMEND
	;; [unrolled: 13-line block ×3, first 2 shown]
	;;#ASMSTART
	v_dot2_f32_f16 v73, v12, v8, v73
	;;#ASMEND
	;;#ASMSTART
	v_dot2_f32_f16 v73, v13, v9, v73
	;;#ASMEND
	;; [unrolled: 3-line block ×4, first 2 shown]
	s_wait_dscnt 0x1
	;;#ASMSTART
	v_dot2_f32_f16 v74, v16, v4, v74
	;;#ASMEND
	;;#ASMSTART
	v_dot2_f32_f16 v74, v17, v5, v74
	;;#ASMEND
	;; [unrolled: 3-line block ×8, first 2 shown]
	s_wait_dscnt 0x0
	;;#ASMSTART
	v_dot2_f32_f16 v76, v20, v4, v76
	;;#ASMEND
	;;#ASMSTART
	v_dot2_f32_f16 v76, v21, v5, v76
	;;#ASMEND
	;; [unrolled: 3-line block ×8, first 2 shown]
	ds_load_b128 v[0:3], v94 offset:48
	ds_load_b128 v[4:7], v93 offset:48
	ds_load_b128 v[8:11], v93 offset:304
	ds_load_b128 v[12:15], v94 offset:8752
	ds_load_b128 v[16:19], v94 offset:17456
	ds_load_b128 v[20:23], v94 offset:26160
	s_wait_dscnt 0x4
	;;#ASMSTART
	v_dot2_f32_f16 v70, v0, v4, v70
	;;#ASMEND
	;;#ASMSTART
	v_dot2_f32_f16 v70, v1, v5, v70
	;;#ASMEND
	;;#ASMSTART
	v_dot2_f32_f16 v70, v2, v6, v70
	;;#ASMEND
	;;#ASMSTART
	v_dot2_f32_f16 v70, v3, v7, v70
	;;#ASMEND
	s_wait_dscnt 0x3
	;;#ASMSTART
	v_dot2_f32_f16 v71, v0, v8, v71
	;;#ASMEND
	;;#ASMSTART
	v_dot2_f32_f16 v71, v1, v9, v71
	;;#ASMEND
	;;#ASMSTART
	v_dot2_f32_f16 v71, v2, v10, v71
	;;#ASMEND
	;;#ASMSTART
	v_dot2_f32_f16 v71, v3, v11, v71
	;;#ASMEND
	;; [unrolled: 13-line block ×3, first 2 shown]
	;;#ASMSTART
	v_dot2_f32_f16 v73, v12, v8, v73
	;;#ASMEND
	;;#ASMSTART
	v_dot2_f32_f16 v73, v13, v9, v73
	;;#ASMEND
	;; [unrolled: 3-line block ×4, first 2 shown]
	s_wait_dscnt 0x1
	;;#ASMSTART
	v_dot2_f32_f16 v74, v16, v4, v74
	;;#ASMEND
	;;#ASMSTART
	v_dot2_f32_f16 v74, v17, v5, v74
	;;#ASMEND
	;; [unrolled: 3-line block ×8, first 2 shown]
	s_wait_dscnt 0x0
	;;#ASMSTART
	v_dot2_f32_f16 v76, v20, v4, v76
	;;#ASMEND
	;;#ASMSTART
	v_dot2_f32_f16 v76, v21, v5, v76
	;;#ASMEND
	;;#ASMSTART
	v_dot2_f32_f16 v76, v22, v6, v76
	;;#ASMEND
	;;#ASMSTART
	v_dot2_f32_f16 v76, v23, v7, v76
	;;#ASMEND
	;;#ASMSTART
	v_dot2_f32_f16 v77, v20, v8, v77
	;;#ASMEND
	;;#ASMSTART
	v_dot2_f32_f16 v77, v21, v9, v77
	;;#ASMEND
	;;#ASMSTART
	v_dot2_f32_f16 v77, v22, v10, v77
	;;#ASMEND
	;;#ASMSTART
	v_dot2_f32_f16 v77, v23, v11, v77
	;;#ASMEND
	ds_load_b128 v[0:3], v94 offset:64
	ds_load_b128 v[4:7], v93 offset:64
	;; [unrolled: 1-line block ×6, first 2 shown]
	s_wait_dscnt 0x4
	;;#ASMSTART
	v_dot2_f32_f16 v70, v0, v4, v70
	;;#ASMEND
	;;#ASMSTART
	v_dot2_f32_f16 v70, v1, v5, v70
	;;#ASMEND
	;;#ASMSTART
	v_dot2_f32_f16 v70, v2, v6, v70
	;;#ASMEND
	;;#ASMSTART
	v_dot2_f32_f16 v70, v3, v7, v70
	;;#ASMEND
	s_wait_dscnt 0x3
	;;#ASMSTART
	v_dot2_f32_f16 v71, v0, v8, v71
	;;#ASMEND
	;;#ASMSTART
	v_dot2_f32_f16 v71, v1, v9, v71
	;;#ASMEND
	;;#ASMSTART
	v_dot2_f32_f16 v71, v2, v10, v71
	;;#ASMEND
	;;#ASMSTART
	v_dot2_f32_f16 v71, v3, v11, v71
	;;#ASMEND
	s_wait_dscnt 0x2
	;;#ASMSTART
	v_dot2_f32_f16 v72, v12, v4, v72
	;;#ASMEND
	;;#ASMSTART
	v_dot2_f32_f16 v72, v13, v5, v72
	;;#ASMEND
	;;#ASMSTART
	v_dot2_f32_f16 v72, v14, v6, v72
	;;#ASMEND
	;;#ASMSTART
	v_dot2_f32_f16 v72, v15, v7, v72
	;;#ASMEND
	;;#ASMSTART
	v_dot2_f32_f16 v73, v12, v8, v73
	;;#ASMEND
	;;#ASMSTART
	v_dot2_f32_f16 v73, v13, v9, v73
	;;#ASMEND
	;; [unrolled: 3-line block ×4, first 2 shown]
	s_wait_dscnt 0x1
	;;#ASMSTART
	v_dot2_f32_f16 v74, v16, v4, v74
	;;#ASMEND
	;;#ASMSTART
	v_dot2_f32_f16 v74, v17, v5, v74
	;;#ASMEND
	;; [unrolled: 3-line block ×8, first 2 shown]
	s_wait_dscnt 0x0
	;;#ASMSTART
	v_dot2_f32_f16 v76, v20, v4, v76
	;;#ASMEND
	;;#ASMSTART
	v_dot2_f32_f16 v76, v21, v5, v76
	;;#ASMEND
	;; [unrolled: 3-line block ×8, first 2 shown]
	ds_load_b128 v[0:3], v94 offset:80
	ds_load_b128 v[4:7], v93 offset:80
	;; [unrolled: 1-line block ×6, first 2 shown]
	s_wait_dscnt 0x4
	;;#ASMSTART
	v_dot2_f32_f16 v70, v0, v4, v70
	;;#ASMEND
	;;#ASMSTART
	v_dot2_f32_f16 v70, v1, v5, v70
	;;#ASMEND
	;;#ASMSTART
	v_dot2_f32_f16 v70, v2, v6, v70
	;;#ASMEND
	;;#ASMSTART
	v_dot2_f32_f16 v70, v3, v7, v70
	;;#ASMEND
	s_wait_dscnt 0x3
	;;#ASMSTART
	v_dot2_f32_f16 v71, v0, v8, v71
	;;#ASMEND
	;;#ASMSTART
	v_dot2_f32_f16 v71, v1, v9, v71
	;;#ASMEND
	;;#ASMSTART
	v_dot2_f32_f16 v71, v2, v10, v71
	;;#ASMEND
	;;#ASMSTART
	v_dot2_f32_f16 v71, v3, v11, v71
	;;#ASMEND
	s_wait_dscnt 0x2
	;;#ASMSTART
	v_dot2_f32_f16 v72, v12, v4, v72
	;;#ASMEND
	;;#ASMSTART
	v_dot2_f32_f16 v72, v13, v5, v72
	;;#ASMEND
	;;#ASMSTART
	v_dot2_f32_f16 v72, v14, v6, v72
	;;#ASMEND
	;;#ASMSTART
	v_dot2_f32_f16 v72, v15, v7, v72
	;;#ASMEND
	;;#ASMSTART
	v_dot2_f32_f16 v73, v12, v8, v73
	;;#ASMEND
	;;#ASMSTART
	v_dot2_f32_f16 v73, v13, v9, v73
	;;#ASMEND
	;; [unrolled: 3-line block ×4, first 2 shown]
	s_wait_dscnt 0x1
	;;#ASMSTART
	v_dot2_f32_f16 v74, v16, v4, v74
	;;#ASMEND
	;;#ASMSTART
	v_dot2_f32_f16 v74, v17, v5, v74
	;;#ASMEND
	;; [unrolled: 3-line block ×8, first 2 shown]
	s_wait_dscnt 0x0
	;;#ASMSTART
	v_dot2_f32_f16 v76, v20, v4, v76
	;;#ASMEND
	;;#ASMSTART
	v_dot2_f32_f16 v76, v21, v5, v76
	;;#ASMEND
	;; [unrolled: 3-line block ×8, first 2 shown]
	ds_load_b128 v[0:3], v94 offset:96
	ds_load_b128 v[4:7], v93 offset:96
	;; [unrolled: 1-line block ×6, first 2 shown]
	s_wait_dscnt 0x4
	;;#ASMSTART
	v_dot2_f32_f16 v70, v0, v4, v70
	;;#ASMEND
	;;#ASMSTART
	v_dot2_f32_f16 v70, v1, v5, v70
	;;#ASMEND
	;;#ASMSTART
	v_dot2_f32_f16 v70, v2, v6, v70
	;;#ASMEND
	;;#ASMSTART
	v_dot2_f32_f16 v70, v3, v7, v70
	;;#ASMEND
	s_wait_dscnt 0x3
	;;#ASMSTART
	v_dot2_f32_f16 v71, v0, v8, v71
	;;#ASMEND
	;;#ASMSTART
	v_dot2_f32_f16 v71, v1, v9, v71
	;;#ASMEND
	;;#ASMSTART
	v_dot2_f32_f16 v71, v2, v10, v71
	;;#ASMEND
	;;#ASMSTART
	v_dot2_f32_f16 v71, v3, v11, v71
	;;#ASMEND
	;; [unrolled: 13-line block ×3, first 2 shown]
	;;#ASMSTART
	v_dot2_f32_f16 v73, v12, v8, v73
	;;#ASMEND
	;;#ASMSTART
	v_dot2_f32_f16 v73, v13, v9, v73
	;;#ASMEND
	;; [unrolled: 3-line block ×4, first 2 shown]
	s_wait_dscnt 0x1
	;;#ASMSTART
	v_dot2_f32_f16 v74, v16, v4, v74
	;;#ASMEND
	;;#ASMSTART
	v_dot2_f32_f16 v74, v17, v5, v74
	;;#ASMEND
	;; [unrolled: 3-line block ×8, first 2 shown]
	s_wait_dscnt 0x0
	;;#ASMSTART
	v_dot2_f32_f16 v76, v20, v4, v76
	;;#ASMEND
	;;#ASMSTART
	v_dot2_f32_f16 v76, v21, v5, v76
	;;#ASMEND
	;; [unrolled: 3-line block ×8, first 2 shown]
	ds_load_b128 v[0:3], v94 offset:112
	ds_load_b128 v[4:7], v93 offset:112
	;; [unrolled: 1-line block ×6, first 2 shown]
	s_wait_dscnt 0x4
	;;#ASMSTART
	v_dot2_f32_f16 v70, v0, v4, v70
	;;#ASMEND
	;;#ASMSTART
	v_dot2_f32_f16 v70, v1, v5, v70
	;;#ASMEND
	;;#ASMSTART
	v_dot2_f32_f16 v70, v2, v6, v70
	;;#ASMEND
	;;#ASMSTART
	v_dot2_f32_f16 v70, v3, v7, v70
	;;#ASMEND
	s_wait_dscnt 0x3
	;;#ASMSTART
	v_dot2_f32_f16 v71, v0, v8, v71
	;;#ASMEND
	;;#ASMSTART
	v_dot2_f32_f16 v71, v1, v9, v71
	;;#ASMEND
	;;#ASMSTART
	v_dot2_f32_f16 v71, v2, v10, v71
	;;#ASMEND
	;;#ASMSTART
	v_dot2_f32_f16 v71, v3, v11, v71
	;;#ASMEND
	;; [unrolled: 13-line block ×3, first 2 shown]
	;;#ASMSTART
	v_dot2_f32_f16 v73, v12, v8, v73
	;;#ASMEND
	;;#ASMSTART
	v_dot2_f32_f16 v73, v13, v9, v73
	;;#ASMEND
	;; [unrolled: 3-line block ×4, first 2 shown]
	s_wait_dscnt 0x1
	;;#ASMSTART
	v_dot2_f32_f16 v74, v16, v4, v74
	;;#ASMEND
	;;#ASMSTART
	v_dot2_f32_f16 v74, v17, v5, v74
	;;#ASMEND
	;; [unrolled: 3-line block ×8, first 2 shown]
	s_wait_dscnt 0x0
	;;#ASMSTART
	v_dot2_f32_f16 v76, v20, v4, v76
	;;#ASMEND
	;;#ASMSTART
	v_dot2_f32_f16 v76, v21, v5, v76
	;;#ASMEND
	;; [unrolled: 3-line block ×8, first 2 shown]
	ds_load_b128 v[0:3], v94 offset:128
	ds_load_b128 v[4:7], v93 offset:128
	;; [unrolled: 1-line block ×6, first 2 shown]
	s_wait_dscnt 0x4
	;;#ASMSTART
	v_dot2_f32_f16 v70, v0, v4, v70
	;;#ASMEND
	;;#ASMSTART
	v_dot2_f32_f16 v70, v1, v5, v70
	;;#ASMEND
	;;#ASMSTART
	v_dot2_f32_f16 v70, v2, v6, v70
	;;#ASMEND
	;;#ASMSTART
	v_dot2_f32_f16 v70, v3, v7, v70
	;;#ASMEND
	s_wait_dscnt 0x3
	;;#ASMSTART
	v_dot2_f32_f16 v71, v0, v8, v71
	;;#ASMEND
	;;#ASMSTART
	v_dot2_f32_f16 v71, v1, v9, v71
	;;#ASMEND
	;;#ASMSTART
	v_dot2_f32_f16 v71, v2, v10, v71
	;;#ASMEND
	;;#ASMSTART
	v_dot2_f32_f16 v71, v3, v11, v71
	;;#ASMEND
	s_wait_dscnt 0x2
	;;#ASMSTART
	v_dot2_f32_f16 v72, v12, v4, v72
	;;#ASMEND
	;;#ASMSTART
	v_dot2_f32_f16 v72, v13, v5, v72
	;;#ASMEND
	;;#ASMSTART
	v_dot2_f32_f16 v72, v14, v6, v72
	;;#ASMEND
	;;#ASMSTART
	v_dot2_f32_f16 v72, v15, v7, v72
	;;#ASMEND
	;;#ASMSTART
	v_dot2_f32_f16 v73, v12, v8, v73
	;;#ASMEND
	;;#ASMSTART
	v_dot2_f32_f16 v73, v13, v9, v73
	;;#ASMEND
	;; [unrolled: 3-line block ×4, first 2 shown]
	s_wait_dscnt 0x1
	;;#ASMSTART
	v_dot2_f32_f16 v74, v16, v4, v74
	;;#ASMEND
	;;#ASMSTART
	v_dot2_f32_f16 v74, v17, v5, v74
	;;#ASMEND
	;; [unrolled: 3-line block ×8, first 2 shown]
	s_wait_dscnt 0x0
	;;#ASMSTART
	v_dot2_f32_f16 v76, v20, v4, v76
	;;#ASMEND
	;;#ASMSTART
	v_dot2_f32_f16 v76, v21, v5, v76
	;;#ASMEND
	;; [unrolled: 3-line block ×8, first 2 shown]
	ds_load_b128 v[0:3], v94 offset:144
	ds_load_b128 v[4:7], v93 offset:144
	;; [unrolled: 1-line block ×6, first 2 shown]
	s_wait_dscnt 0x4
	;;#ASMSTART
	v_dot2_f32_f16 v70, v0, v4, v70
	;;#ASMEND
	;;#ASMSTART
	v_dot2_f32_f16 v70, v1, v5, v70
	;;#ASMEND
	;;#ASMSTART
	v_dot2_f32_f16 v70, v2, v6, v70
	;;#ASMEND
	;;#ASMSTART
	v_dot2_f32_f16 v70, v3, v7, v70
	;;#ASMEND
	s_wait_dscnt 0x3
	;;#ASMSTART
	v_dot2_f32_f16 v71, v0, v8, v71
	;;#ASMEND
	;;#ASMSTART
	v_dot2_f32_f16 v71, v1, v9, v71
	;;#ASMEND
	;;#ASMSTART
	v_dot2_f32_f16 v71, v2, v10, v71
	;;#ASMEND
	;;#ASMSTART
	v_dot2_f32_f16 v71, v3, v11, v71
	;;#ASMEND
	;; [unrolled: 13-line block ×3, first 2 shown]
	;;#ASMSTART
	v_dot2_f32_f16 v73, v12, v8, v73
	;;#ASMEND
	;;#ASMSTART
	v_dot2_f32_f16 v73, v13, v9, v73
	;;#ASMEND
	;; [unrolled: 3-line block ×4, first 2 shown]
	s_wait_dscnt 0x1
	;;#ASMSTART
	v_dot2_f32_f16 v74, v16, v4, v74
	;;#ASMEND
	;;#ASMSTART
	v_dot2_f32_f16 v74, v17, v5, v74
	;;#ASMEND
	;; [unrolled: 3-line block ×8, first 2 shown]
	s_wait_dscnt 0x0
	;;#ASMSTART
	v_dot2_f32_f16 v76, v20, v4, v76
	;;#ASMEND
	;;#ASMSTART
	v_dot2_f32_f16 v76, v21, v5, v76
	;;#ASMEND
	;; [unrolled: 3-line block ×8, first 2 shown]
	ds_load_b128 v[0:3], v94 offset:160
	ds_load_b128 v[4:7], v93 offset:160
	;; [unrolled: 1-line block ×6, first 2 shown]
	s_wait_dscnt 0x4
	;;#ASMSTART
	v_dot2_f32_f16 v70, v0, v4, v70
	;;#ASMEND
	;;#ASMSTART
	v_dot2_f32_f16 v70, v1, v5, v70
	;;#ASMEND
	;;#ASMSTART
	v_dot2_f32_f16 v70, v2, v6, v70
	;;#ASMEND
	;;#ASMSTART
	v_dot2_f32_f16 v70, v3, v7, v70
	;;#ASMEND
	s_wait_dscnt 0x3
	;;#ASMSTART
	v_dot2_f32_f16 v71, v0, v8, v71
	;;#ASMEND
	;;#ASMSTART
	v_dot2_f32_f16 v71, v1, v9, v71
	;;#ASMEND
	;;#ASMSTART
	v_dot2_f32_f16 v71, v2, v10, v71
	;;#ASMEND
	;;#ASMSTART
	v_dot2_f32_f16 v71, v3, v11, v71
	;;#ASMEND
	;; [unrolled: 13-line block ×3, first 2 shown]
	;;#ASMSTART
	v_dot2_f32_f16 v73, v12, v8, v73
	;;#ASMEND
	;;#ASMSTART
	v_dot2_f32_f16 v73, v13, v9, v73
	;;#ASMEND
	;; [unrolled: 3-line block ×4, first 2 shown]
	s_wait_dscnt 0x1
	;;#ASMSTART
	v_dot2_f32_f16 v74, v16, v4, v74
	;;#ASMEND
	;;#ASMSTART
	v_dot2_f32_f16 v74, v17, v5, v74
	;;#ASMEND
	;; [unrolled: 3-line block ×8, first 2 shown]
	s_wait_dscnt 0x0
	;;#ASMSTART
	v_dot2_f32_f16 v76, v20, v4, v76
	;;#ASMEND
	;;#ASMSTART
	v_dot2_f32_f16 v76, v21, v5, v76
	;;#ASMEND
	;; [unrolled: 3-line block ×8, first 2 shown]
	ds_load_b128 v[0:3], v94 offset:176
	ds_load_b128 v[4:7], v93 offset:176
	ds_load_b128 v[8:11], v93 offset:432
	ds_load_b128 v[12:15], v94 offset:8880
	ds_load_b128 v[16:19], v94 offset:17584
	ds_load_b128 v[20:23], v94 offset:26288
	s_wait_dscnt 0x4
	;;#ASMSTART
	v_dot2_f32_f16 v70, v0, v4, v70
	;;#ASMEND
	;;#ASMSTART
	v_dot2_f32_f16 v70, v1, v5, v70
	;;#ASMEND
	;;#ASMSTART
	v_dot2_f32_f16 v70, v2, v6, v70
	;;#ASMEND
	;;#ASMSTART
	v_dot2_f32_f16 v70, v3, v7, v70
	;;#ASMEND
	s_wait_dscnt 0x3
	;;#ASMSTART
	v_dot2_f32_f16 v71, v0, v8, v71
	;;#ASMEND
	;;#ASMSTART
	v_dot2_f32_f16 v71, v1, v9, v71
	;;#ASMEND
	;;#ASMSTART
	v_dot2_f32_f16 v71, v2, v10, v71
	;;#ASMEND
	;;#ASMSTART
	v_dot2_f32_f16 v71, v3, v11, v71
	;;#ASMEND
	;; [unrolled: 13-line block ×3, first 2 shown]
	;;#ASMSTART
	v_dot2_f32_f16 v73, v12, v8, v73
	;;#ASMEND
	;;#ASMSTART
	v_dot2_f32_f16 v73, v13, v9, v73
	;;#ASMEND
	;; [unrolled: 3-line block ×4, first 2 shown]
	s_wait_dscnt 0x1
	;;#ASMSTART
	v_dot2_f32_f16 v74, v16, v4, v74
	;;#ASMEND
	;;#ASMSTART
	v_dot2_f32_f16 v74, v17, v5, v74
	;;#ASMEND
	;; [unrolled: 3-line block ×8, first 2 shown]
	s_wait_dscnt 0x0
	;;#ASMSTART
	v_dot2_f32_f16 v76, v20, v4, v76
	;;#ASMEND
	;;#ASMSTART
	v_dot2_f32_f16 v76, v21, v5, v76
	;;#ASMEND
	;; [unrolled: 3-line block ×8, first 2 shown]
	ds_load_b128 v[0:3], v94 offset:192
	ds_load_b128 v[4:7], v93 offset:192
	;; [unrolled: 1-line block ×6, first 2 shown]
	s_wait_dscnt 0x4
	;;#ASMSTART
	v_dot2_f32_f16 v70, v0, v4, v70
	;;#ASMEND
	;;#ASMSTART
	v_dot2_f32_f16 v70, v1, v5, v70
	;;#ASMEND
	;;#ASMSTART
	v_dot2_f32_f16 v70, v2, v6, v70
	;;#ASMEND
	;;#ASMSTART
	v_dot2_f32_f16 v70, v3, v7, v70
	;;#ASMEND
	s_wait_dscnt 0x3
	;;#ASMSTART
	v_dot2_f32_f16 v71, v0, v8, v71
	;;#ASMEND
	;;#ASMSTART
	v_dot2_f32_f16 v71, v1, v9, v71
	;;#ASMEND
	;;#ASMSTART
	v_dot2_f32_f16 v71, v2, v10, v71
	;;#ASMEND
	;;#ASMSTART
	v_dot2_f32_f16 v71, v3, v11, v71
	;;#ASMEND
	;; [unrolled: 13-line block ×3, first 2 shown]
	;;#ASMSTART
	v_dot2_f32_f16 v73, v12, v8, v73
	;;#ASMEND
	;;#ASMSTART
	v_dot2_f32_f16 v73, v13, v9, v73
	;;#ASMEND
	;; [unrolled: 3-line block ×4, first 2 shown]
	s_wait_dscnt 0x1
	;;#ASMSTART
	v_dot2_f32_f16 v74, v16, v4, v74
	;;#ASMEND
	;;#ASMSTART
	v_dot2_f32_f16 v74, v17, v5, v74
	;;#ASMEND
	;;#ASMSTART
	v_dot2_f32_f16 v74, v18, v6, v74
	;;#ASMEND
	;;#ASMSTART
	v_dot2_f32_f16 v74, v19, v7, v74
	;;#ASMEND
	;;#ASMSTART
	v_dot2_f32_f16 v75, v16, v8, v75
	;;#ASMEND
	;;#ASMSTART
	v_dot2_f32_f16 v75, v17, v9, v75
	;;#ASMEND
	;;#ASMSTART
	v_dot2_f32_f16 v75, v18, v10, v75
	;;#ASMEND
	;;#ASMSTART
	v_dot2_f32_f16 v75, v19, v11, v75
	;;#ASMEND
	s_wait_dscnt 0x0
	;;#ASMSTART
	v_dot2_f32_f16 v76, v20, v4, v76
	;;#ASMEND
	;;#ASMSTART
	v_dot2_f32_f16 v76, v21, v5, v76
	;;#ASMEND
	;; [unrolled: 3-line block ×8, first 2 shown]
	ds_load_b128 v[0:3], v94 offset:208
	ds_load_b128 v[4:7], v93 offset:208
	;; [unrolled: 1-line block ×6, first 2 shown]
	s_wait_dscnt 0x4
	;;#ASMSTART
	v_dot2_f32_f16 v70, v0, v4, v70
	;;#ASMEND
	;;#ASMSTART
	v_dot2_f32_f16 v70, v1, v5, v70
	;;#ASMEND
	;;#ASMSTART
	v_dot2_f32_f16 v70, v2, v6, v70
	;;#ASMEND
	;;#ASMSTART
	v_dot2_f32_f16 v70, v3, v7, v70
	;;#ASMEND
	s_wait_dscnt 0x3
	;;#ASMSTART
	v_dot2_f32_f16 v71, v0, v8, v71
	;;#ASMEND
	;;#ASMSTART
	v_dot2_f32_f16 v71, v1, v9, v71
	;;#ASMEND
	;;#ASMSTART
	v_dot2_f32_f16 v71, v2, v10, v71
	;;#ASMEND
	;;#ASMSTART
	v_dot2_f32_f16 v71, v3, v11, v71
	;;#ASMEND
	;; [unrolled: 13-line block ×3, first 2 shown]
	;;#ASMSTART
	v_dot2_f32_f16 v73, v12, v8, v73
	;;#ASMEND
	;;#ASMSTART
	v_dot2_f32_f16 v73, v13, v9, v73
	;;#ASMEND
	;; [unrolled: 3-line block ×4, first 2 shown]
	s_wait_dscnt 0x1
	;;#ASMSTART
	v_dot2_f32_f16 v74, v16, v4, v74
	;;#ASMEND
	;;#ASMSTART
	v_dot2_f32_f16 v74, v17, v5, v74
	;;#ASMEND
	;; [unrolled: 3-line block ×8, first 2 shown]
	s_wait_dscnt 0x0
	;;#ASMSTART
	v_dot2_f32_f16 v76, v20, v4, v76
	;;#ASMEND
	;;#ASMSTART
	v_dot2_f32_f16 v76, v21, v5, v76
	;;#ASMEND
	;; [unrolled: 3-line block ×8, first 2 shown]
	ds_load_b128 v[0:3], v94 offset:224
	ds_load_b128 v[4:7], v93 offset:224
	;; [unrolled: 1-line block ×6, first 2 shown]
	s_wait_dscnt 0x4
	;;#ASMSTART
	v_dot2_f32_f16 v70, v0, v4, v70
	;;#ASMEND
	;;#ASMSTART
	v_dot2_f32_f16 v70, v1, v5, v70
	;;#ASMEND
	;;#ASMSTART
	v_dot2_f32_f16 v70, v2, v6, v70
	;;#ASMEND
	;;#ASMSTART
	v_dot2_f32_f16 v70, v3, v7, v70
	;;#ASMEND
	s_wait_dscnt 0x3
	;;#ASMSTART
	v_dot2_f32_f16 v71, v0, v8, v71
	;;#ASMEND
	;;#ASMSTART
	v_dot2_f32_f16 v71, v1, v9, v71
	;;#ASMEND
	;;#ASMSTART
	v_dot2_f32_f16 v71, v2, v10, v71
	;;#ASMEND
	;;#ASMSTART
	v_dot2_f32_f16 v71, v3, v11, v71
	;;#ASMEND
	;; [unrolled: 13-line block ×3, first 2 shown]
	;;#ASMSTART
	v_dot2_f32_f16 v73, v12, v8, v73
	;;#ASMEND
	;;#ASMSTART
	v_dot2_f32_f16 v73, v13, v9, v73
	;;#ASMEND
	;; [unrolled: 3-line block ×4, first 2 shown]
	s_wait_dscnt 0x1
	;;#ASMSTART
	v_dot2_f32_f16 v74, v16, v4, v74
	;;#ASMEND
	;;#ASMSTART
	v_dot2_f32_f16 v74, v17, v5, v74
	;;#ASMEND
	;; [unrolled: 3-line block ×8, first 2 shown]
	s_wait_dscnt 0x0
	;;#ASMSTART
	v_dot2_f32_f16 v76, v20, v4, v76
	;;#ASMEND
	;;#ASMSTART
	v_dot2_f32_f16 v76, v21, v5, v76
	;;#ASMEND
	;; [unrolled: 3-line block ×8, first 2 shown]
	ds_load_b128 v[20:23], v94 offset:240
	ds_load_b128 v[8:11], v93 offset:240
	;; [unrolled: 1-line block ×6, first 2 shown]
	s_wait_dscnt 0x4
	;;#ASMSTART
	v_dot2_f32_f16 v70, v20, v8, v70
	;;#ASMEND
	;;#ASMSTART
	v_dot2_f32_f16 v70, v21, v9, v70
	;;#ASMEND
	;;#ASMSTART
	v_dot2_f32_f16 v70, v22, v10, v70
	;;#ASMEND
	;;#ASMSTART
	v_dot2_f32_f16 v70, v23, v11, v70
	;;#ASMEND
	s_wait_dscnt 0x3
	;;#ASMSTART
	v_dot2_f32_f16 v71, v20, v0, v71
	;;#ASMEND
	;;#ASMSTART
	v_dot2_f32_f16 v71, v21, v1, v71
	;;#ASMEND
	;;#ASMSTART
	v_dot2_f32_f16 v71, v22, v2, v71
	;;#ASMEND
	;;#ASMSTART
	v_dot2_f32_f16 v71, v23, v3, v71
	;;#ASMEND
	;; [unrolled: 13-line block ×3, first 2 shown]
	;;#ASMSTART
	v_dot2_f32_f16 v73, v16, v0, v73
	;;#ASMEND
	;;#ASMSTART
	v_dot2_f32_f16 v73, v17, v1, v73
	;;#ASMEND
	;; [unrolled: 3-line block ×4, first 2 shown]
	s_wait_dscnt 0x1
	;;#ASMSTART
	v_dot2_f32_f16 v74, v12, v8, v74
	;;#ASMEND
	;;#ASMSTART
	v_dot2_f32_f16 v74, v13, v9, v74
	;;#ASMEND
	;; [unrolled: 3-line block ×8, first 2 shown]
	s_wait_dscnt 0x0
	;;#ASMSTART
	v_dot2_f32_f16 v76, v4, v8, v76
	;;#ASMEND
	;;#ASMSTART
	v_dot2_f32_f16 v76, v5, v9, v76
	;;#ASMEND
	;; [unrolled: 3-line block ×8, first 2 shown]
	s_clause 0x3
	global_load_u16 v0, v24, s[34:35] scale_offset
	global_load_u16 v1, v24, s[34:35] offset:64 scale_offset
	global_load_u16 v2, v24, s[34:35] offset:128 scale_offset
	;; [unrolled: 1-line block ×3, first 2 shown]
	v_lshl_add_u64 v[20:21], v[38:39], 2, s[2:3]
	v_lshl_add_u64 v[22:23], v[46:47], 2, s[2:3]
	s_wait_loadcnt 0x0
	s_barrier_signal -1
	s_barrier_wait -1
	v_lshl_add_u64 v[16:17], v[50:51], 2, s[2:3]
	v_lshl_add_u64 v[14:15], v[60:61], 2, s[2:3]
	;; [unrolled: 1-line block ×4, first 2 shown]
	s_delay_alu instid0(VALU_DEP_1) | instskip(SKIP_4) | instid1(VALU_DEP_4)
	v_add_nc_u64_e32 v[12:13], v[12:13], v[42:43]
	v_cvt_f32_f16_e32 v0, v0
	v_cvt_f32_f16_e32 v1, v1
	;; [unrolled: 1-line block ×4, first 2 shown]
	v_dual_add_f32 v4, v70, v0 :: v_dual_add_f32 v0, v71, v0
	s_delay_alu instid0(VALU_DEP_4) | instskip(NEXT) | instid1(VALU_DEP_3)
	v_dual_add_f32 v5, v72, v1 :: v_dual_add_f32 v1, v73, v1
	v_dual_add_f32 v6, v74, v2 :: v_dual_add_f32 v7, v76, v3
	;; [unrolled: 1-line block ×3, first 2 shown]
	s_delay_alu instid0(VALU_DEP_3) | instskip(SKIP_1) | instid1(VALU_DEP_2)
	v_dual_add_f32 v8, 0x40051340, v4 :: v_dual_add_f32 v9, 0x40051340, v5
	s_wait_xcnt 0x0
	v_dual_add_f32 v24, 0x40051340, v0 :: v_dual_add_f32 v71, 0x40051340, v2
	v_add_f32_e32 v70, 0x40051340, v1
	v_dual_add_f32 v10, 0x40051340, v6 :: v_dual_add_f32 v11, 0x40051340, v7
	v_add_f32_e32 v72, 0x40051340, v3
	v_max3_num_f32 v8, v26, v8, v9
	s_delay_alu instid0(VALU_DEP_4) | instskip(NEXT) | instid1(VALU_DEP_2)
	v_max3_num_f32 v9, v27, v24, v70
	v_max3_num_f32 v8, v8, v10, v11
	s_delay_alu instid0(VALU_DEP_2) | instskip(SKIP_4) | instid1(VALU_DEP_1)
	v_max3_num_f32 v9, v9, v71, v72
	ds_bpermute_b32 v10, v69, v8
	ds_bpermute_b32 v11, v69, v9
	s_wait_dscnt 0x0
	v_dual_max_num_f32 v11, v11, v11 :: v_dual_max_num_f32 v10, v10, v10
	v_dual_max_num_f32 v9, v9, v11 :: v_dual_max_num_f32 v8, v8, v10
	ds_bpermute_b32 v11, v68, v9
	ds_bpermute_b32 v10, v68, v8
	s_wait_dscnt 0x0
	v_dual_max_num_f32 v10, v10, v10 :: v_dual_max_num_f32 v11, v11, v11
	s_delay_alu instid0(VALU_DEP_1)
	v_max_num_f32_e32 v8, v8, v10
	ds_bpermute_b32 v10, v67, v8
	s_wait_dscnt 0x0
	v_dual_max_num_f32 v9, v9, v11 :: v_dual_max_num_f32 v10, v10, v10
	ds_bpermute_b32 v11, v67, v9
	v_max_num_f32_e32 v8, v8, v10
	ds_bpermute_b32 v10, v66, v8
	s_wait_dscnt 0x1
	v_max_num_f32_e32 v11, v11, v11
	s_wait_dscnt 0x0
	s_delay_alu instid0(VALU_DEP_1)
	v_dual_max_num_f32 v9, v9, v11 :: v_dual_max_num_f32 v10, v10, v10
	ds_bpermute_b32 v11, v66, v9
	v_max_num_f32_e32 v8, v8, v10
	ds_bpermute_b32 v10, v25, v8
	s_wait_dscnt 0x1
	v_max_num_f32_e32 v11, v11, v11
	s_wait_dscnt 0x0
	s_delay_alu instid0(VALU_DEP_1) | instskip(SKIP_2) | instid1(VALU_DEP_1)
	v_dual_max_num_f32 v9, v9, v11 :: v_dual_max_num_f32 v10, v10, v10
	ds_bpermute_b32 v11, v25, v9
	v_max_num_f32_e32 v66, v8, v10
	v_dual_sub_f32 v68, v4, v66 :: v_dual_sub_f32 v69, v5, v66
	v_dual_sub_f32 v72, v6, v66 :: v_dual_sub_f32 v73, v7, v66
	s_delay_alu instid0(VALU_DEP_2) | instskip(NEXT) | instid1(VALU_DEP_3)
	v_cmp_ngt_f32_e64 s8, 0xc2ce8ed0, v68
	v_cmp_ngt_f32_e32 vcc_lo, 0xc2ce8ed0, v69
	s_delay_alu instid0(VALU_DEP_3)
	v_dual_mul_f32 v4, 0x3fb8aa3b, v72 :: v_dual_mul_f32 v5, 0x3fb8aa3b, v73
	v_cmp_ngt_f32_e64 s5, 0xc2ce8ed0, v72
	v_cmp_ngt_f32_e64 s4, 0xc2ce8ed0, v73
	s_wait_dscnt 0x0
	v_max_num_f32_e32 v11, v11, v11
	v_fma_f32 v24, 0x3fb8aa3b, v72, -v4
	v_rndne_f32_e32 v127, v4
	v_fma_f32 v76, 0x3fb8aa3b, v73, -v5
	v_rndne_f32_e32 v129, v5
	s_delay_alu instid0(VALU_DEP_4) | instskip(NEXT) | instid1(VALU_DEP_3)
	v_dual_max_num_f32 v67, v9, v11 :: v_dual_fmac_f32 v24, 0x32a5705f, v72
	v_fmac_f32_e32 v76, 0x32a5705f, v73
	s_delay_alu instid0(VALU_DEP_2) | instskip(SKIP_2) | instid1(VALU_DEP_3)
	v_dual_sub_f32 v70, v0, v67 :: v_dual_sub_f32 v71, v1, v67
	v_dual_mul_f32 v0, 0x3fb8aa3b, v68 :: v_dual_mul_f32 v1, 0x3fb8aa3b, v69
	v_dual_sub_f32 v74, v2, v67 :: v_dual_sub_f32 v75, v3, v67
	v_dual_mul_f32 v2, 0x3fb8aa3b, v70 :: v_dual_mul_f32 v3, 0x3fb8aa3b, v71
	s_delay_alu instid0(VALU_DEP_3)
	v_fma_f32 v8, 0x3fb8aa3b, v68, -v0
	v_rndne_f32_e32 v25, v0
	v_fma_f32 v9, 0x3fb8aa3b, v69, -v1
	v_rndne_f32_e32 v125, v1
	v_fma_f32 v10, 0x3fb8aa3b, v70, -v2
	v_fmac_f32_e32 v8, 0x32a5705f, v68
	v_sub_f32_e32 v0, v0, v25
	v_fmac_f32_e32 v9, 0x32a5705f, v69
	v_sub_f32_e32 v1, v1, v125
	v_fma_f32 v11, 0x3fb8aa3b, v71, -v3
	v_rndne_f32_e32 v126, v3
	v_add_f32_e32 v0, v0, v8
	v_rndne_f32_e32 v8, v2
	v_dual_add_f32 v9, v1, v9 :: v_dual_fmac_f32 v10, 0x32a5705f, v70
	v_fmac_f32_e32 v11, 0x32a5705f, v71
	v_dual_mul_f32 v6, 0x3fb8aa3b, v74 :: v_dual_mul_f32 v7, 0x3fb8aa3b, v75
	s_delay_alu instid0(VALU_DEP_4) | instskip(SKIP_2) | instid1(VALU_DEP_3)
	v_sub_f32_e32 v1, v2, v8
	v_exp_f32_e32 v0, v0
	v_cmp_ngt_f32_e64 s6, 0xc2ce8ed0, v74
	v_fma_f32 v77, 0x3fb8aa3b, v74, -v6
	v_rndne_f32_e32 v131, v6
	v_add_f32_e32 v2, v1, v10
	v_sub_f32_e32 v1, v3, v126
	v_rndne_f32_e32 v134, v7
	v_fmac_f32_e32 v77, 0x32a5705f, v74
	v_sub_f32_e32 v3, v6, v131
	v_exp_f32_e32 v2, v2
	v_add_f32_e32 v128, v1, v11
	v_sub_f32_e32 v1, v4, v127
	v_cvt_i32_f32_e32 v4, v25
	v_add_f32_e32 v133, v3, v77
	v_sub_f32_e32 v3, v7, v134
	v_add_nc_u64_e32 v[10:11], v[18:19], v[42:43]
	v_add_f32_e32 v130, v1, v24
	v_sub_f32_e32 v1, v5, v129
	v_exp_f32_e32 v5, v9
	v_ldexp_f32 v136, v0, v4
	v_cvt_i32_f32_e32 v4, v8
	v_add_nc_u64_e32 v[8:9], v[16:17], v[42:43]
	v_add_f32_e32 v132, v1, v76
	v_fma_f32 v1, 0x3fb8aa3b, v75, -v7
	v_add_nc_u64_e32 v[6:7], v[22:23], v[42:43]
	v_ldexp_f32 v137, v2, v4
	v_add_nc_u64_e32 v[16:17], v[14:15], v[42:43]
	v_cmp_ngt_f32_e64 s7, 0xc2ce8ed0, v75
	v_fmac_f32_e32 v1, 0x32a5705f, v75
	v_sub_f32_e32 v27, v27, v67
	s_delay_alu instid0(VALU_DEP_2) | instskip(SKIP_2) | instid1(VALU_DEP_2)
	v_add_f32_e32 v135, v3, v1
	v_cvt_i32_f32_e32 v3, v125
	v_lshl_add_u64 v[0:1], v[62:63], 2, s[2:3]
	v_ldexp_f32 v125, v5, v3
	v_add_nc_u64_e32 v[4:5], v[20:21], v[42:43]
	v_lshl_add_u64 v[2:3], v[64:65], 2, s[2:3]
	s_delay_alu instid0(VALU_DEP_4)
	v_add_nc_u64_e32 v[76:77], v[0:1], v[42:43]
	v_cvt_i32_f32_e32 v0, v126
	v_cvt_i32_f32_e32 v1, v127
	v_cmp_ngt_f32_e64 s2, 0xc2ce8ed0, v71
	v_add_nc_u64_e32 v[24:25], v[2:3], v[42:43]
	global_load_b128 v[20:23], v[4:5], off
	v_exp_f32_e32 v2, v128
	v_exp_f32_e32 v3, v130
	v_cmp_ngt_f32_e64 s3, 0xc2ce8ed0, v70
	v_cndmask_b32_e32 v125, 0, v125, vcc_lo
	v_cmp_nlt_f32_e32 vcc_lo, 0x42b17218, v69
	s_delay_alu instid0(TRANS32_DEP_2)
	v_ldexp_f32 v14, v2, v0
	v_exp_f32_e32 v2, v132
	v_cvt_i32_f32_e32 v0, v129
	v_ldexp_f32 v15, v3, v1
	v_cvt_i32_f32_e32 v1, v131
	s_delay_alu instid0(TRANS32_DEP_1) | instid1(VALU_DEP_3)
	v_ldexp_f32 v18, v2, v0
	v_cndmask_b32_e64 v69, 0, v137, s3
	v_cmp_nlt_f32_e64 s3, 0x42b17218, v70
	v_cndmask_b32_e64 v70, 0, v14, s2
	v_exp_f32_e32 v3, v133
	v_cmp_nlt_f32_e64 s2, 0x42b17218, v71
	v_cndmask_b32_e64 v71, 0, v15, s5
	v_cmp_nlt_f32_e64 s5, 0x42b17218, v72
	v_cndmask_b32_e64 v18, 0, v18, s4
	;; [unrolled: 2-line block ×3, first 2 shown]
	v_ldexp_f32 v19, v3, v1
	global_load_b128 v[0:3], v[6:7], off
	s_wait_xcnt 0x1
	v_exp_f32_e32 v5, v135
	v_cvt_i32_f32_e32 v4, v134
	v_dual_cndmask_b32 v72, 0, v136, s8 :: v_dual_cndmask_b32 v19, 0, v19, s6
	v_cmp_nlt_f32_e64 s8, 0x42b17218, v68
	v_cmp_nlt_f32_e64 s6, 0x42b17218, v74
	v_cndmask_b32_e32 v74, 0x7f800000, v125, vcc_lo
	s_delay_alu instid0(TRANS32_DEP_1)
	v_ldexp_f32 v126, v5, v4
	v_cndmask_b32_e64 v68, 0x7f800000, v18, s4
	v_cndmask_b32_e64 v72, 0x7f800000, v72, s8
	v_cmp_ngt_f32_e32 vcc_lo, 0xc2ce8ed0, v27
	s_clause 0x1
	global_load_b128 v[4:7], v[8:9], off
	global_load_b128 v[12:15], v[12:13], off
	v_cndmask_b32_e64 v126, 0, v126, s7
	v_cmp_nlt_f32_e64 s7, 0x42b17218, v75
	v_cndmask_b32_e64 v75, 0x7f800000, v70, s2
	v_cndmask_b32_e64 v70, 0x7f800000, v71, s5
	;; [unrolled: 1-line block ×3, first 2 shown]
	v_cvt_pk_f16_f32 v18, v72, v73
	v_cndmask_b32_e64 v69, 0x7f800000, v126, s7
	v_cvt_pk_f16_f32 v19, v74, v75
	global_load_b128 v[8:11], v[10:11], off
	v_cvt_pk_f16_f32 v125, v70, v71
	ds_store_2addr_b32 v105, v18, v19 offset1:32
	v_cvt_pk_f16_f32 v18, v68, v69
	ds_store_2addr_b32 v105, v125, v18 offset0:64 offset1:96
	v_dual_sub_f32 v125, v26, v66 :: v_dual_mul_f32 v26, 0x3fb8aa3b, v27
	global_load_b128 v[16:19], v[16:17], off
	v_pk_add_f32 v[72:73], v[72:73], v[74:75]
	v_cmp_ngt_f32_e64 s2, 0xc2ce8ed0, v125
	s_delay_alu instid0(VALU_DEP_2) | instskip(NEXT) | instid1(VALU_DEP_1)
	v_pk_add_f32 v[70:71], v[70:71], v[72:73]
	v_pk_add_f32 v[72:73], v[68:69], v[70:71]
	s_wait_loadcnt 0x5
	ds_store_b128 v95, v[20:23]
	v_mul_f32_e32 v20, 0x3fb8aa3b, v125
	v_fma_f32 v21, 0x3fb8aa3b, v27, -v26
	v_rndne_f32_e32 v22, v26
	s_delay_alu instid0(VALU_DEP_3) | instskip(NEXT) | instid1(VALU_DEP_2)
	v_fma_f32 v23, 0x3fb8aa3b, v125, -v20
	v_dual_fmac_f32 v21, 0x32a5705f, v27 :: v_dual_sub_f32 v26, v26, v22
	v_cvt_i32_f32_e32 v22, v22
	s_delay_alu instid0(VALU_DEP_3) | instskip(NEXT) | instid1(VALU_DEP_3)
	v_fmac_f32_e32 v23, 0x32a5705f, v125
	v_add_f32_e32 v21, v26, v21
	v_rndne_f32_e32 v26, v20
	s_delay_alu instid0(VALU_DEP_1) | instskip(SKIP_1) | instid1(VALU_DEP_2)
	v_sub_f32_e32 v20, v20, v26
	v_cvt_i32_f32_e32 v26, v26
	v_add_f32_e32 v126, v20, v23
	v_exp_f32_e32 v20, v21
	v_nop
	s_delay_alu instid0(TRANS32_DEP_1)
	v_ldexp_f32 v127, v20, v22
	global_load_b128 v[20:23], v[76:77], off
	s_wait_xcnt 0x0
	v_exp_f32_e32 v76, v126
	v_cndmask_b32_e32 v77, 0, v127, vcc_lo
	v_cmp_nlt_f32_e32 vcc_lo, 0x42b17218, v27
	s_delay_alu instid0(TRANS32_DEP_1)
	v_ldexp_f32 v76, v76, v26
	global_load_b128 v[24:27], v[24:25], off
	s_wait_loadcnt 0x6
	ds_store_b128 v98, v[0:3]
	s_wait_loadcnt 0x5
	ds_store_b128 v99, v[4:7]
	;; [unrolled: 2-line block ×3, first 2 shown]
	ds_store_b128 v101, v[12:15]
	s_wait_loadcnt 0x2
	ds_store_b128 v102, v[16:19]
	s_wait_loadcnt 0x1
	;; [unrolled: 2-line block ×3, first 2 shown]
	ds_store_b128 v104, v[24:27]
	s_wait_dscnt 0x0
	s_barrier_signal -1
	s_barrier_wait -1
	ds_load_b128 v[0:3], v97
	v_cndmask_b32_e64 v76, 0, v76, s2
	v_cmp_nlt_f32_e64 s2, 0x42b17218, v125
	ds_load_2addr_b64 v[4:7], v80 offset1:32
	ds_load_2addr_b64 v[8:11], v80 offset0:64 offset1:96
	ds_load_b128 v[12:15], v97 offset:16
	ds_load_2addr_b64 v[16:19], v80 offset0:128 offset1:160
	ds_load_2addr_b64 v[20:23], v80 offset0:192 offset1:224
	ds_load_b128 v[24:27], v97 offset:32
	v_cndmask_b32_e32 v77, 0x7f800000, v77, vcc_lo
	v_cndmask_b32_e64 v76, 0x7f800000, v76, s2
	ds_load_2addr_b64 v[68:71], v106 offset1:32
	v_cvt_f16_f32_e32 v74, v77
	v_pk_fma_f32 v[54:55], v[54:55], v[76:77], v[72:73]
	v_cvt_f16_f32_e32 v125, v76
	s_delay_alu instid0(VALU_DEP_3) | instskip(NEXT) | instid1(VALU_DEP_2)
	v_and_b32_e32 v74, 0xffff, v74
	v_and_b32_e32 v75, 0xffff, v125
	s_wait_dscnt 0x7
	v_and_b32_e32 v72, 0xffff, v0
	v_lshrrev_b32_e32 v0, 16, v0
	v_mul_u32_u24_e32 v125, 0x10001, v74
	v_mul_u32_u24_e32 v75, 0x10001, v75
	s_delay_alu instid0(VALU_DEP_4) | instskip(NEXT) | instid1(VALU_DEP_4)
	v_mul_u32_u24_e32 v76, 0x10001, v72
	v_mul_u32_u24_e32 v0, 0x10001, v0
	s_delay_alu instid0(VALU_DEP_4) | instskip(NEXT) | instid1(VALU_DEP_4)
	v_pk_mul_f16 v121, v121, v125
	v_pk_mul_f16 v124, v124, v75
	s_wait_dscnt 0x6
	v_pk_mul_f16 v72, v4, v76
	v_pk_mul_f16 v4, v4, v0
	v_pk_fma_f16 v0, v5, v0, v121
	v_pk_fma_f16 v76, v5, v76, v124
	v_and_b32_e32 v124, 0xffff, v3
	v_pk_fma_f16 v77, v123, v75, v72
	v_pk_fma_f16 v4, v122, v125, v4
	v_and_b32_e32 v122, 0xffff, v1
	v_dual_lshrrev_b32 v1, 16, v1 :: v_dual_lshrrev_b32 v123, 16, v3
	v_mul_u32_u24_e32 v124, 0x10001, v124
	ds_load_2addr_b64 v[72:75], v106 offset0:64 offset1:96
	v_mul_u32_u24_e32 v122, 0x10001, v122
	v_mul_u32_u24_e32 v1, 0x10001, v1
	s_delay_alu instid0(VALU_DEP_2) | instskip(NEXT) | instid1(VALU_DEP_2)
	v_pk_fma_f16 v76, v7, v122, v76
	v_pk_fma_f16 v121, v7, v1, v0
	v_pk_fma_f16 v0, v6, v122, v77
	v_pk_fma_f16 v77, v6, v1, v4
	v_and_b32_e32 v1, 0xffff, v2
	v_lshrrev_b32_e32 v122, 16, v2
	ds_load_b128 v[4:7], v97 offset:48
	v_mul_u32_u24_e32 v1, 0x10001, v1
	v_mul_u32_u24_e32 v122, 0x10001, v122
	s_wait_dscnt 0x7
	s_delay_alu instid0(VALU_DEP_2) | instskip(SKIP_1) | instid1(VALU_DEP_3)
	v_pk_fma_f16 v76, v9, v1, v76
	v_pk_fma_f16 v125, v8, v1, v0
	;; [unrolled: 1-line block ×4, first 2 shown]
	ds_load_2addr_b64 v[0:3], v106 offset0:128 offset1:160
	v_pk_fma_f16 v76, v11, v124, v76
	v_pk_fma_f16 v121, v10, v124, v125
	s_wait_dscnt 0x7
	v_and_b32_e32 v124, 0xffff, v13
	v_lshrrev_b32_e32 v13, 16, v13
	v_mul_u32_u24_e32 v123, 0x10001, v123
	v_and_b32_e32 v125, 0xffff, v15
	s_delay_alu instid0(VALU_DEP_3) | instskip(NEXT) | instid1(VALU_DEP_3)
	v_mul_u32_u24_e32 v13, 0x10001, v13
	v_pk_fma_f16 v77, v11, v123, v9
	v_pk_fma_f16 v122, v10, v123, v8
	v_and_b32_e32 v123, 0xffff, v12
	v_lshrrev_b32_e32 v12, 16, v12
	v_mul_u32_u24_e32 v125, 0x10001, v125
	ds_load_2addr_b64 v[8:11], v106 offset0:192 offset1:224
	v_mul_u32_u24_e32 v123, 0x10001, v123
	v_mul_u32_u24_e32 v12, 0x10001, v12
	s_wait_dscnt 0x7
	s_delay_alu instid0(VALU_DEP_2)
	v_pk_fma_f16 v76, v17, v123, v76
	v_pk_fma_f16 v121, v16, v123, v121
	v_mul_u32_u24_e32 v123, 0x10001, v124
	v_pk_fma_f16 v17, v17, v12, v77
	v_pk_fma_f16 v12, v16, v12, v122
	v_lshrrev_b32_e32 v124, 16, v15
	s_delay_alu instid0(VALU_DEP_4) | instskip(SKIP_1) | instid1(VALU_DEP_4)
	v_pk_fma_f16 v76, v19, v123, v76
	v_pk_fma_f16 v121, v18, v123, v121
	;; [unrolled: 1-line block ×3, first 2 shown]
	v_and_b32_e32 v12, 0xffff, v14
	v_lshrrev_b32_e32 v123, 16, v14
	v_pk_fma_f16 v77, v19, v13, v17
	v_mul_u32_u24_e32 v124, 0x10001, v124
	ds_load_b128 v[16:19], v97 offset:64
	v_mul_u32_u24_e32 v12, 0x10001, v12
	v_mul_u32_u24_e32 v123, 0x10001, v123
	s_wait_dscnt 0x7
	s_delay_alu instid0(VALU_DEP_2) | instskip(SKIP_1) | instid1(VALU_DEP_3)
	v_pk_fma_f16 v76, v21, v12, v76
	v_pk_fma_f16 v121, v20, v12, v121
	;; [unrolled: 1-line block ×4, first 2 shown]
	s_wait_dscnt 0x6
	v_and_b32_e32 v123, 0xffff, v24
	v_lshrrev_b32_e32 v24, 16, v24
	v_pk_fma_f16 v76, v23, v125, v76
	v_pk_fma_f16 v77, v23, v124, v21
	;; [unrolled: 1-line block ×4, first 2 shown]
	v_and_b32_e32 v124, 0xffff, v25
	v_mul_u32_u24_e32 v123, 0x10001, v123
	v_lshrrev_b32_e32 v25, 16, v25
	v_mul_u32_u24_e32 v24, 0x10001, v24
	v_and_b32_e32 v125, 0xffff, v27
	ds_load_2addr_b64 v[12:15], v107 offset1:32
	s_wait_dscnt 0x6
	v_pk_fma_f16 v76, v69, v123, v76
	v_pk_fma_f16 v121, v68, v123, v121
	v_mul_u32_u24_e32 v123, 0x10001, v124
	v_mul_u32_u24_e32 v25, 0x10001, v25
	v_pk_fma_f16 v69, v69, v24, v77
	v_pk_fma_f16 v24, v68, v24, v122
	v_lshrrev_b32_e32 v124, 16, v27
	v_pk_fma_f16 v76, v71, v123, v76
	v_pk_fma_f16 v121, v70, v123, v121
	v_lshrrev_b32_e32 v123, 16, v26
	v_pk_fma_f16 v122, v70, v25, v24
	v_and_b32_e32 v24, 0xffff, v26
	v_pk_fma_f16 v77, v71, v25, v69
	v_mul_u32_u24_e32 v125, 0x10001, v125
	v_mul_u32_u24_e32 v123, 0x10001, v123
	;; [unrolled: 1-line block ×4, first 2 shown]
	ds_load_2addr_b64 v[20:23], v107 offset0:64 offset1:96
	ds_load_b128 v[68:71], v97 offset:80
	s_wait_dscnt 0x7
	v_pk_fma_f16 v76, v73, v24, v76
	v_pk_fma_f16 v121, v72, v24, v121
	;; [unrolled: 1-line block ×4, first 2 shown]
	s_wait_dscnt 0x6
	v_and_b32_e32 v123, 0xffff, v4
	v_lshrrev_b32_e32 v4, 16, v4
	v_pk_fma_f16 v76, v75, v125, v76
	v_pk_fma_f16 v77, v75, v124, v73
	;; [unrolled: 1-line block ×4, first 2 shown]
	v_and_b32_e32 v124, 0xffff, v5
	v_mul_u32_u24_e32 v123, 0x10001, v123
	v_lshrrev_b32_e32 v5, 16, v5
	v_mul_u32_u24_e32 v4, 0x10001, v4
	ds_load_2addr_b64 v[24:27], v107 offset0:128 offset1:160
	ds_load_2addr_b64 v[72:75], v107 offset0:192 offset1:224
	s_wait_dscnt 0x7
	v_pk_fma_f16 v76, v1, v123, v76
	v_pk_fma_f16 v121, v0, v123, v121
	v_mul_u32_u24_e32 v123, 0x10001, v124
	v_mul_u32_u24_e32 v5, 0x10001, v5
	v_pk_fma_f16 v1, v1, v4, v77
	v_pk_fma_f16 v0, v0, v4, v122
	v_lshrrev_b32_e32 v122, 16, v6
	v_pk_fma_f16 v4, v3, v123, v76
	v_pk_fma_f16 v77, v2, v123, v121
	;; [unrolled: 1-line block ×4, first 2 shown]
	v_and_b32_e32 v5, 0xffff, v6
	v_lshrrev_b32_e32 v123, 16, v7
	v_mul_u32_u24_e32 v122, 0x10001, v122
	v_and_b32_e32 v124, 0xffff, v7
	ds_load_b128 v[0:3], v97 offset:96
	v_mul_u32_u24_e32 v5, 0x10001, v5
	v_mul_u32_u24_e32 v123, 0x10001, v123
	;; [unrolled: 1-line block ×3, first 2 shown]
	s_wait_dscnt 0x7
	s_delay_alu instid0(VALU_DEP_3)
	v_pk_fma_f16 v125, v9, v5, v4
	v_pk_fma_f16 v77, v8, v5, v77
	;; [unrolled: 1-line block ×4, first 2 shown]
	ds_load_2addr_b64 v[4:7], v108 offset1:32
	v_pk_fma_f16 v76, v11, v124, v125
	v_pk_fma_f16 v77, v10, v124, v77
	;; [unrolled: 1-line block ×4, first 2 shown]
	s_wait_dscnt 0x7
	v_and_b32_e32 v123, 0xffff, v16
	v_lshrrev_b32_e32 v16, 16, v16
	v_and_b32_e32 v124, 0xffff, v17
	v_lshrrev_b32_e32 v17, 16, v17
	ds_load_2addr_b64 v[8:11], v108 offset0:64 offset1:96
	v_mul_u32_u24_e32 v123, 0x10001, v123
	v_mul_u32_u24_e32 v16, 0x10001, v16
	;; [unrolled: 1-line block ×3, first 2 shown]
	s_wait_dscnt 0x7
	s_delay_alu instid0(VALU_DEP_3)
	v_pk_fma_f16 v76, v13, v123, v76
	v_pk_fma_f16 v77, v12, v123, v77
	v_mul_u32_u24_e32 v123, 0x10001, v124
	v_pk_fma_f16 v13, v13, v16, v121
	v_pk_fma_f16 v12, v12, v16, v122
	v_lshrrev_b32_e32 v122, 16, v18
	v_and_b32_e32 v124, 0xffff, v19
	v_pk_fma_f16 v16, v15, v123, v76
	v_pk_fma_f16 v76, v15, v17, v13
	;; [unrolled: 1-line block ×3, first 2 shown]
	v_and_b32_e32 v17, 0xffff, v18
	v_pk_fma_f16 v77, v14, v123, v77
	v_lshrrev_b32_e32 v123, 16, v19
	v_mul_u32_u24_e32 v122, 0x10001, v122
	v_mul_u32_u24_e32 v124, 0x10001, v124
	;; [unrolled: 1-line block ×3, first 2 shown]
	ds_load_b128 v[12:15], v97 offset:112
	v_mul_u32_u24_e32 v123, 0x10001, v123
	s_wait_dscnt 0x7
	v_pk_fma_f16 v125, v21, v17, v16
	v_pk_fma_f16 v77, v20, v17, v77
	;; [unrolled: 1-line block ×4, first 2 shown]
	ds_load_2addr_b64 v[16:19], v108 offset0:128 offset1:160
	v_pk_fma_f16 v76, v23, v124, v125
	v_pk_fma_f16 v77, v22, v124, v77
	;; [unrolled: 1-line block ×4, first 2 shown]
	s_wait_dscnt 0x7
	v_and_b32_e32 v123, 0xffff, v68
	v_lshrrev_b32_e32 v68, 16, v68
	v_and_b32_e32 v124, 0xffff, v69
	v_lshrrev_b32_e32 v69, 16, v69
	ds_load_2addr_b64 v[20:23], v108 offset0:192 offset1:224
	v_mul_u32_u24_e32 v123, 0x10001, v123
	v_mul_u32_u24_e32 v68, 0x10001, v68
	;; [unrolled: 1-line block ×3, first 2 shown]
	s_wait_dscnt 0x7
	s_delay_alu instid0(VALU_DEP_3)
	v_pk_fma_f16 v76, v25, v123, v76
	v_pk_fma_f16 v77, v24, v123, v77
	v_mul_u32_u24_e32 v123, 0x10001, v124
	v_pk_fma_f16 v25, v25, v68, v121
	v_pk_fma_f16 v24, v24, v68, v122
	v_lshrrev_b32_e32 v122, 16, v70
	v_and_b32_e32 v124, 0xffff, v71
	v_pk_fma_f16 v68, v27, v123, v76
	v_pk_fma_f16 v76, v27, v69, v25
	;; [unrolled: 1-line block ×3, first 2 shown]
	v_and_b32_e32 v69, 0xffff, v70
	v_pk_fma_f16 v77, v26, v123, v77
	v_lshrrev_b32_e32 v123, 16, v71
	v_mul_u32_u24_e32 v122, 0x10001, v122
	v_mul_u32_u24_e32 v124, 0x10001, v124
	;; [unrolled: 1-line block ×3, first 2 shown]
	ds_load_b128 v[24:27], v97 offset:128
	v_mul_u32_u24_e32 v123, 0x10001, v123
	s_wait_dscnt 0x7
	v_pk_fma_f16 v125, v73, v69, v68
	v_pk_fma_f16 v77, v72, v69, v77
	v_pk_fma_f16 v73, v73, v122, v76
	v_pk_fma_f16 v72, v72, v122, v121
	ds_load_2addr_b64 v[68:71], v109 offset1:32
	v_pk_fma_f16 v76, v75, v124, v125
	v_pk_fma_f16 v77, v74, v124, v77
	v_pk_fma_f16 v121, v75, v123, v73
	v_pk_fma_f16 v122, v74, v123, v72
	s_wait_dscnt 0x7
	v_and_b32_e32 v123, 0xffff, v0
	v_lshrrev_b32_e32 v0, 16, v0
	v_and_b32_e32 v124, 0xffff, v1
	v_lshrrev_b32_e32 v1, 16, v1
	v_and_b32_e32 v125, 0xffff, v3
	v_mul_u32_u24_e32 v123, 0x10001, v123
	v_mul_u32_u24_e32 v0, 0x10001, v0
	ds_load_2addr_b64 v[72:75], v109 offset0:64 offset1:96
	v_mul_u32_u24_e32 v1, 0x10001, v1
	v_mul_u32_u24_e32 v125, 0x10001, v125
	s_wait_dscnt 0x7
	v_pk_fma_f16 v76, v5, v123, v76
	v_pk_fma_f16 v77, v4, v123, v77
	v_mul_u32_u24_e32 v123, 0x10001, v124
	v_pk_fma_f16 v5, v5, v0, v121
	v_pk_fma_f16 v0, v4, v0, v122
	v_lshrrev_b32_e32 v124, 16, v3
	s_delay_alu instid0(VALU_DEP_4) | instskip(SKIP_1) | instid1(VALU_DEP_4)
	v_pk_fma_f16 v76, v7, v123, v76
	v_pk_fma_f16 v77, v6, v123, v77
	;; [unrolled: 1-line block ×3, first 2 shown]
	v_and_b32_e32 v0, 0xffff, v2
	v_lshrrev_b32_e32 v123, 16, v2
	v_pk_fma_f16 v121, v7, v1, v5
	v_mul_u32_u24_e32 v124, 0x10001, v124
	ds_load_b128 v[4:7], v97 offset:144
	v_mul_u32_u24_e32 v0, 0x10001, v0
	v_mul_u32_u24_e32 v123, 0x10001, v123
	s_wait_dscnt 0x7
	s_delay_alu instid0(VALU_DEP_2) | instskip(SKIP_1) | instid1(VALU_DEP_3)
	v_pk_fma_f16 v76, v9, v0, v76
	v_pk_fma_f16 v77, v8, v0, v77
	;; [unrolled: 1-line block ×4, first 2 shown]
	s_wait_dscnt 0x6
	v_and_b32_e32 v123, 0xffff, v12
	v_lshrrev_b32_e32 v12, 16, v12
	v_pk_fma_f16 v76, v11, v125, v76
	v_pk_fma_f16 v121, v11, v124, v9
	;; [unrolled: 1-line block ×4, first 2 shown]
	v_and_b32_e32 v124, 0xffff, v13
	v_mul_u32_u24_e32 v123, 0x10001, v123
	v_lshrrev_b32_e32 v13, 16, v13
	v_mul_u32_u24_e32 v12, 0x10001, v12
	v_and_b32_e32 v125, 0xffff, v15
	ds_load_2addr_b64 v[0:3], v109 offset0:128 offset1:160
	s_wait_dscnt 0x6
	v_pk_fma_f16 v76, v17, v123, v76
	v_pk_fma_f16 v77, v16, v123, v77
	v_mul_u32_u24_e32 v123, 0x10001, v124
	v_mul_u32_u24_e32 v13, 0x10001, v13
	v_pk_fma_f16 v17, v17, v12, v121
	v_pk_fma_f16 v12, v16, v12, v122
	v_lshrrev_b32_e32 v124, 16, v15
	v_pk_fma_f16 v76, v19, v123, v76
	v_pk_fma_f16 v77, v18, v123, v77
	v_lshrrev_b32_e32 v123, 16, v14
	v_pk_fma_f16 v122, v18, v13, v12
	v_and_b32_e32 v12, 0xffff, v14
	v_pk_fma_f16 v121, v19, v13, v17
	v_mul_u32_u24_e32 v125, 0x10001, v125
	v_mul_u32_u24_e32 v123, 0x10001, v123
	;; [unrolled: 1-line block ×4, first 2 shown]
	ds_load_b128 v[16:19], v97 offset:160
	ds_load_2addr_b64 v[8:11], v109 offset0:192 offset1:224
	s_wait_dscnt 0x7
	v_pk_fma_f16 v76, v21, v12, v76
	v_pk_fma_f16 v77, v20, v12, v77
	;; [unrolled: 1-line block ×4, first 2 shown]
	s_wait_dscnt 0x6
	v_and_b32_e32 v123, 0xffff, v24
	v_lshrrev_b32_e32 v24, 16, v24
	v_pk_fma_f16 v76, v23, v125, v76
	v_pk_fma_f16 v121, v23, v124, v21
	;; [unrolled: 1-line block ×4, first 2 shown]
	v_and_b32_e32 v124, 0xffff, v25
	v_mul_u32_u24_e32 v123, 0x10001, v123
	v_lshrrev_b32_e32 v25, 16, v25
	v_mul_u32_u24_e32 v24, 0x10001, v24
	v_and_b32_e32 v125, 0xffff, v27
	ds_load_2addr_b64 v[12:15], v110 offset1:32
	s_wait_dscnt 0x6
	v_pk_fma_f16 v76, v69, v123, v76
	v_pk_fma_f16 v77, v68, v123, v77
	v_mul_u32_u24_e32 v123, 0x10001, v124
	v_mul_u32_u24_e32 v25, 0x10001, v25
	v_pk_fma_f16 v69, v69, v24, v121
	v_pk_fma_f16 v24, v68, v24, v122
	v_lshrrev_b32_e32 v124, 16, v27
	v_pk_fma_f16 v76, v71, v123, v76
	v_pk_fma_f16 v77, v70, v123, v77
	v_lshrrev_b32_e32 v123, 16, v26
	v_pk_fma_f16 v122, v70, v25, v24
	v_and_b32_e32 v24, 0xffff, v26
	v_pk_fma_f16 v121, v71, v25, v69
	v_mul_u32_u24_e32 v125, 0x10001, v125
	v_mul_u32_u24_e32 v123, 0x10001, v123
	;; [unrolled: 1-line block ×4, first 2 shown]
	ds_load_2addr_b64 v[20:23], v110 offset0:64 offset1:96
	ds_load_b128 v[68:71], v97 offset:176
	s_wait_dscnt 0x7
	v_pk_fma_f16 v76, v73, v24, v76
	v_pk_fma_f16 v77, v72, v24, v77
	;; [unrolled: 1-line block ×4, first 2 shown]
	s_wait_dscnt 0x6
	v_and_b32_e32 v123, 0xffff, v4
	v_lshrrev_b32_e32 v4, 16, v4
	v_pk_fma_f16 v76, v75, v125, v76
	v_pk_fma_f16 v121, v75, v124, v73
	;; [unrolled: 1-line block ×4, first 2 shown]
	v_and_b32_e32 v124, 0xffff, v5
	v_mul_u32_u24_e32 v123, 0x10001, v123
	v_lshrrev_b32_e32 v5, 16, v5
	v_mul_u32_u24_e32 v4, 0x10001, v4
	ds_load_2addr_b64 v[24:27], v110 offset0:128 offset1:160
	ds_load_2addr_b64 v[72:75], v110 offset0:192 offset1:224
	s_wait_dscnt 0x7
	v_pk_fma_f16 v76, v1, v123, v76
	v_pk_fma_f16 v77, v0, v123, v77
	v_mul_u32_u24_e32 v123, 0x10001, v124
	v_mul_u32_u24_e32 v5, 0x10001, v5
	v_pk_fma_f16 v1, v1, v4, v121
	v_pk_fma_f16 v0, v0, v4, v122
	v_lshrrev_b32_e32 v122, 16, v6
	v_pk_fma_f16 v4, v3, v123, v76
	v_pk_fma_f16 v77, v2, v123, v77
	;; [unrolled: 1-line block ×4, first 2 shown]
	v_and_b32_e32 v5, 0xffff, v6
	v_lshrrev_b32_e32 v123, 16, v7
	v_mul_u32_u24_e32 v122, 0x10001, v122
	v_and_b32_e32 v124, 0xffff, v7
	ds_load_b128 v[0:3], v97 offset:192
	v_mul_u32_u24_e32 v5, 0x10001, v5
	v_mul_u32_u24_e32 v123, 0x10001, v123
	;; [unrolled: 1-line block ×3, first 2 shown]
	s_wait_dscnt 0x6
	s_delay_alu instid0(VALU_DEP_3)
	v_pk_fma_f16 v125, v9, v5, v4
	v_pk_fma_f16 v77, v8, v5, v77
	;; [unrolled: 1-line block ×4, first 2 shown]
	ds_load_2addr_b64 v[4:7], v111 offset1:32
	v_pk_fma_f16 v76, v11, v124, v125
	v_pk_fma_f16 v77, v10, v124, v77
	;; [unrolled: 1-line block ×4, first 2 shown]
	v_and_b32_e32 v123, 0xffff, v16
	v_lshrrev_b32_e32 v16, 16, v16
	v_and_b32_e32 v124, 0xffff, v17
	v_lshrrev_b32_e32 v17, 16, v17
	ds_load_2addr_b64 v[8:11], v111 offset0:64 offset1:96
	v_mul_u32_u24_e32 v123, 0x10001, v123
	v_mul_u32_u24_e32 v16, 0x10001, v16
	;; [unrolled: 1-line block ×3, first 2 shown]
	s_wait_dscnt 0x7
	s_delay_alu instid0(VALU_DEP_3)
	v_pk_fma_f16 v76, v13, v123, v76
	v_pk_fma_f16 v77, v12, v123, v77
	v_mul_u32_u24_e32 v123, 0x10001, v124
	v_pk_fma_f16 v13, v13, v16, v121
	v_pk_fma_f16 v12, v12, v16, v122
	v_lshrrev_b32_e32 v122, 16, v18
	v_and_b32_e32 v124, 0xffff, v19
	v_pk_fma_f16 v16, v15, v123, v76
	v_pk_fma_f16 v76, v15, v17, v13
	;; [unrolled: 1-line block ×3, first 2 shown]
	v_and_b32_e32 v17, 0xffff, v18
	v_pk_fma_f16 v77, v14, v123, v77
	v_lshrrev_b32_e32 v123, 16, v19
	v_mul_u32_u24_e32 v122, 0x10001, v122
	v_mul_u32_u24_e32 v124, 0x10001, v124
	v_mul_u32_u24_e32 v17, 0x10001, v17
	ds_load_b128 v[12:15], v97 offset:208
	v_mul_u32_u24_e32 v123, 0x10001, v123
	s_wait_dscnt 0x7
	v_pk_fma_f16 v125, v21, v17, v16
	v_pk_fma_f16 v77, v20, v17, v77
	;; [unrolled: 1-line block ×4, first 2 shown]
	ds_load_2addr_b64 v[16:19], v111 offset0:128 offset1:160
	v_pk_fma_f16 v76, v23, v124, v125
	v_pk_fma_f16 v77, v22, v124, v77
	;; [unrolled: 1-line block ×4, first 2 shown]
	s_wait_dscnt 0x7
	v_and_b32_e32 v123, 0xffff, v68
	v_lshrrev_b32_e32 v68, 16, v68
	v_and_b32_e32 v124, 0xffff, v69
	v_lshrrev_b32_e32 v69, 16, v69
	ds_load_2addr_b64 v[20:23], v111 offset0:192 offset1:224
	v_mul_u32_u24_e32 v123, 0x10001, v123
	v_mul_u32_u24_e32 v68, 0x10001, v68
	;; [unrolled: 1-line block ×3, first 2 shown]
	s_wait_dscnt 0x7
	s_delay_alu instid0(VALU_DEP_3)
	v_pk_fma_f16 v76, v25, v123, v76
	v_pk_fma_f16 v77, v24, v123, v77
	v_mul_u32_u24_e32 v123, 0x10001, v124
	v_pk_fma_f16 v25, v25, v68, v121
	v_pk_fma_f16 v24, v24, v68, v122
	v_lshrrev_b32_e32 v122, 16, v70
	v_and_b32_e32 v124, 0xffff, v71
	v_pk_fma_f16 v68, v27, v123, v76
	v_pk_fma_f16 v76, v27, v69, v25
	;; [unrolled: 1-line block ×3, first 2 shown]
	v_and_b32_e32 v69, 0xffff, v70
	v_pk_fma_f16 v77, v26, v123, v77
	v_lshrrev_b32_e32 v123, 16, v71
	v_mul_u32_u24_e32 v122, 0x10001, v122
	v_mul_u32_u24_e32 v124, 0x10001, v124
	v_mul_u32_u24_e32 v69, 0x10001, v69
	ds_load_b128 v[24:27], v97 offset:224
	v_mul_u32_u24_e32 v123, 0x10001, v123
	s_wait_dscnt 0x7
	v_pk_fma_f16 v125, v73, v69, v68
	v_pk_fma_f16 v77, v72, v69, v77
	;; [unrolled: 1-line block ×4, first 2 shown]
	ds_load_2addr_b64 v[68:71], v112 offset1:32
	v_pk_fma_f16 v76, v75, v124, v125
	v_pk_fma_f16 v77, v74, v124, v77
	;; [unrolled: 1-line block ×4, first 2 shown]
	s_wait_dscnt 0x7
	v_and_b32_e32 v123, 0xffff, v0
	v_lshrrev_b32_e32 v0, 16, v0
	v_and_b32_e32 v124, 0xffff, v1
	v_lshrrev_b32_e32 v1, 16, v1
	v_and_b32_e32 v125, 0xffff, v3
	v_mul_u32_u24_e32 v123, 0x10001, v123
	v_mul_u32_u24_e32 v0, 0x10001, v0
	ds_load_2addr_b64 v[72:75], v112 offset0:64 offset1:96
	v_mul_u32_u24_e32 v1, 0x10001, v1
	v_mul_u32_u24_e32 v125, 0x10001, v125
	s_wait_dscnt 0x7
	v_pk_fma_f16 v76, v5, v123, v76
	v_pk_fma_f16 v77, v4, v123, v77
	v_mul_u32_u24_e32 v123, 0x10001, v124
	v_pk_fma_f16 v5, v5, v0, v121
	v_pk_fma_f16 v0, v4, v0, v122
	v_lshrrev_b32_e32 v124, 16, v3
	s_delay_alu instid0(VALU_DEP_4) | instskip(SKIP_1) | instid1(VALU_DEP_4)
	v_pk_fma_f16 v76, v7, v123, v76
	v_pk_fma_f16 v77, v6, v123, v77
	;; [unrolled: 1-line block ×3, first 2 shown]
	v_and_b32_e32 v0, 0xffff, v2
	v_lshrrev_b32_e32 v123, 16, v2
	v_pk_fma_f16 v121, v7, v1, v5
	v_mul_u32_u24_e32 v124, 0x10001, v124
	ds_load_b128 v[4:7], v97 offset:240
	v_mul_u32_u24_e32 v0, 0x10001, v0
	v_mul_u32_u24_e32 v123, 0x10001, v123
	s_wait_dscnt 0x7
	s_delay_alu instid0(VALU_DEP_2) | instskip(SKIP_1) | instid1(VALU_DEP_3)
	v_pk_fma_f16 v76, v9, v0, v76
	v_pk_fma_f16 v77, v8, v0, v77
	;; [unrolled: 1-line block ×4, first 2 shown]
	s_wait_dscnt 0x6
	v_and_b32_e32 v123, 0xffff, v12
	v_lshrrev_b32_e32 v12, 16, v12
	v_pk_fma_f16 v76, v11, v125, v76
	v_pk_fma_f16 v121, v11, v124, v9
	;; [unrolled: 1-line block ×4, first 2 shown]
	v_and_b32_e32 v124, 0xffff, v13
	v_mul_u32_u24_e32 v123, 0x10001, v123
	v_lshrrev_b32_e32 v13, 16, v13
	v_mul_u32_u24_e32 v12, 0x10001, v12
	v_and_b32_e32 v125, 0xffff, v15
	ds_load_2addr_b64 v[0:3], v112 offset0:128 offset1:160
	s_wait_dscnt 0x6
	v_pk_fma_f16 v76, v17, v123, v76
	v_pk_fma_f16 v77, v16, v123, v77
	v_mul_u32_u24_e32 v123, 0x10001, v124
	v_mul_u32_u24_e32 v13, 0x10001, v13
	v_pk_fma_f16 v17, v17, v12, v121
	v_pk_fma_f16 v12, v16, v12, v122
	v_lshrrev_b32_e32 v124, 16, v15
	v_pk_fma_f16 v76, v19, v123, v76
	v_pk_fma_f16 v77, v18, v123, v77
	v_lshrrev_b32_e32 v123, 16, v14
	v_pk_fma_f16 v122, v18, v13, v12
	v_and_b32_e32 v12, 0xffff, v14
	v_pk_fma_f16 v121, v19, v13, v17
	v_mul_u32_u24_e32 v125, 0x10001, v125
	v_mul_u32_u24_e32 v123, 0x10001, v123
	;; [unrolled: 1-line block ×4, first 2 shown]
	ds_load_b128 v[16:19], v97 offset:256
	ds_load_2addr_b64 v[8:11], v112 offset0:192 offset1:224
	s_wait_dscnt 0x7
	v_pk_fma_f16 v76, v21, v12, v76
	v_pk_fma_f16 v77, v20, v12, v77
	v_pk_fma_f16 v21, v21, v123, v121
	v_pk_fma_f16 v20, v20, v123, v122
	s_wait_dscnt 0x6
	v_and_b32_e32 v123, 0xffff, v24
	v_lshrrev_b32_e32 v24, 16, v24
	v_pk_fma_f16 v76, v23, v125, v76
	v_pk_fma_f16 v121, v23, v124, v21
	;; [unrolled: 1-line block ×4, first 2 shown]
	v_and_b32_e32 v124, 0xffff, v25
	v_mul_u32_u24_e32 v123, 0x10001, v123
	v_lshrrev_b32_e32 v25, 16, v25
	v_mul_u32_u24_e32 v24, 0x10001, v24
	v_and_b32_e32 v125, 0xffff, v27
	ds_load_2addr_b64 v[12:15], v113 offset1:32
	s_wait_dscnt 0x6
	v_pk_fma_f16 v76, v69, v123, v76
	v_pk_fma_f16 v77, v68, v123, v77
	v_mul_u32_u24_e32 v123, 0x10001, v124
	v_mul_u32_u24_e32 v25, 0x10001, v25
	v_pk_fma_f16 v69, v69, v24, v121
	v_pk_fma_f16 v24, v68, v24, v122
	v_lshrrev_b32_e32 v124, 16, v27
	v_pk_fma_f16 v76, v71, v123, v76
	v_pk_fma_f16 v77, v70, v123, v77
	v_lshrrev_b32_e32 v123, 16, v26
	v_pk_fma_f16 v122, v70, v25, v24
	v_and_b32_e32 v24, 0xffff, v26
	v_pk_fma_f16 v121, v71, v25, v69
	v_mul_u32_u24_e32 v125, 0x10001, v125
	v_mul_u32_u24_e32 v123, 0x10001, v123
	;; [unrolled: 1-line block ×4, first 2 shown]
	ds_load_2addr_b64 v[20:23], v113 offset0:64 offset1:96
	ds_load_b128 v[68:71], v97 offset:272
	s_wait_dscnt 0x7
	v_pk_fma_f16 v76, v73, v24, v76
	v_pk_fma_f16 v77, v72, v24, v77
	;; [unrolled: 1-line block ×4, first 2 shown]
	s_wait_dscnt 0x6
	v_and_b32_e32 v123, 0xffff, v4
	v_lshrrev_b32_e32 v4, 16, v4
	v_pk_fma_f16 v76, v75, v125, v76
	v_pk_fma_f16 v121, v75, v124, v73
	;; [unrolled: 1-line block ×4, first 2 shown]
	v_and_b32_e32 v124, 0xffff, v5
	v_mul_u32_u24_e32 v123, 0x10001, v123
	v_lshrrev_b32_e32 v5, 16, v5
	v_mul_u32_u24_e32 v4, 0x10001, v4
	ds_load_2addr_b64 v[24:27], v113 offset0:128 offset1:160
	ds_load_2addr_b64 v[72:75], v113 offset0:192 offset1:224
	s_wait_dscnt 0x7
	v_pk_fma_f16 v76, v1, v123, v76
	v_pk_fma_f16 v77, v0, v123, v77
	v_mul_u32_u24_e32 v123, 0x10001, v124
	v_mul_u32_u24_e32 v5, 0x10001, v5
	v_pk_fma_f16 v1, v1, v4, v121
	v_pk_fma_f16 v0, v0, v4, v122
	v_lshrrev_b32_e32 v122, 16, v6
	v_pk_fma_f16 v4, v3, v123, v76
	v_pk_fma_f16 v77, v2, v123, v77
	;; [unrolled: 1-line block ×4, first 2 shown]
	v_and_b32_e32 v5, 0xffff, v6
	v_lshrrev_b32_e32 v123, 16, v7
	v_mul_u32_u24_e32 v122, 0x10001, v122
	v_and_b32_e32 v124, 0xffff, v7
	ds_load_b128 v[0:3], v97 offset:288
	v_mul_u32_u24_e32 v5, 0x10001, v5
	v_mul_u32_u24_e32 v123, 0x10001, v123
	;; [unrolled: 1-line block ×3, first 2 shown]
	s_wait_dscnt 0x6
	s_delay_alu instid0(VALU_DEP_3)
	v_pk_fma_f16 v125, v9, v5, v4
	v_pk_fma_f16 v77, v8, v5, v77
	;; [unrolled: 1-line block ×4, first 2 shown]
	ds_load_2addr_b64 v[4:7], v114 offset1:32
	v_pk_fma_f16 v76, v11, v124, v125
	v_pk_fma_f16 v77, v10, v124, v77
	;; [unrolled: 1-line block ×4, first 2 shown]
	v_and_b32_e32 v123, 0xffff, v16
	v_lshrrev_b32_e32 v16, 16, v16
	v_and_b32_e32 v124, 0xffff, v17
	v_lshrrev_b32_e32 v17, 16, v17
	ds_load_2addr_b64 v[8:11], v114 offset0:64 offset1:96
	v_mul_u32_u24_e32 v123, 0x10001, v123
	v_mul_u32_u24_e32 v16, 0x10001, v16
	;; [unrolled: 1-line block ×3, first 2 shown]
	s_wait_dscnt 0x7
	s_delay_alu instid0(VALU_DEP_3)
	v_pk_fma_f16 v76, v13, v123, v76
	v_pk_fma_f16 v77, v12, v123, v77
	v_mul_u32_u24_e32 v123, 0x10001, v124
	v_pk_fma_f16 v13, v13, v16, v121
	v_pk_fma_f16 v12, v12, v16, v122
	v_lshrrev_b32_e32 v122, 16, v18
	v_and_b32_e32 v124, 0xffff, v19
	v_pk_fma_f16 v16, v15, v123, v76
	v_pk_fma_f16 v76, v15, v17, v13
	v_pk_fma_f16 v121, v14, v17, v12
	v_and_b32_e32 v17, 0xffff, v18
	v_pk_fma_f16 v77, v14, v123, v77
	v_lshrrev_b32_e32 v123, 16, v19
	v_mul_u32_u24_e32 v122, 0x10001, v122
	v_mul_u32_u24_e32 v124, 0x10001, v124
	;; [unrolled: 1-line block ×3, first 2 shown]
	ds_load_b128 v[12:15], v97 offset:304
	v_mul_u32_u24_e32 v123, 0x10001, v123
	s_wait_dscnt 0x7
	v_pk_fma_f16 v125, v21, v17, v16
	v_pk_fma_f16 v77, v20, v17, v77
	;; [unrolled: 1-line block ×4, first 2 shown]
	ds_load_2addr_b64 v[16:19], v114 offset0:128 offset1:160
	v_pk_fma_f16 v76, v23, v124, v125
	v_pk_fma_f16 v77, v22, v124, v77
	;; [unrolled: 1-line block ×4, first 2 shown]
	s_wait_dscnt 0x7
	v_and_b32_e32 v123, 0xffff, v68
	v_lshrrev_b32_e32 v68, 16, v68
	v_and_b32_e32 v124, 0xffff, v69
	v_lshrrev_b32_e32 v69, 16, v69
	ds_load_2addr_b64 v[20:23], v114 offset0:192 offset1:224
	v_mul_u32_u24_e32 v123, 0x10001, v123
	v_mul_u32_u24_e32 v68, 0x10001, v68
	;; [unrolled: 1-line block ×3, first 2 shown]
	s_wait_dscnt 0x7
	s_delay_alu instid0(VALU_DEP_3)
	v_pk_fma_f16 v76, v25, v123, v76
	v_pk_fma_f16 v77, v24, v123, v77
	v_mul_u32_u24_e32 v123, 0x10001, v124
	v_pk_fma_f16 v25, v25, v68, v121
	v_pk_fma_f16 v24, v24, v68, v122
	v_lshrrev_b32_e32 v122, 16, v70
	v_and_b32_e32 v124, 0xffff, v71
	v_pk_fma_f16 v68, v27, v123, v76
	v_pk_fma_f16 v76, v27, v69, v25
	;; [unrolled: 1-line block ×3, first 2 shown]
	v_and_b32_e32 v69, 0xffff, v70
	v_pk_fma_f16 v77, v26, v123, v77
	v_lshrrev_b32_e32 v123, 16, v71
	v_mul_u32_u24_e32 v122, 0x10001, v122
	v_mul_u32_u24_e32 v124, 0x10001, v124
	;; [unrolled: 1-line block ×3, first 2 shown]
	ds_load_b128 v[24:27], v97 offset:320
	v_mul_u32_u24_e32 v123, 0x10001, v123
	s_wait_dscnt 0x7
	v_pk_fma_f16 v125, v73, v69, v68
	v_pk_fma_f16 v77, v72, v69, v77
	v_pk_fma_f16 v73, v73, v122, v76
	v_pk_fma_f16 v72, v72, v122, v121
	ds_load_2addr_b64 v[68:71], v115 offset1:32
	v_pk_fma_f16 v76, v75, v124, v125
	v_pk_fma_f16 v77, v74, v124, v77
	;; [unrolled: 1-line block ×4, first 2 shown]
	s_wait_dscnt 0x7
	v_and_b32_e32 v123, 0xffff, v0
	v_lshrrev_b32_e32 v0, 16, v0
	v_and_b32_e32 v124, 0xffff, v1
	v_lshrrev_b32_e32 v1, 16, v1
	v_and_b32_e32 v125, 0xffff, v3
	v_mul_u32_u24_e32 v123, 0x10001, v123
	v_mul_u32_u24_e32 v0, 0x10001, v0
	ds_load_2addr_b64 v[72:75], v115 offset0:64 offset1:96
	v_mul_u32_u24_e32 v1, 0x10001, v1
	v_mul_u32_u24_e32 v125, 0x10001, v125
	s_wait_dscnt 0x7
	v_pk_fma_f16 v76, v5, v123, v76
	v_pk_fma_f16 v77, v4, v123, v77
	v_mul_u32_u24_e32 v123, 0x10001, v124
	v_pk_fma_f16 v5, v5, v0, v121
	v_pk_fma_f16 v0, v4, v0, v122
	v_lshrrev_b32_e32 v124, 16, v3
	s_delay_alu instid0(VALU_DEP_4) | instskip(SKIP_1) | instid1(VALU_DEP_4)
	v_pk_fma_f16 v76, v7, v123, v76
	v_pk_fma_f16 v77, v6, v123, v77
	;; [unrolled: 1-line block ×3, first 2 shown]
	v_and_b32_e32 v0, 0xffff, v2
	v_lshrrev_b32_e32 v123, 16, v2
	v_pk_fma_f16 v121, v7, v1, v5
	v_mul_u32_u24_e32 v124, 0x10001, v124
	ds_load_b128 v[4:7], v97 offset:336
	v_mul_u32_u24_e32 v0, 0x10001, v0
	v_mul_u32_u24_e32 v123, 0x10001, v123
	s_wait_dscnt 0x7
	s_delay_alu instid0(VALU_DEP_2) | instskip(SKIP_1) | instid1(VALU_DEP_3)
	v_pk_fma_f16 v76, v9, v0, v76
	v_pk_fma_f16 v77, v8, v0, v77
	;; [unrolled: 1-line block ×4, first 2 shown]
	s_wait_dscnt 0x6
	v_and_b32_e32 v123, 0xffff, v12
	v_lshrrev_b32_e32 v12, 16, v12
	v_pk_fma_f16 v76, v11, v125, v76
	v_pk_fma_f16 v121, v11, v124, v9
	;; [unrolled: 1-line block ×4, first 2 shown]
	v_and_b32_e32 v124, 0xffff, v13
	v_mul_u32_u24_e32 v123, 0x10001, v123
	v_lshrrev_b32_e32 v13, 16, v13
	v_mul_u32_u24_e32 v12, 0x10001, v12
	v_and_b32_e32 v125, 0xffff, v15
	ds_load_2addr_b64 v[0:3], v115 offset0:128 offset1:160
	s_wait_dscnt 0x6
	v_pk_fma_f16 v76, v17, v123, v76
	v_pk_fma_f16 v77, v16, v123, v77
	v_mul_u32_u24_e32 v123, 0x10001, v124
	v_mul_u32_u24_e32 v13, 0x10001, v13
	v_pk_fma_f16 v17, v17, v12, v121
	v_pk_fma_f16 v12, v16, v12, v122
	v_lshrrev_b32_e32 v124, 16, v15
	v_pk_fma_f16 v76, v19, v123, v76
	v_pk_fma_f16 v77, v18, v123, v77
	v_lshrrev_b32_e32 v123, 16, v14
	v_pk_fma_f16 v122, v18, v13, v12
	v_and_b32_e32 v12, 0xffff, v14
	v_pk_fma_f16 v121, v19, v13, v17
	v_mul_u32_u24_e32 v125, 0x10001, v125
	v_mul_u32_u24_e32 v123, 0x10001, v123
	;; [unrolled: 1-line block ×4, first 2 shown]
	ds_load_b128 v[16:19], v97 offset:352
	ds_load_2addr_b64 v[8:11], v115 offset0:192 offset1:224
	s_wait_dscnt 0x7
	v_pk_fma_f16 v76, v21, v12, v76
	v_pk_fma_f16 v77, v20, v12, v77
	;; [unrolled: 1-line block ×4, first 2 shown]
	s_wait_dscnt 0x6
	v_and_b32_e32 v123, 0xffff, v24
	v_lshrrev_b32_e32 v24, 16, v24
	v_pk_fma_f16 v76, v23, v125, v76
	v_pk_fma_f16 v121, v23, v124, v21
	v_pk_fma_f16 v77, v22, v125, v77
	v_pk_fma_f16 v122, v22, v124, v20
	v_and_b32_e32 v124, 0xffff, v25
	v_mul_u32_u24_e32 v123, 0x10001, v123
	v_lshrrev_b32_e32 v25, 16, v25
	v_mul_u32_u24_e32 v24, 0x10001, v24
	v_and_b32_e32 v125, 0xffff, v27
	ds_load_2addr_b64 v[12:15], v116 offset1:32
	s_wait_dscnt 0x6
	v_pk_fma_f16 v76, v69, v123, v76
	v_pk_fma_f16 v77, v68, v123, v77
	v_mul_u32_u24_e32 v123, 0x10001, v124
	v_mul_u32_u24_e32 v25, 0x10001, v25
	v_pk_fma_f16 v69, v69, v24, v121
	v_pk_fma_f16 v24, v68, v24, v122
	v_lshrrev_b32_e32 v124, 16, v27
	v_pk_fma_f16 v76, v71, v123, v76
	v_pk_fma_f16 v77, v70, v123, v77
	v_lshrrev_b32_e32 v123, 16, v26
	v_pk_fma_f16 v122, v70, v25, v24
	v_and_b32_e32 v24, 0xffff, v26
	v_pk_fma_f16 v121, v71, v25, v69
	v_mul_u32_u24_e32 v125, 0x10001, v125
	v_mul_u32_u24_e32 v123, 0x10001, v123
	;; [unrolled: 1-line block ×4, first 2 shown]
	ds_load_2addr_b64 v[20:23], v116 offset0:64 offset1:96
	ds_load_b128 v[68:71], v97 offset:368
	s_wait_dscnt 0x7
	v_pk_fma_f16 v76, v73, v24, v76
	v_pk_fma_f16 v77, v72, v24, v77
	;; [unrolled: 1-line block ×4, first 2 shown]
	s_wait_dscnt 0x6
	v_and_b32_e32 v123, 0xffff, v4
	v_lshrrev_b32_e32 v4, 16, v4
	v_pk_fma_f16 v76, v75, v125, v76
	v_pk_fma_f16 v121, v75, v124, v73
	;; [unrolled: 1-line block ×4, first 2 shown]
	v_and_b32_e32 v124, 0xffff, v5
	v_mul_u32_u24_e32 v123, 0x10001, v123
	v_lshrrev_b32_e32 v5, 16, v5
	v_mul_u32_u24_e32 v4, 0x10001, v4
	ds_load_2addr_b64 v[24:27], v116 offset0:128 offset1:160
	ds_load_2addr_b64 v[72:75], v116 offset0:192 offset1:224
	s_wait_dscnt 0x7
	v_pk_fma_f16 v76, v1, v123, v76
	v_pk_fma_f16 v77, v0, v123, v77
	v_mul_u32_u24_e32 v123, 0x10001, v124
	v_mul_u32_u24_e32 v5, 0x10001, v5
	v_pk_fma_f16 v1, v1, v4, v121
	v_pk_fma_f16 v0, v0, v4, v122
	v_lshrrev_b32_e32 v122, 16, v6
	v_pk_fma_f16 v4, v3, v123, v76
	v_pk_fma_f16 v77, v2, v123, v77
	;; [unrolled: 1-line block ×4, first 2 shown]
	v_and_b32_e32 v5, 0xffff, v6
	v_lshrrev_b32_e32 v123, 16, v7
	v_mul_u32_u24_e32 v122, 0x10001, v122
	v_and_b32_e32 v124, 0xffff, v7
	ds_load_b128 v[0:3], v97 offset:384
	v_mul_u32_u24_e32 v5, 0x10001, v5
	v_mul_u32_u24_e32 v123, 0x10001, v123
	;; [unrolled: 1-line block ×3, first 2 shown]
	s_wait_dscnt 0x6
	s_delay_alu instid0(VALU_DEP_3)
	v_pk_fma_f16 v125, v9, v5, v4
	v_pk_fma_f16 v77, v8, v5, v77
	;; [unrolled: 1-line block ×4, first 2 shown]
	ds_load_2addr_b64 v[4:7], v117 offset1:32
	v_pk_fma_f16 v76, v11, v124, v125
	v_pk_fma_f16 v77, v10, v124, v77
	;; [unrolled: 1-line block ×4, first 2 shown]
	v_and_b32_e32 v123, 0xffff, v16
	v_lshrrev_b32_e32 v16, 16, v16
	v_and_b32_e32 v124, 0xffff, v17
	v_lshrrev_b32_e32 v17, 16, v17
	ds_load_2addr_b64 v[8:11], v117 offset0:64 offset1:96
	v_mul_u32_u24_e32 v123, 0x10001, v123
	v_mul_u32_u24_e32 v16, 0x10001, v16
	s_wait_dscnt 0x2
	v_lshrrev_b32_e32 v126, 16, v3
	v_mul_u32_u24_e32 v17, 0x10001, v17
	v_and_b32_e32 v3, 0xffff, v3
	v_pk_fma_f16 v76, v13, v123, v76
	v_pk_fma_f16 v77, v12, v123, v77
	v_mul_u32_u24_e32 v123, 0x10001, v124
	v_pk_fma_f16 v13, v13, v16, v121
	v_pk_fma_f16 v12, v12, v16, v122
	v_lshrrev_b32_e32 v122, 16, v18
	v_and_b32_e32 v124, 0xffff, v19
	v_pk_fma_f16 v16, v15, v123, v76
	v_pk_fma_f16 v76, v15, v17, v13
	;; [unrolled: 1-line block ×3, first 2 shown]
	v_and_b32_e32 v17, 0xffff, v18
	v_pk_fma_f16 v77, v14, v123, v77
	v_lshrrev_b32_e32 v123, 16, v19
	v_mul_u32_u24_e32 v122, 0x10001, v122
	v_mul_u32_u24_e32 v124, 0x10001, v124
	;; [unrolled: 1-line block ×3, first 2 shown]
	ds_load_b128 v[12:15], v97 offset:400
	v_mul_u32_u24_e32 v123, 0x10001, v123
	v_mul_u32_u24_e32 v3, 0x10001, v3
	v_pk_fma_f16 v125, v21, v17, v16
	v_pk_fma_f16 v77, v20, v17, v77
	v_pk_fma_f16 v21, v21, v122, v76
	v_pk_fma_f16 v20, v20, v122, v121
	ds_load_2addr_b64 v[16:19], v117 offset0:128 offset1:160
	v_pk_fma_f16 v76, v23, v124, v125
	v_pk_fma_f16 v77, v22, v124, v77
	;; [unrolled: 1-line block ×4, first 2 shown]
	v_and_b32_e32 v123, 0xffff, v68
	v_lshrrev_b32_e32 v68, 16, v68
	v_and_b32_e32 v124, 0xffff, v69
	v_lshrrev_b32_e32 v69, 16, v69
	ds_load_2addr_b64 v[20:23], v117 offset0:192 offset1:224
	v_mul_u32_u24_e32 v123, 0x10001, v123
	v_mul_u32_u24_e32 v68, 0x10001, v68
	;; [unrolled: 1-line block ×3, first 2 shown]
	s_delay_alu instid0(VALU_DEP_3)
	v_pk_fma_f16 v76, v25, v123, v76
	v_pk_fma_f16 v77, v24, v123, v77
	v_mul_u32_u24_e32 v123, 0x10001, v124
	v_pk_fma_f16 v25, v25, v68, v121
	v_pk_fma_f16 v24, v24, v68, v122
	v_lshrrev_b32_e32 v122, 16, v70
	v_and_b32_e32 v124, 0xffff, v71
	v_pk_fma_f16 v68, v27, v123, v76
	v_pk_fma_f16 v76, v27, v69, v25
	v_pk_fma_f16 v121, v26, v69, v24
	v_and_b32_e32 v69, 0xffff, v70
	v_pk_fma_f16 v77, v26, v123, v77
	v_lshrrev_b32_e32 v123, 16, v71
	v_mul_u32_u24_e32 v122, 0x10001, v122
	v_mul_u32_u24_e32 v124, 0x10001, v124
	;; [unrolled: 1-line block ×3, first 2 shown]
	ds_load_b128 v[24:27], v97 offset:416
	v_mul_u32_u24_e32 v123, 0x10001, v123
	v_pk_fma_f16 v125, v73, v69, v68
	v_pk_fma_f16 v77, v72, v69, v77
	;; [unrolled: 1-line block ×4, first 2 shown]
	ds_load_2addr_b64 v[68:71], v118 offset1:32
	v_pk_fma_f16 v76, v75, v124, v125
	v_pk_fma_f16 v77, v74, v124, v77
	v_pk_fma_f16 v121, v75, v123, v73
	v_pk_fma_f16 v122, v74, v123, v72
	v_and_b32_e32 v123, 0xffff, v0
	v_lshrrev_b32_e32 v0, 16, v0
	v_and_b32_e32 v124, 0xffff, v1
	v_lshrrev_b32_e32 v1, 16, v1
	ds_load_2addr_b64 v[72:75], v118 offset0:64 offset1:96
	v_mul_u32_u24_e32 v123, 0x10001, v123
	v_mul_u32_u24_e32 v0, 0x10001, v0
	;; [unrolled: 1-line block ×3, first 2 shown]
	s_wait_dscnt 0x7
	s_delay_alu instid0(VALU_DEP_3) | instskip(NEXT) | instid1(VALU_DEP_3)
	v_pk_fma_f16 v76, v5, v123, v76
	v_pk_fma_f16 v5, v5, v0, v121
	;; [unrolled: 1-line block ×4, first 2 shown]
	v_mul_u32_u24_e32 v123, 0x10001, v124
	s_delay_alu instid0(VALU_DEP_4) | instskip(NEXT) | instid1(VALU_DEP_4)
	v_pk_fma_f16 v121, v7, v1, v5
	v_pk_fma_f16 v0, v6, v1, v0
	v_and_b32_e32 v1, 0xffff, v2
	s_delay_alu instid0(VALU_DEP_4)
	v_pk_fma_f16 v76, v7, v123, v76
	v_pk_fma_f16 v77, v6, v123, v77
	v_lshrrev_b32_e32 v2, 16, v2
	ds_load_b128 v[4:7], v97 offset:432
	v_mul_u32_u24_e32 v1, 0x10001, v1
	ds_load_2addr_b64 v[122:125], v118 offset0:128 offset1:160
	v_mul_u32_u24_e32 v2, 0x10001, v2
	s_wait_dscnt 0x8
	v_pk_fma_f16 v76, v9, v1, v76
	v_pk_fma_f16 v1, v8, v1, v77
	v_mul_u32_u24_e32 v77, 0x10001, v126
	v_pk_fma_f16 v9, v9, v2, v121
	v_pk_fma_f16 v0, v8, v2, v0
	v_pk_fma_f16 v2, v11, v3, v76
	v_pk_fma_f16 v1, v10, v3, v1
	s_wait_dscnt 0x7
	v_and_b32_e32 v3, 0xffff, v12
	v_pk_fma_f16 v8, v11, v77, v9
	v_lshrrev_b32_e32 v9, 16, v12
	v_pk_fma_f16 v0, v10, v77, v0
	v_and_b32_e32 v10, 0xffff, v13
	v_mul_u32_u24_e32 v3, 0x10001, v3
	v_and_b32_e32 v11, 0xffff, v15
	ds_load_2addr_b64 v[126:129], v118 offset0:192 offset1:224
	v_mul_u32_u24_e32 v10, 0x10001, v10
	s_wait_dscnt 0x7
	v_pk_fma_f16 v2, v17, v3, v2
	v_pk_fma_f16 v1, v16, v3, v1
	v_lshrrev_b32_e32 v3, 16, v13
	v_mul_u32_u24_e32 v9, 0x10001, v9
	s_delay_alu instid0(VALU_DEP_4) | instskip(NEXT) | instid1(VALU_DEP_4)
	v_pk_fma_f16 v2, v19, v10, v2
	v_pk_fma_f16 v1, v18, v10, v1
	s_delay_alu instid0(VALU_DEP_4) | instskip(NEXT) | instid1(VALU_DEP_4)
	v_mul_u32_u24_e32 v3, 0x10001, v3
	v_pk_fma_f16 v8, v17, v9, v8
	v_pk_fma_f16 v0, v16, v9, v0
	v_dual_lshrrev_b32 v9, 16, v14 :: v_dual_lshrrev_b32 v10, 16, v15
	s_delay_alu instid0(VALU_DEP_3) | instskip(NEXT) | instid1(VALU_DEP_3)
	v_pk_fma_f16 v8, v19, v3, v8
	v_pk_fma_f16 v0, v18, v3, v0
	v_and_b32_e32 v3, 0xffff, v14
	s_delay_alu instid0(VALU_DEP_4)
	v_mul_u32_u24_e32 v10, 0x10001, v10
	ds_load_b128 v[16:19], v97 offset:448
	ds_load_2addr_b64 v[12:15], v119 offset1:32
	s_wait_dscnt 0x4
	v_dual_lshrrev_b32 v76, 16, v6 :: v_dual_lshrrev_b32 v77, 16, v7
	v_mul_u32_u24_e32 v3, 0x10001, v3
	v_and_b32_e32 v121, 0xffff, v7
	s_delay_alu instid0(VALU_DEP_3) | instskip(NEXT) | instid1(VALU_DEP_3)
	v_mul_u32_u24_e32 v76, 0x10001, v76
	v_pk_fma_f16 v2, v21, v3, v2
	v_pk_fma_f16 v1, v20, v3, v1
	v_mul_u32_u24_e32 v3, 0x10001, v9
	v_mul_u32_u24_e32 v9, 0x10001, v11
	;; [unrolled: 1-line block ×3, first 2 shown]
	s_delay_alu instid0(VALU_DEP_3)
	v_pk_fma_f16 v0, v20, v3, v0
	v_and_b32_e32 v20, 0xffff, v24
	v_pk_fma_f16 v8, v21, v3, v8
	v_pk_fma_f16 v2, v23, v9, v2
	v_pk_fma_f16 v1, v22, v9, v1
	v_lshrrev_b32_e32 v21, 16, v24
	v_mul_u32_u24_e32 v20, 0x10001, v20
	v_pk_fma_f16 v3, v23, v10, v8
	v_pk_fma_f16 v0, v22, v10, v0
	v_and_b32_e32 v22, 0xffff, v25
	v_and_b32_e32 v24, 0xffff, v26
	v_pk_fma_f16 v2, v69, v20, v2
	v_pk_fma_f16 v1, v68, v20, v1
	v_lshrrev_b32_e32 v20, 16, v25
	v_mul_u32_u24_e32 v21, 0x10001, v21
	v_mul_u32_u24_e32 v22, 0x10001, v22
	v_mul_u32_u24_e32 v24, 0x10001, v24
	ds_load_2addr_b64 v[8:11], v119 offset0:64 offset1:96
	v_mul_u32_u24_e32 v20, 0x10001, v20
	v_pk_fma_f16 v3, v69, v21, v3
	v_pk_fma_f16 v0, v68, v21, v0
	v_dual_lshrrev_b32 v68, 16, v26 :: v_dual_lshrrev_b32 v69, 16, v27
	v_pk_fma_f16 v1, v70, v22, v1
	s_delay_alu instid0(VALU_DEP_4) | instskip(NEXT) | instid1(VALU_DEP_4)
	v_pk_fma_f16 v3, v71, v20, v3
	v_pk_fma_f16 v0, v70, v20, v0
	s_delay_alu instid0(VALU_DEP_4)
	v_mul_u32_u24_e32 v68, 0x10001, v68
	v_pk_fma_f16 v2, v71, v22, v2
	v_and_b32_e32 v70, 0xffff, v27
	v_pk_fma_f16 v1, v72, v24, v1
	v_mul_u32_u24_e32 v69, 0x10001, v69
	v_pk_fma_f16 v3, v73, v68, v3
	v_pk_fma_f16 v0, v72, v68, v0
	v_and_b32_e32 v72, 0xffff, v4
	v_lshrrev_b32_e32 v4, 16, v4
	v_pk_fma_f16 v2, v73, v24, v2
	v_mul_u32_u24_e32 v70, 0x10001, v70
	v_pk_fma_f16 v71, v75, v69, v3
	v_pk_fma_f16 v69, v74, v69, v0
	v_and_b32_e32 v73, 0xffff, v5
	v_lshrrev_b32_e32 v5, 16, v5
	v_mul_u32_u24_e32 v4, 0x10001, v4
	v_pk_fma_f16 v68, v75, v70, v2
	v_pk_fma_f16 v70, v74, v70, v1
	v_mul_u32_u24_e32 v72, 0x10001, v72
	v_mul_u32_u24_e32 v5, 0x10001, v5
	s_wait_dscnt 0x4
	v_pk_fma_f16 v71, v123, v4, v71
	v_pk_fma_f16 v4, v122, v4, v69
	ds_load_b128 v[20:23], v97 offset:464
	v_pk_fma_f16 v68, v123, v72, v68
	v_pk_fma_f16 v70, v122, v72, v70
	v_mul_u32_u24_e32 v72, 0x10001, v73
	v_pk_fma_f16 v75, v124, v5, v4
	v_and_b32_e32 v4, 0xffff, v6
	v_pk_fma_f16 v74, v125, v5, v71
	s_wait_dscnt 0x3
	v_lshrrev_b32_e32 v122, 16, v17
	v_pk_fma_f16 v73, v125, v72, v68
	v_pk_fma_f16 v72, v124, v72, v70
	v_mul_u32_u24_e32 v4, 0x10001, v4
	v_pk_fma_f16 v74, v127, v76, v74
	v_pk_fma_f16 v75, v126, v76, v75
	v_and_b32_e32 v76, 0xffff, v16
	v_and_b32_e32 v123, 0xffff, v18
	v_pk_fma_f16 v73, v127, v4, v73
	v_pk_fma_f16 v72, v126, v4, v72
	v_dual_lshrrev_b32 v124, 16, v18 :: v_dual_lshrrev_b32 v125, 16, v19
	ds_load_2addr_b64 v[24:27], v119 offset0:128 offset1:160
	v_pk_fma_f16 v73, v129, v121, v73
	v_pk_fma_f16 v72, v128, v121, v72
	v_lshrrev_b32_e32 v121, 16, v16
	v_mul_u32_u24_e32 v16, 0x10001, v77
	v_and_b32_e32 v77, 0xffff, v17
	v_and_b32_e32 v126, 0xffff, v19
	ds_load_b128 v[68:71], v97 offset:480
	ds_load_2addr_b64 v[0:3], v119 offset0:192 offset1:224
	v_pk_fma_f16 v74, v129, v16, v74
	v_pk_fma_f16 v75, v128, v16, v75
	v_mul_u32_u24_e32 v16, 0x10001, v76
	v_mul_u32_u24_e32 v76, 0x10001, v121
	ds_load_2addr_b64 v[4:7], v120 offset1:32
	s_wait_dscnt 0x4
	v_and_b32_e32 v121, 0xffff, v22
	v_lshrrev_b32_e32 v22, 16, v22
	v_pk_fma_f16 v73, v13, v16, v73
	v_pk_fma_f16 v72, v12, v16, v72
	;; [unrolled: 1-line block ×3, first 2 shown]
	v_mul_u32_u24_e32 v75, 0x10001, v77
	v_pk_fma_f16 v13, v13, v76, v74
	v_and_b32_e32 v74, 0xffff, v20
	v_lshrrev_b32_e32 v20, 16, v20
	v_and_b32_e32 v77, 0xffff, v21
	v_pk_fma_f16 v73, v15, v75, v73
	v_pk_fma_f16 v72, v14, v75, v72
	v_mul_u32_u24_e32 v75, 0x10001, v122
	v_lshrrev_b32_e32 v21, 16, v21
	v_mul_u32_u24_e32 v20, 0x10001, v20
	v_lshrrev_b32_e32 v122, 16, v23
	v_and_b32_e32 v23, 0xffff, v23
	v_pk_fma_f16 v76, v15, v75, v13
	v_pk_fma_f16 v75, v14, v75, v12
	v_mul_u32_u24_e32 v12, 0x10001, v123
	v_mul_u32_u24_e32 v123, 0x10001, v124
	;; [unrolled: 1-line block ×3, first 2 shown]
	ds_load_2addr_b64 v[16:19], v120 offset0:64 offset1:96
	v_mul_u32_u24_e32 v23, 0x10001, v23
	v_pk_fma_f16 v73, v9, v12, v73
	v_pk_fma_f16 v72, v8, v12, v72
	ds_load_b128 v[12:15], v97 offset:496
	v_pk_fma_f16 v9, v9, v123, v76
	v_mul_u32_u24_e32 v76, 0x10001, v126
	v_pk_fma_f16 v8, v8, v123, v75
	s_wait_dscnt 0x4
	v_and_b32_e32 v75, 0xffff, v68
	v_lshrrev_b32_e32 v68, 16, v68
	v_and_b32_e32 v124, 0xffff, v69
	v_pk_fma_f16 v73, v11, v76, v73
	v_pk_fma_f16 v72, v10, v76, v72
	v_mul_u32_u24_e32 v76, 0x10001, v125
	v_lshrrev_b32_e32 v69, 16, v69
	v_mul_u32_u24_e32 v75, 0x10001, v75
	v_mul_u32_u24_e32 v68, 0x10001, v68
	v_and_b32_e32 v125, 0xffff, v70
	v_pk_fma_f16 v123, v11, v76, v9
	v_pk_fma_f16 v76, v10, v76, v8
	v_mul_u32_u24_e32 v8, 0x10001, v74
	v_mul_u32_u24_e32 v74, 0x10001, v77
	v_dual_lshrrev_b32 v70, 16, v70 :: v_dual_lshrrev_b32 v126, 16, v71
	v_mul_u32_u24_e32 v69, 0x10001, v69
	s_delay_alu instid0(VALU_DEP_4)
	v_pk_fma_f16 v73, v25, v8, v73
	v_pk_fma_f16 v72, v24, v8, v72
	;; [unrolled: 1-line block ×4, first 2 shown]
	s_wait_dscnt 0x0
	v_and_b32_e32 v24, 0xffff, v12
	v_pk_fma_f16 v73, v27, v74, v73
	v_pk_fma_f16 v72, v26, v74, v72
	v_lshrrev_b32_e32 v74, 16, v12
	v_mul_u32_u24_e32 v12, 0x10001, v21
	ds_load_2addr_b64 v[8:11], v120 offset0:128 offset1:160
	v_and_b32_e32 v71, 0xffff, v71
	v_mul_u32_u24_e32 v70, 0x10001, v70
	v_dual_lshrrev_b32 v76, 16, v14 :: v_dual_lshrrev_b32 v77, 16, v15
	v_pk_fma_f16 v21, v27, v12, v25
	v_pk_fma_f16 v20, v26, v12, v20
	v_mul_u32_u24_e32 v12, 0x10001, v121
	v_mul_u32_u24_e32 v121, 0x10001, v122
	;; [unrolled: 1-line block ×4, first 2 shown]
	v_and_b32_e32 v25, 0xffff, v13
	v_pk_fma_f16 v73, v1, v12, v73
	v_pk_fma_f16 v72, v0, v12, v72
	;; [unrolled: 1-line block ×4, first 2 shown]
	v_lshrrev_b32_e32 v26, 16, v13
	v_pk_fma_f16 v21, v3, v23, v73
	v_and_b32_e32 v27, 0xffff, v14
	v_pk_fma_f16 v1, v3, v121, v1
	v_pk_fma_f16 v3, v2, v23, v72
	;; [unrolled: 1-line block ×4, first 2 shown]
	v_and_b32_e32 v123, 0xffff, v15
	v_pk_fma_f16 v1, v5, v68, v1
	v_pk_fma_f16 v3, v4, v75, v3
	v_pk_fma_f16 v0, v4, v68, v0
	v_pk_fma_f16 v5, v7, v122, v21
	ds_load_2addr_b64 v[12:15], v120 offset0:192 offset1:224
	v_pk_fma_f16 v1, v7, v69, v1
	v_pk_fma_f16 v3, v6, v122, v3
	;; [unrolled: 1-line block ×3, first 2 shown]
	v_mul_u32_u24_e32 v71, 0x10001, v71
	v_mul_u32_u24_e32 v125, 0x10001, v126
	v_pk_fma_f16 v5, v17, v124, v5
	v_pk_fma_f16 v1, v17, v70, v1
	;; [unrolled: 1-line block ×4, first 2 shown]
	s_wait_dscnt 0x0
	s_barrier_signal -1
	s_barrier_wait -1
	s_load_b32 s2, s[36:37], 0x4
	v_mul_u32_u24_e32 v20, 0x10001, v24
	v_mul_u32_u24_e32 v2, 0x10001, v74
	v_pk_fma_f16 v5, v19, v71, v5
	v_pk_fma_f16 v1, v19, v125, v1
	v_pk_fma_f16 v3, v18, v71, v3
	v_pk_fma_f16 v0, v18, v125, v0
	v_mul_u32_u24_e32 v4, 0x10001, v25
	v_mul_u32_u24_e32 v6, 0x10001, v26
	v_pk_fma_f16 v5, v9, v20, v5
	v_pk_fma_f16 v1, v9, v2, v1
	v_pk_fma_f16 v3, v8, v20, v3
	v_pk_fma_f16 v0, v8, v2, v0
	;; [unrolled: 6-line block ×4, first 2 shown]
	s_wait_kmcnt 0x0
	s_lshl_b32 s2, s2, 7
	v_pk_fma_f16 v124, v15, v2, v5
	v_pk_fma_f16 v121, v15, v4, v1
	;; [unrolled: 1-line block ×4, first 2 shown]
	s_add_co_i32 s10, s2, s10
	s_delay_alu instid0(SALU_CYCLE_1)
	s_cmp_ge_i32 s10, s30
	s_cbranch_scc0 .LBB9_9
; %bb.10:
	v_mov_b32_e32 v3, v81
.LBB9_11:
	v_cmp_lt_i32_e32 vcc_lo, v90, v82
	s_cmp_lg_u64 s[12:13], 0
	s_cselect_b32 s2, -1, 0
	s_cmp_eq_u32 s31, 0
	v_cndmask_b32_e32 v0, v3, v90, vcc_lo
	v_cmp_lt_i32_e32 vcc_lo, v87, v82
	s_cselect_b32 s3, -1, 0
	s_delay_alu instid0(SALU_CYCLE_1) | instskip(NEXT) | instid1(VALU_DEP_2)
	s_and_b32 s2, s3, s2
	v_dual_cndmask_b32 v2, v3, v87 :: v_dual_lshlrev_b32 v1, 2, v0
	v_cmp_lt_i32_e32 vcc_lo, v86, v82
	s_delay_alu instid0(VALU_DEP_2)
	v_lshlrev_b32_e32 v2, 2, v2
	ds_bpermute_b32 v0, v1, v54
	ds_bpermute_b32 v1, v1, v55
	s_wait_dscnt 0x0
	v_pk_add_f32 v[0:1], v[54:55], v[0:1]
	ds_bpermute_b32 v4, v2, v0
	ds_bpermute_b32 v5, v2, v1
	v_cndmask_b32_e32 v2, v3, v86, vcc_lo
	v_cmp_lt_i32_e32 vcc_lo, v85, v82
	s_delay_alu instid0(VALU_DEP_2)
	v_lshlrev_b32_e32 v2, 2, v2
	s_wait_dscnt 0x0
	v_pk_add_f32 v[0:1], v[0:1], v[4:5]
	ds_bpermute_b32 v4, v2, v0
	ds_bpermute_b32 v5, v2, v1
	v_cndmask_b32_e32 v2, v3, v85, vcc_lo
	v_cmp_lt_i32_e32 vcc_lo, v83, v82
	s_delay_alu instid0(VALU_DEP_2)
	v_lshlrev_b32_e32 v2, 2, v2
	s_wait_dscnt 0x0
	v_pk_add_f32 v[0:1], v[0:1], v[4:5]
	ds_bpermute_b32 v4, v2, v0
	ds_bpermute_b32 v5, v2, v1
	v_cndmask_b32_e32 v2, v3, v83, vcc_lo
	s_and_b32 vcc_lo, exec_lo, s2
	s_delay_alu instid0(VALU_DEP_1)
	v_lshlrev_b32_e32 v3, 2, v2
	s_wait_dscnt 0x0
	v_pk_add_f32 v[0:1], v[0:1], v[4:5]
	ds_bpermute_b32 v2, v3, v0
	ds_bpermute_b32 v3, v3, v1
	s_wait_dscnt 0x0
	v_pk_add_f32 v[0:1], v[0:1], v[2:3]
	v_add_nc_u32_e32 v2, s33, v28
	s_cbranch_vccz .LBB9_13
; %bb.12:
	s_delay_alu instid0(VALU_DEP_1) | instskip(NEXT) | instid1(VALU_DEP_1)
	v_dual_ashrrev_i32 v3, 31, v2 :: v_dual_max_num_f32 v7, v67, v67
	v_lshl_add_u64 v[4:5], v[2:3], 2, s[12:13]
	v_max_num_f32_e32 v3, v66, v66
	global_load_b64 v[4:5], v[4:5], off
	s_wait_loadcnt 0x0
	v_dual_max_num_f32 v6, v4, v4 :: v_dual_max_num_f32 v8, v5, v5
	s_delay_alu instid0(VALU_DEP_1) | instskip(NEXT) | instid1(VALU_DEP_1)
	v_max_num_f32_e32 v6, v3, v6
	v_dual_max_num_f32 v7, v7, v8 :: v_dual_sub_f32 v3, v66, v6
	s_delay_alu instid0(VALU_DEP_1) | instskip(SKIP_2) | instid1(VALU_DEP_3)
	v_dual_sub_f32 v8, v4, v6 :: v_dual_sub_f32 v9, v67, v7
	v_sub_f32_e32 v10, v5, v7
	v_mov_b64_e32 v[66:67], v[6:7]
	v_dual_mul_f32 v4, 0x3fb8aa3b, v3 :: v_dual_mul_f32 v5, 0x3fb8aa3b, v8
	s_delay_alu instid0(VALU_DEP_4) | instskip(SKIP_1) | instid1(VALU_DEP_3)
	v_mul_f32_e32 v11, 0x3fb8aa3b, v9
	v_cmp_ngt_f32_e32 vcc_lo, 0xc2ce8ed0, v3
	v_fma_f32 v13, 0x3fb8aa3b, v3, -v4
	v_rndne_f32_e32 v14, v4
	s_delay_alu instid0(VALU_DEP_4) | instskip(SKIP_2) | instid1(VALU_DEP_4)
	v_rndne_f32_e32 v18, v11
	v_fma_f32 v17, 0x3fb8aa3b, v9, -v11
	v_rndne_f32_e32 v16, v5
	v_dual_fmac_f32 v13, 0x32a5705f, v3 :: v_dual_sub_f32 v4, v4, v14
	s_delay_alu instid0(VALU_DEP_4) | instskip(SKIP_4) | instid1(VALU_DEP_4)
	v_sub_f32_e32 v11, v11, v18
	v_mul_f32_e32 v12, 0x3fb8aa3b, v10
	v_fma_f32 v15, 0x3fb8aa3b, v8, -v5
	v_cvt_i32_f32_e32 v14, v14
	v_dual_add_f32 v4, v4, v13 :: v_dual_sub_f32 v5, v5, v16
	v_fma_f32 v19, 0x3fb8aa3b, v10, -v12
	v_rndne_f32_e32 v20, v12
	v_fmac_f32_e32 v17, 0x32a5705f, v9
	s_delay_alu instid0(VALU_DEP_4) | instskip(SKIP_1) | instid1(VALU_DEP_3)
	v_exp_f32_e32 v4, v4
	v_cvt_i32_f32_e32 v13, v16
	v_sub_f32_e32 v12, v12, v20
	v_cvt_i32_f32_e32 v16, v20
	s_delay_alu instid0(TRANS32_DEP_1) | instskip(NEXT) | instid1(VALU_DEP_1)
	v_ldexp_f32 v4, v4, v14
	v_dual_fmac_f32 v19, 0x32a5705f, v10 :: v_dual_cndmask_b32 v4, 0, v4
	s_delay_alu instid0(VALU_DEP_1) | instskip(SKIP_2) | instid1(VALU_DEP_3)
	v_dual_fmac_f32 v15, 0x32a5705f, v8 :: v_dual_add_f32 v12, v12, v19
	v_add_f32_e32 v11, v11, v17
	v_cmp_ngt_f32_e32 vcc_lo, 0xc2ce8ed0, v9
	v_add_f32_e32 v5, v5, v15
	v_cvt_i32_f32_e32 v15, v18
	s_delay_alu instid0(VALU_DEP_4) | instskip(SKIP_1) | instid1(VALU_DEP_2)
	v_exp_f32_e32 v11, v11
	v_exp_f32_e32 v12, v12
	;; [unrolled: 1-line block ×3, first 2 shown]
	s_delay_alu instid0(TRANS32_DEP_3) | instskip(NEXT) | instid1(VALU_DEP_1)
	v_ldexp_f32 v11, v11, v15
	v_cndmask_b32_e32 v11, 0, v11, vcc_lo
	v_cmp_nlt_f32_e32 vcc_lo, 0x42b17218, v3
	s_delay_alu instid0(TRANS32_DEP_1)
	v_ldexp_f32 v3, v5, v13
	v_cndmask_b32_e32 v4, 0x7f800000, v4, vcc_lo
	v_cmp_nlt_f32_e32 vcc_lo, 0x42b17218, v9
	v_ldexp_f32 v9, v12, v16
	v_cndmask_b32_e32 v5, 0x7f800000, v11, vcc_lo
	v_cmp_ngt_f32_e32 vcc_lo, 0xc2ce8ed0, v8
	v_cvt_f16_f32_e32 v11, v4
	s_delay_alu instid0(VALU_DEP_3) | instskip(SKIP_2) | instid1(VALU_DEP_4)
	v_cvt_f16_f32_e32 v12, v5
	v_cndmask_b32_e32 v3, 0, v3, vcc_lo
	v_cmp_ngt_f32_e32 vcc_lo, 0xc2ce8ed0, v10
	v_and_b32_e32 v11, 0xffff, v11
	v_cndmask_b32_e32 v9, 0, v9, vcc_lo
	v_cmp_nlt_f32_e32 vcc_lo, 0x42b17218, v8
	v_cndmask_b32_e32 v8, 0x7f800000, v3, vcc_lo
	v_and_b32_e32 v3, 0xffff, v12
	v_cmp_nlt_f32_e32 vcc_lo, 0x42b17218, v10
	v_mul_u32_u24_e32 v10, 0x10001, v11
	s_delay_alu instid0(VALU_DEP_3) | instskip(SKIP_1) | instid1(VALU_DEP_3)
	v_mul_u32_u24_e32 v3, 0x10001, v3
	v_cndmask_b32_e32 v9, 0x7f800000, v9, vcc_lo
	v_pk_mul_f16 v123, v123, v10
	v_pk_mul_f16 v124, v124, v10
	s_delay_alu instid0(VALU_DEP_4) | instskip(NEXT) | instid1(VALU_DEP_4)
	v_pk_mul_f16 v122, v122, v3
	v_pk_fma_f32 v[0:1], v[0:1], v[4:5], v[8:9]
	v_pk_mul_f16 v121, v121, v3
.LBB9_13:
	s_mov_b32 s2, exec_lo
	v_cmpx_gt_i32_e64 s22, v78
	s_cbranch_execz .LBB9_22
; %bb.14:
	s_load_b32 s0, s[0:1], 0xd4
	v_mov_b32_e32 v4, 1.0
	s_wait_kmcnt 0x0
	s_cmp_lg_u32 s0, 1
	s_cselect_b32 s2, -1, 0
	s_cmp_eq_u32 s0, 1
	s_cselect_b32 s1, -1, 0
	s_and_b32 vcc_lo, exec_lo, s2
	s_cbranch_vccnz .LBB9_16
; %bb.15:
	v_div_scale_f32 v3, null, v0, v0, 1.0
	s_delay_alu instid0(VALU_DEP_1) | instskip(SKIP_1) | instid1(TRANS32_DEP_1)
	v_rcp_f32_e32 v4, v3
	v_nop
	v_fma_f32 v5, -v3, v4, 1.0
	s_delay_alu instid0(VALU_DEP_1) | instskip(SKIP_1) | instid1(VALU_DEP_1)
	v_fmac_f32_e32 v4, v5, v4
	v_div_scale_f32 v5, vcc_lo, 1.0, v0, 1.0
	v_mul_f32_e32 v6, v5, v4
	s_delay_alu instid0(VALU_DEP_1) | instskip(NEXT) | instid1(VALU_DEP_1)
	v_fma_f32 v7, -v3, v6, v5
	v_fmac_f32_e32 v6, v7, v4
	s_delay_alu instid0(VALU_DEP_1) | instskip(NEXT) | instid1(VALU_DEP_1)
	v_fma_f32 v3, -v3, v6, v5
	v_div_fmas_f32 v3, v3, v4, v6
	s_delay_alu instid0(VALU_DEP_1)
	v_div_fixup_f32 v4, v3, v0, 1.0
.LBB9_16:
	v_mad_u32 v3, s28, s22, v78
	v_lshrrev_b32_e32 v5, 16, v124
	v_cvt_f32_f16_e32 v6, v123
	v_cvt_f32_f16_e32 v10, v124
	v_cmp_eq_u32_e32 vcc_lo, 0, v29
	v_mov_b32_e32 v9, 0
	v_cvt_f32_f16_e32 v11, v5
	s_and_b32 s2, vcc_lo, s2
	v_mad_u32 v2, v3, s23, v2
	v_lshrrev_b32_e32 v3, 16, v123
	s_delay_alu instid0(VALU_DEP_1) | instskip(NEXT) | instid1(VALU_DEP_1)
	v_cvt_f32_f16_e32 v7, v3
	v_pk_mul_f32 v[6:7], v[4:5], v[6:7] op_sel_hi:[0,1]
	s_delay_alu instid0(VALU_DEP_4) | instskip(NEXT) | instid1(VALU_DEP_1)
	v_mad_u32 v2, s0, v2, s31
	v_lshl_add_u32 v8, v2, 7, v79
	s_delay_alu instid0(VALU_DEP_1)
	v_lshl_add_u64 v[12:13], v[8:9], 2, s[16:17]
	v_pk_mul_f32 v[8:9], v[4:5], v[10:11] op_sel_hi:[0,1]
	global_store_b128 v[12:13], v[6:9], off
	s_wait_xcnt 0x0
	s_and_saveexec_b32 s3, s2
	s_cbranch_execz .LBB9_18
; %bb.17:
	v_dual_mov_b32 v4, v66 :: v_dual_mov_b32 v5, v0
	global_store_b64 v2, v[4:5], s[18:19] scale_offset
.LBB9_18:
	s_wait_xcnt 0x0
	s_or_b32 exec_lo, exec_lo, s3
	v_mov_b32_e32 v0, 1.0
	s_and_not1_b32 vcc_lo, exec_lo, s1
	s_cbranch_vccnz .LBB9_20
; %bb.19:
	v_div_scale_f32 v0, null, v1, v1, 1.0
	s_delay_alu instid0(VALU_DEP_1) | instskip(SKIP_1) | instid1(TRANS32_DEP_1)
	v_rcp_f32_e32 v3, v0
	v_nop
	v_fma_f32 v4, -v0, v3, 1.0
	s_delay_alu instid0(VALU_DEP_1) | instskip(SKIP_1) | instid1(VALU_DEP_1)
	v_fmac_f32_e32 v3, v4, v3
	v_div_scale_f32 v4, vcc_lo, 1.0, v1, 1.0
	v_mul_f32_e32 v5, v4, v3
	s_delay_alu instid0(VALU_DEP_1) | instskip(NEXT) | instid1(VALU_DEP_1)
	v_fma_f32 v6, -v0, v5, v4
	v_fmac_f32_e32 v5, v6, v3
	s_delay_alu instid0(VALU_DEP_1) | instskip(NEXT) | instid1(VALU_DEP_1)
	v_fma_f32 v0, -v0, v5, v4
	v_div_fmas_f32 v0, v0, v3, v5
	s_delay_alu instid0(VALU_DEP_1)
	v_div_fixup_f32 v0, v0, v1, 1.0
.LBB9_20:
	v_dual_mov_b32 v5, 0 :: v_dual_add_nc_u32 v2, s0, v2
	v_dual_lshrrev_b32 v3, 16, v122 :: v_dual_lshrrev_b32 v9, 16, v121
	v_cvt_f32_f16_e32 v6, v122
	s_delay_alu instid0(VALU_DEP_3) | instskip(SKIP_1) | instid1(VALU_DEP_4)
	v_lshl_add_u32 v4, v2, 7, v79
	v_cvt_f32_f16_e32 v8, v121
	v_cvt_f32_f16_e32 v7, v3
	;; [unrolled: 1-line block ×3, first 2 shown]
	s_delay_alu instid0(VALU_DEP_4) | instskip(NEXT) | instid1(VALU_DEP_3)
	v_lshl_add_u64 v[10:11], v[4:5], 2, s[16:17]
	v_pk_mul_f32 v[4:5], v[0:1], v[6:7] op_sel_hi:[0,1]
	s_delay_alu instid0(VALU_DEP_3)
	v_pk_mul_f32 v[6:7], v[0:1], v[8:9] op_sel_hi:[0,1]
	global_store_b128 v[10:11], v[4:7], off
	s_wait_xcnt 0x0
	s_and_b32 exec_lo, exec_lo, s2
	s_cbranch_execz .LBB9_22
; %bb.21:
	v_mov_b32_e32 v0, v67
	global_store_b64 v2, v[0:1], s[18:19] scale_offset
.LBB9_22:
	s_sendmsg sendmsg(MSG_DEALLOC_VGPRS)
	s_endpgm
	.section	.rodata,"a",@progbits
	.p2align	6, 0x0
	.amdhsa_kernel _ZL15flash_attn_tileILi128ELi128ELi2ELi8ELb0EEvPKcS1_S1_S1_S1_PKiPfP15HIP_vector_typeIfLj2EEffffjfiS5_IjLj3EEiiiiiiiiiiiliiliiiiil
		.amdhsa_group_segment_fixed_size 43008
		.amdhsa_private_segment_fixed_size 0
		.amdhsa_kernarg_size 464
		.amdhsa_user_sgpr_count 2
		.amdhsa_user_sgpr_dispatch_ptr 0
		.amdhsa_user_sgpr_queue_ptr 0
		.amdhsa_user_sgpr_kernarg_segment_ptr 1
		.amdhsa_user_sgpr_dispatch_id 0
		.amdhsa_user_sgpr_kernarg_preload_length 0
		.amdhsa_user_sgpr_kernarg_preload_offset 0
		.amdhsa_user_sgpr_private_segment_size 0
		.amdhsa_wavefront_size32 1
		.amdhsa_uses_dynamic_stack 0
		.amdhsa_enable_private_segment 0
		.amdhsa_system_sgpr_workgroup_id_x 1
		.amdhsa_system_sgpr_workgroup_id_y 1
		.amdhsa_system_sgpr_workgroup_id_z 1
		.amdhsa_system_sgpr_workgroup_info 0
		.amdhsa_system_vgpr_workitem_id 1
		.amdhsa_next_free_vgpr 138
		.amdhsa_next_free_sgpr 42
		.amdhsa_named_barrier_count 0
		.amdhsa_reserve_vcc 1
		.amdhsa_float_round_mode_32 0
		.amdhsa_float_round_mode_16_64 0
		.amdhsa_float_denorm_mode_32 3
		.amdhsa_float_denorm_mode_16_64 3
		.amdhsa_fp16_overflow 0
		.amdhsa_memory_ordered 1
		.amdhsa_forward_progress 1
		.amdhsa_inst_pref_size 125
		.amdhsa_round_robin_scheduling 0
		.amdhsa_exception_fp_ieee_invalid_op 0
		.amdhsa_exception_fp_denorm_src 0
		.amdhsa_exception_fp_ieee_div_zero 0
		.amdhsa_exception_fp_ieee_overflow 0
		.amdhsa_exception_fp_ieee_underflow 0
		.amdhsa_exception_fp_ieee_inexact 0
		.amdhsa_exception_int_div_zero 0
	.end_amdhsa_kernel
	.section	.text._ZL15flash_attn_tileILi128ELi128ELi2ELi8ELb0EEvPKcS1_S1_S1_S1_PKiPfP15HIP_vector_typeIfLj2EEffffjfiS5_IjLj3EEiiiiiiiiiiiliiliiiiil,"axG",@progbits,_ZL15flash_attn_tileILi128ELi128ELi2ELi8ELb0EEvPKcS1_S1_S1_S1_PKiPfP15HIP_vector_typeIfLj2EEffffjfiS5_IjLj3EEiiiiiiiiiiiliiliiiiil,comdat
.Lfunc_end9:
	.size	_ZL15flash_attn_tileILi128ELi128ELi2ELi8ELb0EEvPKcS1_S1_S1_S1_PKiPfP15HIP_vector_typeIfLj2EEffffjfiS5_IjLj3EEiiiiiiiiiiiliiliiiiil, .Lfunc_end9-_ZL15flash_attn_tileILi128ELi128ELi2ELi8ELb0EEvPKcS1_S1_S1_S1_PKiPfP15HIP_vector_typeIfLj2EEffffjfiS5_IjLj3EEiiiiiiiiiiiliiliiiiil
                                        ; -- End function
	.set _ZL15flash_attn_tileILi128ELi128ELi2ELi8ELb0EEvPKcS1_S1_S1_S1_PKiPfP15HIP_vector_typeIfLj2EEffffjfiS5_IjLj3EEiiiiiiiiiiiliiliiiiil.num_vgpr, 138
	.set _ZL15flash_attn_tileILi128ELi128ELi2ELi8ELb0EEvPKcS1_S1_S1_S1_PKiPfP15HIP_vector_typeIfLj2EEffffjfiS5_IjLj3EEiiiiiiiiiiiliiliiiiil.num_agpr, 0
	.set _ZL15flash_attn_tileILi128ELi128ELi2ELi8ELb0EEvPKcS1_S1_S1_S1_PKiPfP15HIP_vector_typeIfLj2EEffffjfiS5_IjLj3EEiiiiiiiiiiiliiliiiiil.numbered_sgpr, 42
	.set _ZL15flash_attn_tileILi128ELi128ELi2ELi8ELb0EEvPKcS1_S1_S1_S1_PKiPfP15HIP_vector_typeIfLj2EEffffjfiS5_IjLj3EEiiiiiiiiiiiliiliiiiil.num_named_barrier, 0
	.set _ZL15flash_attn_tileILi128ELi128ELi2ELi8ELb0EEvPKcS1_S1_S1_S1_PKiPfP15HIP_vector_typeIfLj2EEffffjfiS5_IjLj3EEiiiiiiiiiiiliiliiiiil.private_seg_size, 0
	.set _ZL15flash_attn_tileILi128ELi128ELi2ELi8ELb0EEvPKcS1_S1_S1_S1_PKiPfP15HIP_vector_typeIfLj2EEffffjfiS5_IjLj3EEiiiiiiiiiiiliiliiiiil.uses_vcc, 1
	.set _ZL15flash_attn_tileILi128ELi128ELi2ELi8ELb0EEvPKcS1_S1_S1_S1_PKiPfP15HIP_vector_typeIfLj2EEffffjfiS5_IjLj3EEiiiiiiiiiiiliiliiiiil.uses_flat_scratch, 0
	.set _ZL15flash_attn_tileILi128ELi128ELi2ELi8ELb0EEvPKcS1_S1_S1_S1_PKiPfP15HIP_vector_typeIfLj2EEffffjfiS5_IjLj3EEiiiiiiiiiiiliiliiiiil.has_dyn_sized_stack, 0
	.set _ZL15flash_attn_tileILi128ELi128ELi2ELi8ELb0EEvPKcS1_S1_S1_S1_PKiPfP15HIP_vector_typeIfLj2EEffffjfiS5_IjLj3EEiiiiiiiiiiiliiliiiiil.has_recursion, 0
	.set _ZL15flash_attn_tileILi128ELi128ELi2ELi8ELb0EEvPKcS1_S1_S1_S1_PKiPfP15HIP_vector_typeIfLj2EEffffjfiS5_IjLj3EEiiiiiiiiiiiliiliiiiil.has_indirect_call, 0
	.section	.AMDGPU.csdata,"",@progbits
; Kernel info:
; codeLenInByte = 15988
; TotalNumSgprs: 44
; NumVgprs: 138
; ScratchSize: 0
; MemoryBound: 0
; FloatMode: 240
; IeeeMode: 1
; LDSByteSize: 43008 bytes/workgroup (compile time only)
; SGPRBlocks: 0
; VGPRBlocks: 8
; NumSGPRsForWavesPerEU: 44
; NumVGPRsForWavesPerEU: 138
; NamedBarCnt: 0
; Occupancy: 7
; WaveLimiterHint : 1
; COMPUTE_PGM_RSRC2:SCRATCH_EN: 0
; COMPUTE_PGM_RSRC2:USER_SGPR: 2
; COMPUTE_PGM_RSRC2:TRAP_HANDLER: 0
; COMPUTE_PGM_RSRC2:TGID_X_EN: 1
; COMPUTE_PGM_RSRC2:TGID_Y_EN: 1
; COMPUTE_PGM_RSRC2:TGID_Z_EN: 1
; COMPUTE_PGM_RSRC2:TIDIG_COMP_CNT: 1
	.section	.text._ZL25flash_attn_mask_to_KV_maxILi2EEvPK7__half2Piiii,"axG",@progbits,_ZL25flash_attn_mask_to_KV_maxILi2EEvPK7__half2Piiii,comdat
	.globl	_ZL25flash_attn_mask_to_KV_maxILi2EEvPK7__half2Piiii ; -- Begin function _ZL25flash_attn_mask_to_KV_maxILi2EEvPK7__half2Piiii
	.p2align	8
	.type	_ZL25flash_attn_mask_to_KV_maxILi2EEvPK7__half2Piiii,@function
_ZL25flash_attn_mask_to_KV_maxILi2EEvPK7__half2Piiii: ; @_ZL25flash_attn_mask_to_KV_maxILi2EEvPK7__half2Piiii
; %bb.0:
	s_load_b128 s[4:7], s[0:1], 0x0
	s_mov_b32 s2, exec_lo
	v_cmpx_gt_u32_e32 32, v0
; %bb.1:
	v_dual_mov_b32 v2, 1 :: v_dual_lshlrev_b32 v1, 2, v0
	ds_store_b32 v1, v2
; %bb.2:
	s_or_b32 exec_lo, exec_lo, s2
	s_clause 0x1
	s_load_b96 s[8:10], s[0:1], 0x10
	s_load_b32 s11, s[0:1], 0x20
	s_wait_xcnt 0x0
	s_bfe_u32 s1, ttmp6, 0x4000c
	s_bfe_u32 s2, ttmp6, 0x40010
	s_add_co_i32 s1, s1, 1
	s_add_co_i32 s2, s2, 1
	s_and_b32 s0, ttmp6, 15
	s_bfe_u32 s3, ttmp6, 0x40004
	s_mul_i32 s1, ttmp9, s1
	s_mul_i32 s2, ttmp7, s2
	s_getreg_b32 s12, hwreg(HW_REG_IB_STS2, 6, 4)
	s_add_co_i32 s0, s0, s1
	s_add_co_i32 s3, s3, s2
	s_cmp_eq_u32 s12, 0
	v_dual_lshrrev_b32 v1, 3, v0 :: v_dual_bitop2_b32 v2, 31, v0 bitop3:0x40
	s_cselect_b32 s1, ttmp9, s0
	s_cselect_b32 s12, ttmp7, s3
	s_wait_dscnt 0x0
	s_barrier_signal -1
	s_wait_kmcnt 0x0
	s_mul_i32 s0, s1, s9
	s_mul_i32 s2, s10, s12
	s_lshl_b32 s0, s0, 1
	s_barrier_wait -1
	s_add_co_i32 s2, s2, s0
	v_cmp_eq_u32_e64 s0, 0, v2
	s_ashr_i32 s3, s2, 31
	v_lshlrev_b32_e32 v2, 2, v2
	s_lshl_b64 s[2:3], s[2:3], 2
	s_delay_alu instid0(SALU_CYCLE_1)
	s_add_nc_u64 s[2:3], s[4:5], s[2:3]
	s_lshl_b32 s5, s8, 8
	s_branch .LBB10_4
.LBB10_3:                               ;   in Loop: Header=BB10_4 Depth=1
	s_or_b32 exec_lo, exec_lo, s8
	s_wait_dscnt 0x0
	s_barrier_signal -1
	s_barrier_wait -1
	ds_load_b32 v3, v2
	s_wait_dscnt 0x0
	s_barrier_signal -1
	s_barrier_wait -1
	v_cmp_ne_u32_e32 vcc_lo, 0, v3
	s_cmp_lg_u32 vcc_lo, exec_lo
	s_cselect_b32 s8, -1, 0
	s_delay_alu instid0(SALU_CYCLE_1)
	s_and_b32 vcc_lo, exec_lo, s8
	s_cbranch_vccnz .LBB10_12
.LBB10_4:                               ; =>This Inner Loop Header: Depth=1
	s_mov_b32 s4, s5
	s_addk_co_i32 s5, 0xff00
	s_delay_alu instid0(SALU_CYCLE_1)
	s_cmp_lt_i32 s5, 0
	s_cbranch_scc1 .LBB10_11
; %bb.5:                                ;   in Loop: Header=BB10_4 Depth=1
	s_lshr_b32 s8, s5, 1
	s_delay_alu instid0(SALU_CYCLE_1) | instskip(SKIP_4) | instid1(VALU_DEP_2)
	v_add_nc_u32_e32 v3, s8, v0
	global_load_b32 v4, v3, s[2:3] scale_offset
	s_wait_loadcnt 0x0
	v_lshrrev_b32_e32 v5, 16, v4
	v_cmp_class_f16_e64 s8, v4, 0x204
	v_cmp_class_f16_e64 s10, v5, 0x204
	s_and_b32 s13, s8, s10
	s_mov_b32 s10, 0
	s_and_saveexec_b32 s8, s13
	s_cbranch_execz .LBB10_9
; %bb.6:                                ;   in Loop: Header=BB10_4 Depth=1
	v_add_nc_u32_e32 v3, s9, v3
	global_load_b32 v3, v3, s[2:3] scale_offset
	s_wait_loadcnt 0x0
	v_cmp_class_f16_e64 s14, v3, 0x204
	s_and_saveexec_b32 s13, s14
; %bb.7:                                ;   in Loop: Header=BB10_4 Depth=1
	v_lshrrev_b32_e32 v3, 16, v3
	s_delay_alu instid0(VALU_DEP_1)
	v_cmp_class_f16_e64 s10, v3, 0x204
	s_and_b32 s10, s10, exec_lo
; %bb.8:                                ;   in Loop: Header=BB10_4 Depth=1
	s_or_b32 exec_lo, exec_lo, s13
	s_delay_alu instid0(SALU_CYCLE_1)
	s_and_b32 s10, s10, exec_lo
.LBB10_9:                               ;   in Loop: Header=BB10_4 Depth=1
	s_or_b32 exec_lo, exec_lo, s8
	v_cndmask_b32_e64 v3, 0, 1, s10
	s_mov_b32 s13, exec_lo
	s_delay_alu instid0(VALU_DEP_1)
	v_cmp_ne_u32_e32 vcc_lo, 0, v3
	s_and_saveexec_b32 s8, s0
	s_cbranch_execz .LBB10_3
; %bb.10:                               ;   in Loop: Header=BB10_4 Depth=1
	s_cmp_eq_u32 vcc_lo, s13
	s_cselect_b32 s10, -1, 0
	s_delay_alu instid0(SALU_CYCLE_1)
	v_cndmask_b32_e64 v3, 0, 1, s10
	ds_store_b32 v1, v3
	s_branch .LBB10_3
.LBB10_11:                              ;   in Loop: Header=BB10_4 Depth=1
	s_cbranch_execz .LBB10_4
.LBB10_12:
	s_mov_b32 s0, exec_lo
	v_cmpx_eq_u32_e32 0, v0
	s_cbranch_execz .LBB10_14
; %bb.13:
	s_mul_i32 s0, s11, s12
	v_mov_b32_e32 v1, s4
	s_add_co_i32 s0, s0, s1
	s_delay_alu instid0(SALU_CYCLE_1)
	v_mov_b32_e32 v0, s0
	global_store_b32 v0, v1, s[6:7] scale_offset
.LBB10_14:
	s_endpgm
	.section	.rodata,"a",@progbits
	.p2align	6, 0x0
	.amdhsa_kernel _ZL25flash_attn_mask_to_KV_maxILi2EEvPK7__half2Piiii
		.amdhsa_group_segment_fixed_size 128
		.amdhsa_private_segment_fixed_size 0
		.amdhsa_kernarg_size 288
		.amdhsa_user_sgpr_count 2
		.amdhsa_user_sgpr_dispatch_ptr 0
		.amdhsa_user_sgpr_queue_ptr 0
		.amdhsa_user_sgpr_kernarg_segment_ptr 1
		.amdhsa_user_sgpr_dispatch_id 0
		.amdhsa_user_sgpr_kernarg_preload_length 0
		.amdhsa_user_sgpr_kernarg_preload_offset 0
		.amdhsa_user_sgpr_private_segment_size 0
		.amdhsa_wavefront_size32 1
		.amdhsa_uses_dynamic_stack 0
		.amdhsa_enable_private_segment 0
		.amdhsa_system_sgpr_workgroup_id_x 1
		.amdhsa_system_sgpr_workgroup_id_y 1
		.amdhsa_system_sgpr_workgroup_id_z 0
		.amdhsa_system_sgpr_workgroup_info 0
		.amdhsa_system_vgpr_workitem_id 0
		.amdhsa_next_free_vgpr 6
		.amdhsa_next_free_sgpr 15
		.amdhsa_named_barrier_count 0
		.amdhsa_reserve_vcc 1
		.amdhsa_float_round_mode_32 0
		.amdhsa_float_round_mode_16_64 0
		.amdhsa_float_denorm_mode_32 3
		.amdhsa_float_denorm_mode_16_64 3
		.amdhsa_fp16_overflow 0
		.amdhsa_memory_ordered 1
		.amdhsa_forward_progress 1
		.amdhsa_inst_pref_size 5
		.amdhsa_round_robin_scheduling 0
		.amdhsa_exception_fp_ieee_invalid_op 0
		.amdhsa_exception_fp_denorm_src 0
		.amdhsa_exception_fp_ieee_div_zero 0
		.amdhsa_exception_fp_ieee_overflow 0
		.amdhsa_exception_fp_ieee_underflow 0
		.amdhsa_exception_fp_ieee_inexact 0
		.amdhsa_exception_int_div_zero 0
	.end_amdhsa_kernel
	.section	.text._ZL25flash_attn_mask_to_KV_maxILi2EEvPK7__half2Piiii,"axG",@progbits,_ZL25flash_attn_mask_to_KV_maxILi2EEvPK7__half2Piiii,comdat
.Lfunc_end10:
	.size	_ZL25flash_attn_mask_to_KV_maxILi2EEvPK7__half2Piiii, .Lfunc_end10-_ZL25flash_attn_mask_to_KV_maxILi2EEvPK7__half2Piiii
                                        ; -- End function
	.set _ZL25flash_attn_mask_to_KV_maxILi2EEvPK7__half2Piiii.num_vgpr, 6
	.set _ZL25flash_attn_mask_to_KV_maxILi2EEvPK7__half2Piiii.num_agpr, 0
	.set _ZL25flash_attn_mask_to_KV_maxILi2EEvPK7__half2Piiii.numbered_sgpr, 15
	.set _ZL25flash_attn_mask_to_KV_maxILi2EEvPK7__half2Piiii.num_named_barrier, 0
	.set _ZL25flash_attn_mask_to_KV_maxILi2EEvPK7__half2Piiii.private_seg_size, 0
	.set _ZL25flash_attn_mask_to_KV_maxILi2EEvPK7__half2Piiii.uses_vcc, 1
	.set _ZL25flash_attn_mask_to_KV_maxILi2EEvPK7__half2Piiii.uses_flat_scratch, 0
	.set _ZL25flash_attn_mask_to_KV_maxILi2EEvPK7__half2Piiii.has_dyn_sized_stack, 0
	.set _ZL25flash_attn_mask_to_KV_maxILi2EEvPK7__half2Piiii.has_recursion, 0
	.set _ZL25flash_attn_mask_to_KV_maxILi2EEvPK7__half2Piiii.has_indirect_call, 0
	.section	.AMDGPU.csdata,"",@progbits
; Kernel info:
; codeLenInByte = 548
; TotalNumSgprs: 17
; NumVgprs: 6
; ScratchSize: 0
; MemoryBound: 0
; FloatMode: 240
; IeeeMode: 1
; LDSByteSize: 128 bytes/workgroup (compile time only)
; SGPRBlocks: 0
; VGPRBlocks: 0
; NumSGPRsForWavesPerEU: 17
; NumVGPRsForWavesPerEU: 6
; NamedBarCnt: 0
; Occupancy: 16
; WaveLimiterHint : 0
; COMPUTE_PGM_RSRC2:SCRATCH_EN: 0
; COMPUTE_PGM_RSRC2:USER_SGPR: 2
; COMPUTE_PGM_RSRC2:TRAP_HANDLER: 0
; COMPUTE_PGM_RSRC2:TGID_X_EN: 1
; COMPUTE_PGM_RSRC2:TGID_Y_EN: 1
; COMPUTE_PGM_RSRC2:TGID_Z_EN: 0
; COMPUTE_PGM_RSRC2:TIDIG_COMP_CNT: 0
	.section	.text._ZL33flash_attn_stream_k_fixup_uniformILi128ELi2ELi8EEvPfPK15HIP_vector_typeIfLj2EEiiiiiiS1_IjLj3EES5_S5_,"axG",@progbits,_ZL33flash_attn_stream_k_fixup_uniformILi128ELi2ELi8EEvPfPK15HIP_vector_typeIfLj2EEiiiiiiS1_IjLj3EES5_S5_,comdat
	.globl	_ZL33flash_attn_stream_k_fixup_uniformILi128ELi2ELi8EEvPfPK15HIP_vector_typeIfLj2EEiiiiiiS1_IjLj3EES5_S5_ ; -- Begin function _ZL33flash_attn_stream_k_fixup_uniformILi128ELi2ELi8EEvPfPK15HIP_vector_typeIfLj2EEiiiiiiS1_IjLj3EES5_S5_
	.p2align	8
	.type	_ZL33flash_attn_stream_k_fixup_uniformILi128ELi2ELi8EEvPfPK15HIP_vector_typeIfLj2EEiiiiiiS1_IjLj3EES5_S5_,@function
_ZL33flash_attn_stream_k_fixup_uniformILi128ELi2ELi8EEvPfPK15HIP_vector_typeIfLj2EEiiiiiiS1_IjLj3EES5_S5_: ; @_ZL33flash_attn_stream_k_fixup_uniformILi128ELi2ELi8EEvPfPK15HIP_vector_typeIfLj2EEiiiiiiS1_IjLj3EES5_S5_
; %bb.0:
	s_load_b256 s[4:11], s[0:1], 0x1c
	s_bfe_u32 s2, ttmp6, 0x40014
	s_lshr_b32 s3, ttmp7, 16
	s_add_co_i32 s2, s2, 1
	s_bfe_u32 s13, ttmp6, 0x40010
	s_mul_i32 s2, s3, s2
	s_bfe_u32 s12, ttmp6, 0x40008
	s_and_b32 s15, ttmp7, 0xffff
	s_add_co_i32 s13, s13, 1
	s_bfe_u32 s14, ttmp6, 0x4000c
	s_add_co_i32 s12, s12, s2
	s_mul_i32 s2, s15, s13
	s_bfe_u32 s13, ttmp6, 0x40004
	s_add_co_i32 s14, s14, 1
	s_add_co_i32 s13, s13, s2
	s_and_b32 s2, ttmp6, 15
	s_mul_i32 s14, ttmp9, s14
	s_getreg_b32 s20, hwreg(HW_REG_IB_STS2, 6, 4)
	s_add_co_i32 s2, s2, s14
	s_load_b128 s[16:19], s[0:1], 0x3c
	s_cmp_eq_u32 s20, 0
	s_cselect_b32 s14, ttmp9, s2
	s_cselect_b32 s13, s15, s13
	s_wait_kmcnt 0x0
	s_mul_hi_u32 s2, s7, s14
	s_cselect_b32 s12, s3, s12
	s_add_co_i32 s2, s14, s2
	s_delay_alu instid0(SALU_CYCLE_1) | instskip(NEXT) | instid1(SALU_CYCLE_1)
	s_lshr_b32 s7, s2, s8
	s_mul_i32 s2, s7, s9
	s_delay_alu instid0(SALU_CYCLE_1) | instskip(NEXT) | instid1(SALU_CYCLE_1)
	s_sub_co_i32 s8, s14, s2
	s_mul_hi_u32 s2, s8, s10
	s_delay_alu instid0(SALU_CYCLE_1) | instskip(SKIP_2) | instid1(SALU_CYCLE_1)
	s_add_co_i32 s9, s8, s2
	s_load_b64 s[2:3], s[0:1], 0x10
	s_lshr_b32 s15, s9, s11
	s_mul_i32 s9, s15, s16
	s_delay_alu instid0(SALU_CYCLE_1) | instskip(NEXT) | instid1(SALU_CYCLE_1)
	s_sub_co_i32 s8, s8, s9
	s_mul_hi_u32 s9, s8, s17
	s_delay_alu instid0(SALU_CYCLE_1) | instskip(NEXT) | instid1(SALU_CYCLE_1)
	s_add_co_i32 s9, s8, s9
	s_lshr_b32 s9, s9, s18
	s_delay_alu instid0(SALU_CYCLE_1) | instskip(SKIP_2) | instid1(SALU_CYCLE_1)
	s_mul_i32 s10, s9, s19
	s_lshl_b32 s17, s9, 3
	s_sub_co_i32 s16, s8, s10
	s_lshl_b32 s8, s16, 1
	s_delay_alu instid0(SALU_CYCLE_1) | instskip(SKIP_4) | instid1(SALU_CYCLE_1)
	s_add_co_i32 s8, s8, s13
	s_wait_kmcnt 0x0
	s_cmp_lt_i32 s8, s2
	s_cselect_b32 s8, -1, 0
	s_add_co_i32 s9, s17, s12
	s_cmp_lt_i32 s9, s5
	s_cselect_b32 s9, -1, 0
	s_delay_alu instid0(SALU_CYCLE_1) | instskip(NEXT) | instid1(SALU_CYCLE_1)
	s_and_b32 s8, s8, s9
	s_and_not1_b32 vcc_lo, exec_lo, s8
	s_cbranch_vccnz .LBB11_6
; %bb.1:
	s_mul_i32 s2, s7, s2
	s_load_b128 s[8:11], s[0:1], 0x0
	s_wait_xcnt 0x0
	s_add_co_i32 s0, s2, s13
	s_mul_i32 s15, s15, s5
	s_mul_i32 s0, s0, s3
	;; [unrolled: 1-line block ×3, first 2 shown]
	s_add_co_i32 s0, s0, s12
	s_lshl_b32 s1, s1, 8
	s_add_co_i32 s0, s0, s15
	s_mul_i32 s7, s6, s14
	s_add_co_i32 s0, s0, s17
	s_lshl_b32 s5, s13, 3
	s_lshl_b32 s0, s0, 7
	s_add_co_i32 s15, s7, s6
	s_add_co_i32 s1, s1, s0
	;; [unrolled: 1-line block ×3, first 2 shown]
	v_or_b32_e32 v4, s1, v0
	s_lshl_b32 s1, s15, 4
	s_add_co_i32 s2, s15, -2
	s_add_co_i32 s0, s0, s1
	s_delay_alu instid0(SALU_CYCLE_1)
	s_add_co_i32 s0, s0, -16
	s_wait_kmcnt 0x0
	global_load_b32 v3, v4, s[8:9] scale_offset
	s_ashr_i32 s1, s0, 31
	v_ashrrev_i32_e32 v5, 31, v4
	s_lshl_b64 s[0:1], s[0:1], 3
	s_cmp_lt_i32 s2, s7
	s_add_nc_u64 s[0:1], s[10:11], s[0:1]
	s_load_b32 s16, s[0:1], 0x4
	s_cbranch_scc1 .LBB11_4
; %bb.2:
	s_wait_xcnt 0x0
	s_load_b32 s0, s[0:1], 0x0
	s_add_co_i32 s14, s14, 1
	s_lshl_b32 s3, s13, 10
	s_wait_xcnt 0x0
	s_mul_i32 s1, s6, s14
	s_lshl_b32 s6, s12, 7
	s_lshl_b32 s13, s1, 11
	s_add_co_i32 s6, s6, s3
	s_lshl_b32 s1, s1, 4
	s_add_co_i32 s6, s6, s13
	s_lshl_b32 s2, s4, 6
	s_wait_kmcnt 0x0
	v_dual_mov_b32 v2, s16 :: v_dual_bitop2_b32 v0, s6, v0 bitop3:0x54
	s_add_co_i32 s1, s12, s1
	s_lshl_b32 s4, s4, 4
	s_ashr_i32 s3, s2, 31
	s_add_co_i32 s1, s1, s4
	v_add_nc_u32_e32 v0, 0xfffff000, v0
	s_lshl_b64 s[2:3], s[2:3], 2
	s_add_co_i32 s4, s1, s5
	s_add_nc_u64 s[2:3], s[10:11], s[2:3]
	s_add_co_i32 s1, s15, -1
	s_sub_co_i32 s4, s4, 32
.LBB11_3:                               ; =>This Inner Loop Header: Depth=1
	global_load_b32 v7, v0, s[2:3] scale_offset
	s_ashr_i32 s5, s4, 31
	v_max_num_f32_e64 v1, s0, s0
	s_lshl_b64 s[12:13], s[4:5], 3
	s_delay_alu instid0(SALU_CYCLE_1) | instskip(SKIP_1) | instid1(VALU_DEP_1)
	s_add_nc_u64 s[12:13], s[10:11], s[12:13]
	s_load_b64 s[12:13], s[12:13], 0x0
	v_readfirstlane_b32 s5, v1
	v_add_nc_u32_e32 v0, 0xfffff800, v0
	s_wait_kmcnt 0x0
	v_max_num_f32_e64 v1, s12, s12
	s_delay_alu instid0(VALU_DEP_1) | instskip(SKIP_1) | instid1(SALU_CYCLE_3)
	v_readfirstlane_b32 s6, v1
	s_max_num_f32 s5, s5, s6
	s_sub_f32 s0, s0, s5
	s_sub_f32 s6, s12, s5
	s_delay_alu instid0(SALU_CYCLE_2) | instskip(NEXT) | instid1(SALU_CYCLE_2)
	s_mul_f32 s12, s0, 0x3fb8aa3b
	s_mul_f32 s14, s6, 0x3fb8aa3b
	s_delay_alu instid0(SALU_CYCLE_2)
	s_xor_b32 s15, s12, 0x80000000
	s_rndne_f32 s16, s12
	s_fmamk_f32 s15, s0, 0x3fb8aa3b, s15
	s_cmp_nlt_f32 s0, 0xc2ce8ed0
	s_rndne_f32 s17, s14
	s_sub_f32 s12, s12, s16
	s_fmamk_f32 s15, s0, 0x32a5705f, s15
	s_cselect_b32 vcc_lo, -1, 0
	s_cmp_ngt_f32 s0, 0x42b17218
	s_delay_alu instid0(SALU_CYCLE_1) | instskip(SKIP_2) | instid1(SALU_CYCLE_1)
	s_add_f32 s12, s12, s15
	s_cvt_i32_f32 s15, s16
	s_sub_f32 s16, s14, s17
	v_s_exp_f32 s12, s12
	v_nop
	s_delay_alu instid0(TRANS32_DEP_1) | instskip(SKIP_1) | instid1(VALU_DEP_1)
	v_ldexp_f32 v1, s12, s15
	s_cvt_i32_f32 s12, s17
	v_cndmask_b32_e32 v1, 0, v1, vcc_lo
	s_cselect_b32 vcc_lo, -1, 0
	s_cmp_ge_f32 s0, 0xc1a00000
	s_delay_alu instid0(VALU_DEP_1)
	v_cndmask_b32_e32 v1, 0x7f800000, v1, vcc_lo
	s_cselect_b32 vcc_lo, -1, 0
	s_xor_b32 s0, s14, 0x80000000
	s_cmp_nlt_f32 s6, 0xc2ce8ed0
	s_fmamk_f32 s0, s6, 0x3fb8aa3b, s0
	v_cndmask_b32_e32 v10, 0, v1, vcc_lo
	s_delay_alu instid0(SALU_CYCLE_2) | instskip(NEXT) | instid1(SALU_CYCLE_3)
	s_fmamk_f32 s0, s6, 0x32a5705f, s0
	s_add_f32 s0, s16, s0
	s_delay_alu instid0(SALU_CYCLE_3) | instskip(SKIP_1) | instid1(TRANS32_DEP_1)
	v_s_exp_f32 s0, s0
	v_nop
	v_ldexp_f32 v6, s0, s12
	s_cselect_b32 s0, -1, 0
	s_cmp_ngt_f32 s6, 0x42b17218
	s_delay_alu instid0(VALU_DEP_1) | instskip(SKIP_2) | instid1(VALU_DEP_1)
	v_cndmask_b32_e64 v6, 0, v6, s0
	s_cselect_b32 s0, -1, 0
	s_cmp_ge_f32 s6, 0xc1a00000
	v_cndmask_b32_e64 v8, 0x7f800000, v6, s0
	s_cselect_b32 s0, -1, 0
	v_mov_b32_e32 v6, s13
	s_add_co_i32 s1, s1, -1
	s_add_co_i32 s4, s4, -16
	v_cndmask_b32_e64 v8, 0, v8, s0
	s_cmp_le_i32 s1, s7
	s_mov_b32 s0, s5
	s_wait_loadcnt 0x0
	s_delay_alu instid0(VALU_DEP_1) | instskip(NEXT) | instid1(VALU_DEP_1)
	v_pk_mul_f32 v[6:7], v[6:7], v[8:9] op_sel_hi:[1,0]
	v_pk_fma_f32 v[2:3], v[2:3], v[10:11], v[6:7] op_sel_hi:[1,0,1]
	s_cbranch_scc0 .LBB11_3
	s_branch .LBB11_5
.LBB11_4:
	s_wait_kmcnt 0x0
	v_mov_b32_e32 v2, s16
.LBB11_5:
	v_lshl_add_u64 v[0:1], v[4:5], 2, s[8:9]
	s_wait_loadcnt 0x0
	s_delay_alu instid0(VALU_DEP_2) | instskip(NEXT) | instid1(VALU_DEP_1)
	v_div_scale_f32 v4, null, v2, v2, v3
	v_rcp_f32_e32 v5, v4
	v_nop
	s_delay_alu instid0(TRANS32_DEP_1) | instskip(NEXT) | instid1(VALU_DEP_1)
	v_fma_f32 v6, -v4, v5, 1.0
	v_fmac_f32_e32 v5, v6, v5
	v_div_scale_f32 v6, vcc_lo, v3, v2, v3
	s_delay_alu instid0(VALU_DEP_1) | instskip(NEXT) | instid1(VALU_DEP_1)
	v_mul_f32_e32 v7, v6, v5
	v_fma_f32 v8, -v4, v7, v6
	s_delay_alu instid0(VALU_DEP_1) | instskip(NEXT) | instid1(VALU_DEP_1)
	v_fmac_f32_e32 v7, v8, v5
	v_fma_f32 v4, -v4, v7, v6
	s_delay_alu instid0(VALU_DEP_1) | instskip(NEXT) | instid1(VALU_DEP_1)
	v_div_fmas_f32 v4, v4, v5, v7
	v_div_fixup_f32 v2, v4, v2, v3
	global_store_b32 v[0:1], v2, off
.LBB11_6:
	s_endpgm
	.section	.rodata,"a",@progbits
	.p2align	6, 0x0
	.amdhsa_kernel _ZL33flash_attn_stream_k_fixup_uniformILi128ELi2ELi8EEvPfPK15HIP_vector_typeIfLj2EEiiiiiiS1_IjLj3EES5_S5_
		.amdhsa_group_segment_fixed_size 0
		.amdhsa_private_segment_fixed_size 0
		.amdhsa_kernarg_size 76
		.amdhsa_user_sgpr_count 2
		.amdhsa_user_sgpr_dispatch_ptr 0
		.amdhsa_user_sgpr_queue_ptr 0
		.amdhsa_user_sgpr_kernarg_segment_ptr 1
		.amdhsa_user_sgpr_dispatch_id 0
		.amdhsa_user_sgpr_kernarg_preload_length 0
		.amdhsa_user_sgpr_kernarg_preload_offset 0
		.amdhsa_user_sgpr_private_segment_size 0
		.amdhsa_wavefront_size32 1
		.amdhsa_uses_dynamic_stack 0
		.amdhsa_enable_private_segment 0
		.amdhsa_system_sgpr_workgroup_id_x 1
		.amdhsa_system_sgpr_workgroup_id_y 1
		.amdhsa_system_sgpr_workgroup_id_z 1
		.amdhsa_system_sgpr_workgroup_info 0
		.amdhsa_system_vgpr_workitem_id 0
		.amdhsa_next_free_vgpr 12
		.amdhsa_next_free_sgpr 21
		.amdhsa_named_barrier_count 0
		.amdhsa_reserve_vcc 1
		.amdhsa_float_round_mode_32 0
		.amdhsa_float_round_mode_16_64 0
		.amdhsa_float_denorm_mode_32 3
		.amdhsa_float_denorm_mode_16_64 3
		.amdhsa_fp16_overflow 0
		.amdhsa_memory_ordered 1
		.amdhsa_forward_progress 1
		.amdhsa_inst_pref_size 9
		.amdhsa_round_robin_scheduling 0
		.amdhsa_exception_fp_ieee_invalid_op 0
		.amdhsa_exception_fp_denorm_src 0
		.amdhsa_exception_fp_ieee_div_zero 0
		.amdhsa_exception_fp_ieee_overflow 0
		.amdhsa_exception_fp_ieee_underflow 0
		.amdhsa_exception_fp_ieee_inexact 0
		.amdhsa_exception_int_div_zero 0
	.end_amdhsa_kernel
	.section	.text._ZL33flash_attn_stream_k_fixup_uniformILi128ELi2ELi8EEvPfPK15HIP_vector_typeIfLj2EEiiiiiiS1_IjLj3EES5_S5_,"axG",@progbits,_ZL33flash_attn_stream_k_fixup_uniformILi128ELi2ELi8EEvPfPK15HIP_vector_typeIfLj2EEiiiiiiS1_IjLj3EES5_S5_,comdat
.Lfunc_end11:
	.size	_ZL33flash_attn_stream_k_fixup_uniformILi128ELi2ELi8EEvPfPK15HIP_vector_typeIfLj2EEiiiiiiS1_IjLj3EES5_S5_, .Lfunc_end11-_ZL33flash_attn_stream_k_fixup_uniformILi128ELi2ELi8EEvPfPK15HIP_vector_typeIfLj2EEiiiiiiS1_IjLj3EES5_S5_
                                        ; -- End function
	.set _ZL33flash_attn_stream_k_fixup_uniformILi128ELi2ELi8EEvPfPK15HIP_vector_typeIfLj2EEiiiiiiS1_IjLj3EES5_S5_.num_vgpr, 12
	.set _ZL33flash_attn_stream_k_fixup_uniformILi128ELi2ELi8EEvPfPK15HIP_vector_typeIfLj2EEiiiiiiS1_IjLj3EES5_S5_.num_agpr, 0
	.set _ZL33flash_attn_stream_k_fixup_uniformILi128ELi2ELi8EEvPfPK15HIP_vector_typeIfLj2EEiiiiiiS1_IjLj3EES5_S5_.numbered_sgpr, 21
	.set _ZL33flash_attn_stream_k_fixup_uniformILi128ELi2ELi8EEvPfPK15HIP_vector_typeIfLj2EEiiiiiiS1_IjLj3EES5_S5_.num_named_barrier, 0
	.set _ZL33flash_attn_stream_k_fixup_uniformILi128ELi2ELi8EEvPfPK15HIP_vector_typeIfLj2EEiiiiiiS1_IjLj3EES5_S5_.private_seg_size, 0
	.set _ZL33flash_attn_stream_k_fixup_uniformILi128ELi2ELi8EEvPfPK15HIP_vector_typeIfLj2EEiiiiiiS1_IjLj3EES5_S5_.uses_vcc, 1
	.set _ZL33flash_attn_stream_k_fixup_uniformILi128ELi2ELi8EEvPfPK15HIP_vector_typeIfLj2EEiiiiiiS1_IjLj3EES5_S5_.uses_flat_scratch, 0
	.set _ZL33flash_attn_stream_k_fixup_uniformILi128ELi2ELi8EEvPfPK15HIP_vector_typeIfLj2EEiiiiiiS1_IjLj3EES5_S5_.has_dyn_sized_stack, 0
	.set _ZL33flash_attn_stream_k_fixup_uniformILi128ELi2ELi8EEvPfPK15HIP_vector_typeIfLj2EEiiiiiiS1_IjLj3EES5_S5_.has_recursion, 0
	.set _ZL33flash_attn_stream_k_fixup_uniformILi128ELi2ELi8EEvPfPK15HIP_vector_typeIfLj2EEiiiiiiS1_IjLj3EES5_S5_.has_indirect_call, 0
	.section	.AMDGPU.csdata,"",@progbits
; Kernel info:
; codeLenInByte = 1092
; TotalNumSgprs: 23
; NumVgprs: 12
; ScratchSize: 0
; MemoryBound: 0
; FloatMode: 240
; IeeeMode: 1
; LDSByteSize: 0 bytes/workgroup (compile time only)
; SGPRBlocks: 0
; VGPRBlocks: 0
; NumSGPRsForWavesPerEU: 23
; NumVGPRsForWavesPerEU: 12
; NamedBarCnt: 0
; Occupancy: 16
; WaveLimiterHint : 0
; COMPUTE_PGM_RSRC2:SCRATCH_EN: 0
; COMPUTE_PGM_RSRC2:USER_SGPR: 2
; COMPUTE_PGM_RSRC2:TRAP_HANDLER: 0
; COMPUTE_PGM_RSRC2:TGID_X_EN: 1
; COMPUTE_PGM_RSRC2:TGID_Y_EN: 1
; COMPUTE_PGM_RSRC2:TGID_Z_EN: 1
; COMPUTE_PGM_RSRC2:TIDIG_COMP_CNT: 0
	.section	.text._ZL33flash_attn_stream_k_fixup_generalILi128ELi2ELi8EEvPfPK15HIP_vector_typeIfLj2EEiiiiS1_IjLj3EES5_S5_S5_,"axG",@progbits,_ZL33flash_attn_stream_k_fixup_generalILi128ELi2ELi8EEvPfPK15HIP_vector_typeIfLj2EEiiiiS1_IjLj3EES5_S5_S5_,comdat
	.globl	_ZL33flash_attn_stream_k_fixup_generalILi128ELi2ELi8EEvPfPK15HIP_vector_typeIfLj2EEiiiiS1_IjLj3EES5_S5_S5_ ; -- Begin function _ZL33flash_attn_stream_k_fixup_generalILi128ELi2ELi8EEvPfPK15HIP_vector_typeIfLj2EEiiiiS1_IjLj3EES5_S5_S5_
	.p2align	8
	.type	_ZL33flash_attn_stream_k_fixup_generalILi128ELi2ELi8EEvPfPK15HIP_vector_typeIfLj2EEiiiiS1_IjLj3EES5_S5_S5_,@function
_ZL33flash_attn_stream_k_fixup_generalILi128ELi2ELi8EEvPfPK15HIP_vector_typeIfLj2EEiiiiS1_IjLj3EES5_S5_S5_: ; @_ZL33flash_attn_stream_k_fixup_generalILi128ELi2ELi8EEvPfPK15HIP_vector_typeIfLj2EEiiiiS1_IjLj3EES5_S5_S5_
; %bb.0:
	s_clause 0x1
	s_load_b128 s[4:7], s[0:1], 0x10
	s_load_b32 s16, s[0:1], 0x50
	s_bfe_u32 s2, ttmp6, 0x4000c
	s_and_b32 s3, ttmp6, 15
	s_add_co_i32 s2, s2, 1
	s_getreg_b32 s15, hwreg(HW_REG_IB_STS2, 6, 4)
	s_mul_i32 s2, ttmp9, s2
	s_mov_b32 s17, 0
	s_add_co_i32 s3, s3, s2
	s_cmp_eq_u32 s15, 0
	s_cselect_b32 s2, ttmp9, s3
	s_delay_alu instid0(SALU_CYCLE_1) | instskip(SKIP_3) | instid1(SALU_CYCLE_1)
	s_ashr_i32 s3, s2, 31
	s_wait_kmcnt 0x0
	s_ashr_i32 s19, s7, 31
	s_mov_b32 s18, s7
	s_mul_u64 s[8:9], s[18:19], s[2:3]
	s_delay_alu instid0(SALU_CYCLE_1) | instskip(NEXT) | instid1(SALU_CYCLE_1)
	s_and_b64 s[10:11], s[8:9], 0xffffffff00000000
	s_cmp_lg_u64 s[10:11], 0
	s_cbranch_scc0 .LBB12_21
; %bb.1:
	s_add_nc_u64 s[10:11], s[16:17], 0
	s_mov_b32 s23, s17
	s_xor_b64 s[10:11], s[10:11], 0
	s_mov_b32 s27, s17
	s_cvt_f32_u32 s3, s10
	s_cvt_f32_u32 s7, s11
	s_sub_nc_u64 s[20:21], 0, s[10:11]
	s_delay_alu instid0(SALU_CYCLE_2) | instskip(NEXT) | instid1(SALU_CYCLE_3)
	s_fmamk_f32 s3, s7, 0x4f800000, s3
	v_s_rcp_f32 s3, s3
	s_delay_alu instid0(TRANS32_DEP_1) | instskip(NEXT) | instid1(SALU_CYCLE_3)
	s_mul_f32 s3, s3, 0x5f7ffffc
	s_mul_f32 s7, s3, 0x2f800000
	s_delay_alu instid0(SALU_CYCLE_3) | instskip(NEXT) | instid1(SALU_CYCLE_3)
	s_trunc_f32 s7, s7
	s_fmamk_f32 s3, s7, 0xcf800000, s3
	s_cvt_u32_f32 s13, s7
	s_delay_alu instid0(SALU_CYCLE_2) | instskip(NEXT) | instid1(SALU_CYCLE_3)
	s_cvt_u32_f32 s12, s3
	s_mul_u64 s[24:25], s[20:21], s[12:13]
	s_delay_alu instid0(SALU_CYCLE_1)
	s_mul_hi_u32 s29, s12, s25
	s_mul_i32 s28, s12, s25
	s_mul_hi_u32 s22, s12, s24
	s_mul_i32 s7, s13, s24
	s_add_nc_u64 s[22:23], s[22:23], s[28:29]
	s_mul_hi_u32 s3, s13, s24
	s_mul_hi_u32 s14, s13, s25
	s_add_co_u32 s7, s22, s7
	s_add_co_ci_u32 s26, s23, s3
	s_mul_i32 s24, s13, s25
	s_add_co_ci_u32 s25, s14, 0
	s_delay_alu instid0(SALU_CYCLE_1) | instskip(SKIP_3) | instid1(SALU_CYCLE_1)
	s_add_nc_u64 s[22:23], s[26:27], s[24:25]
	s_mov_b32 s25, s17
	s_add_co_u32 s12, s12, s22
	s_cselect_b32 s3, -1, 0
	s_cmp_lg_u32 s3, 0
	s_add_co_ci_u32 s13, s13, s23
	s_mov_b32 s23, s17
	s_mul_u64 s[20:21], s[20:21], s[12:13]
	s_delay_alu instid0(SALU_CYCLE_1)
	s_mul_hi_u32 s27, s12, s21
	s_mul_i32 s26, s12, s21
	s_mul_hi_u32 s22, s12, s20
	s_mul_i32 s7, s13, s20
	s_add_nc_u64 s[22:23], s[22:23], s[26:27]
	s_mul_hi_u32 s3, s13, s20
	s_mul_hi_u32 s14, s13, s21
	s_add_co_u32 s7, s22, s7
	s_add_co_ci_u32 s24, s23, s3
	s_mul_i32 s20, s13, s21
	s_add_co_ci_u32 s21, s14, 0
	s_mov_b32 s23, s17
	s_add_nc_u64 s[20:21], s[24:25], s[20:21]
	s_delay_alu instid0(SALU_CYCLE_1) | instskip(SKIP_1) | instid1(SALU_CYCLE_1)
	s_add_co_u32 s3, s12, s20
	s_cselect_b32 s7, -1, 0
	s_cmp_lg_u32 s7, 0
	s_add_co_ci_u32 s7, s13, s21
	s_ashr_i32 s12, s9, 31
	s_delay_alu instid0(SALU_CYCLE_1) | instskip(NEXT) | instid1(SALU_CYCLE_1)
	s_mov_b32 s13, s12
	s_add_nc_u64 s[20:21], s[8:9], s[12:13]
	s_delay_alu instid0(SALU_CYCLE_1) | instskip(NEXT) | instid1(SALU_CYCLE_1)
	s_xor_b64 s[20:21], s[20:21], s[12:13]
	s_mul_hi_u32 s27, s20, s7
	s_mul_i32 s26, s20, s7
	s_mul_hi_u32 s22, s20, s3
	s_mul_hi_u32 s14, s21, s3
	s_mul_i32 s3, s21, s3
	s_add_nc_u64 s[22:23], s[22:23], s[26:27]
	s_mul_hi_u32 s9, s21, s7
	s_add_co_u32 s3, s22, s3
	s_add_co_ci_u32 s24, s23, s14
	s_mul_i32 s26, s21, s7
	s_add_co_ci_u32 s27, s9, 0
	s_delay_alu instid0(SALU_CYCLE_1) | instskip(NEXT) | instid1(SALU_CYCLE_1)
	s_add_nc_u64 s[22:23], s[24:25], s[26:27]
	s_and_b64 s[24:25], s[22:23], 0xffffffff00000000
	s_delay_alu instid0(SALU_CYCLE_1) | instskip(NEXT) | instid1(SALU_CYCLE_1)
	s_or_b32 s24, s24, s22
	s_mul_u64 s[22:23], s[10:11], s[24:25]
	s_add_nc_u64 s[26:27], s[24:25], 1
	s_sub_co_u32 s3, s20, s22
	s_cselect_b32 s7, -1, 0
	s_sub_co_i32 s9, s21, s23
	s_cmp_lg_u32 s7, 0
	s_add_nc_u64 s[28:29], s[24:25], 2
	s_sub_co_ci_u32 s9, s9, s11
	s_sub_co_u32 s14, s3, s10
	s_cselect_b32 s20, -1, 0
	s_delay_alu instid0(SALU_CYCLE_1) | instskip(SKIP_1) | instid1(SALU_CYCLE_1)
	s_cmp_lg_u32 s20, 0
	s_sub_co_ci_u32 s9, s9, 0
	s_cmp_ge_u32 s9, s11
	s_cselect_b32 s20, -1, 0
	s_cmp_ge_u32 s14, s10
	s_cselect_b32 s14, -1, 0
	s_cmp_eq_u32 s9, s11
	s_cselect_b32 s9, s14, s20
	s_delay_alu instid0(SALU_CYCLE_1) | instskip(SKIP_4) | instid1(SALU_CYCLE_1)
	s_cmp_lg_u32 s9, 0
	s_cselect_b32 s9, s28, s26
	s_cselect_b32 s14, s29, s27
	s_cmp_lg_u32 s7, 0
	s_sub_co_ci_u32 s7, s21, s23
	s_cmp_ge_u32 s7, s11
	s_cselect_b32 s20, -1, 0
	s_cmp_ge_u32 s3, s10
	s_cselect_b32 s3, -1, 0
	s_cmp_eq_u32 s7, s11
	s_cselect_b32 s3, s3, s20
	s_delay_alu instid0(SALU_CYCLE_1) | instskip(SKIP_4) | instid1(SALU_CYCLE_1)
	s_cmp_lg_u32 s3, 0
	s_mov_b32 s3, s17
	s_cselect_b32 s11, s14, s25
	s_cselect_b32 s10, s9, s24
	s_xor_b64 s[12:13], s[12:13], 0
	s_xor_b64 s[10:11], s[10:11], s[12:13]
	s_delay_alu instid0(SALU_CYCLE_1)
	s_sub_nc_u64 s[20:21], s[10:11], s[12:13]
	s_and_not1_b32 vcc_lo, exec_lo, s3
	s_cbranch_vccnz .LBB12_3
.LBB12_2:
	v_cvt_f32_u32_e32 v1, s16
	s_sub_co_i32 s7, 0, s16
	s_mov_b32 s21, 0
	s_delay_alu instid0(VALU_DEP_1) | instskip(SKIP_1) | instid1(TRANS32_DEP_1)
	v_rcp_iflag_f32_e32 v1, v1
	v_nop
	v_mul_f32_e32 v1, 0x4f7ffffe, v1
	s_delay_alu instid0(VALU_DEP_1) | instskip(NEXT) | instid1(VALU_DEP_1)
	v_cvt_u32_f32_e32 v1, v1
	v_readfirstlane_b32 s3, v1
	s_mul_i32 s7, s7, s3
	s_delay_alu instid0(SALU_CYCLE_1) | instskip(NEXT) | instid1(SALU_CYCLE_1)
	s_mul_hi_u32 s7, s3, s7
	s_add_co_i32 s3, s3, s7
	s_delay_alu instid0(SALU_CYCLE_1) | instskip(NEXT) | instid1(SALU_CYCLE_1)
	s_mul_hi_u32 s3, s8, s3
	s_mul_i32 s7, s3, s16
	s_delay_alu instid0(SALU_CYCLE_1)
	s_sub_co_i32 s7, s8, s7
	s_add_co_i32 s8, s3, 1
	s_sub_co_i32 s9, s7, s16
	s_cmp_ge_u32 s7, s16
	s_cselect_b32 s3, s8, s3
	s_cselect_b32 s7, s9, s7
	s_add_co_i32 s8, s3, 1
	s_cmp_ge_u32 s7, s16
	s_cselect_b32 s20, s8, s3
.LBB12_3:
	s_add_co_i32 s8, s2, 1
	s_delay_alu instid0(SALU_CYCLE_1) | instskip(NEXT) | instid1(SALU_CYCLE_1)
	s_ashr_i32 s9, s8, 31
	s_mul_u64 s[8:9], s[18:19], s[8:9]
	s_delay_alu instid0(SALU_CYCLE_1) | instskip(NEXT) | instid1(SALU_CYCLE_1)
	s_and_b64 s[10:11], s[8:9], 0xffffffff00000000
	s_cmp_lg_u64 s[10:11], 0
	s_cbranch_scc0 .LBB12_22
; %bb.4:
	s_add_nc_u64 s[10:11], s[16:17], 0
	s_delay_alu instid0(SALU_CYCLE_1) | instskip(SKIP_4) | instid1(SALU_CYCLE_2)
	s_xor_b64 s[12:13], s[10:11], 0
	s_mov_b32 s11, 0
	s_cvt_f32_u32 s3, s12
	s_cvt_f32_u32 s7, s13
	s_sub_nc_u64 s[24:25], 0, s[12:13]
	s_fmamk_f32 s3, s7, 0x4f800000, s3
	s_delay_alu instid0(SALU_CYCLE_3) | instskip(NEXT) | instid1(TRANS32_DEP_1)
	v_s_rcp_f32 s3, s3
	s_mul_f32 s3, s3, 0x5f7ffffc
	s_delay_alu instid0(SALU_CYCLE_3) | instskip(NEXT) | instid1(SALU_CYCLE_3)
	s_mul_f32 s7, s3, 0x2f800000
	s_trunc_f32 s7, s7
	s_delay_alu instid0(SALU_CYCLE_3) | instskip(SKIP_1) | instid1(SALU_CYCLE_2)
	s_fmamk_f32 s3, s7, 0xcf800000, s3
	s_cvt_u32_f32 s23, s7
	s_cvt_u32_f32 s22, s3
	s_delay_alu instid0(SALU_CYCLE_3) | instskip(NEXT) | instid1(SALU_CYCLE_1)
	s_mul_u64 s[26:27], s[24:25], s[22:23]
	s_mul_hi_u32 s29, s22, s27
	s_mul_i32 s28, s22, s27
	s_mul_hi_u32 s10, s22, s26
	s_mul_i32 s7, s23, s26
	s_add_nc_u64 s[28:29], s[10:11], s[28:29]
	s_mul_hi_u32 s3, s23, s26
	s_mul_hi_u32 s14, s23, s27
	s_add_co_u32 s7, s28, s7
	s_add_co_ci_u32 s10, s29, s3
	s_mul_i32 s26, s23, s27
	s_add_co_ci_u32 s27, s14, 0
	s_delay_alu instid0(SALU_CYCLE_1) | instskip(NEXT) | instid1(SALU_CYCLE_1)
	s_add_nc_u64 s[26:27], s[10:11], s[26:27]
	s_add_co_u32 s22, s22, s26
	s_cselect_b32 s3, -1, 0
	s_delay_alu instid0(SALU_CYCLE_1) | instskip(SKIP_1) | instid1(SALU_CYCLE_1)
	s_cmp_lg_u32 s3, 0
	s_add_co_ci_u32 s23, s23, s27
	s_mul_u64 s[24:25], s[24:25], s[22:23]
	s_delay_alu instid0(SALU_CYCLE_1)
	s_mul_hi_u32 s27, s22, s25
	s_mul_i32 s26, s22, s25
	s_mul_hi_u32 s10, s22, s24
	s_mul_i32 s7, s23, s24
	s_add_nc_u64 s[26:27], s[10:11], s[26:27]
	s_mul_hi_u32 s3, s23, s24
	s_mul_hi_u32 s14, s23, s25
	s_add_co_u32 s7, s26, s7
	s_add_co_ci_u32 s10, s27, s3
	s_mul_i32 s24, s23, s25
	s_add_co_ci_u32 s25, s14, 0
	s_delay_alu instid0(SALU_CYCLE_1) | instskip(NEXT) | instid1(SALU_CYCLE_1)
	s_add_nc_u64 s[24:25], s[10:11], s[24:25]
	s_add_co_u32 s3, s22, s24
	s_cselect_b32 s7, -1, 0
	s_delay_alu instid0(SALU_CYCLE_1) | instskip(SKIP_2) | instid1(SALU_CYCLE_1)
	s_cmp_lg_u32 s7, 0
	s_add_co_ci_u32 s7, s23, s25
	s_ashr_i32 s22, s9, 31
	s_mov_b32 s23, s22
	s_delay_alu instid0(SALU_CYCLE_1) | instskip(NEXT) | instid1(SALU_CYCLE_1)
	s_add_nc_u64 s[24:25], s[8:9], s[22:23]
	s_xor_b64 s[24:25], s[24:25], s[22:23]
	s_delay_alu instid0(SALU_CYCLE_1)
	s_mul_hi_u32 s27, s24, s7
	s_mul_i32 s26, s24, s7
	s_mul_hi_u32 s10, s24, s3
	s_mul_hi_u32 s14, s25, s3
	s_mul_i32 s3, s25, s3
	s_add_nc_u64 s[26:27], s[10:11], s[26:27]
	s_mul_hi_u32 s9, s25, s7
	s_add_co_u32 s3, s26, s3
	s_add_co_ci_u32 s10, s27, s14
	s_mul_i32 s28, s25, s7
	s_add_co_ci_u32 s29, s9, 0
	s_delay_alu instid0(SALU_CYCLE_1) | instskip(NEXT) | instid1(SALU_CYCLE_1)
	s_add_nc_u64 s[26:27], s[10:11], s[28:29]
	s_and_b64 s[28:29], s[26:27], 0xffffffff00000000
	s_delay_alu instid0(SALU_CYCLE_1) | instskip(NEXT) | instid1(SALU_CYCLE_1)
	s_or_b32 s28, s28, s26
	s_mul_u64 s[26:27], s[12:13], s[28:29]
	s_add_nc_u64 s[30:31], s[28:29], 1
	s_sub_co_u32 s3, s24, s26
	s_cselect_b32 s7, -1, 0
	s_sub_co_i32 s9, s25, s27
	s_cmp_lg_u32 s7, 0
	s_add_nc_u64 s[34:35], s[28:29], 2
	s_sub_co_ci_u32 s9, s9, s13
	s_sub_co_u32 s10, s3, s12
	s_cselect_b32 s14, -1, 0
	s_delay_alu instid0(SALU_CYCLE_1) | instskip(SKIP_1) | instid1(SALU_CYCLE_1)
	s_cmp_lg_u32 s14, 0
	s_sub_co_ci_u32 s9, s9, 0
	s_cmp_ge_u32 s9, s13
	s_cselect_b32 s14, -1, 0
	s_cmp_ge_u32 s10, s12
	s_cselect_b32 s10, -1, 0
	s_cmp_eq_u32 s9, s13
	s_cselect_b32 s9, s10, s14
	s_delay_alu instid0(SALU_CYCLE_1) | instskip(SKIP_4) | instid1(SALU_CYCLE_1)
	s_cmp_lg_u32 s9, 0
	s_cselect_b32 s9, s34, s30
	s_cselect_b32 s10, s35, s31
	s_cmp_lg_u32 s7, 0
	s_sub_co_ci_u32 s7, s25, s27
	s_cmp_ge_u32 s7, s13
	s_cselect_b32 s14, -1, 0
	s_cmp_ge_u32 s3, s12
	s_cselect_b32 s3, -1, 0
	s_cmp_eq_u32 s7, s13
	s_cselect_b32 s3, s3, s14
	s_delay_alu instid0(SALU_CYCLE_1) | instskip(SKIP_3) | instid1(SALU_CYCLE_1)
	s_cmp_lg_u32 s3, 0
	s_cselect_b32 s13, s10, s29
	s_cselect_b32 s12, s9, s28
	s_xor_b64 s[22:23], s[22:23], 0
	s_xor_b64 s[12:13], s[12:13], s[22:23]
	s_delay_alu instid0(SALU_CYCLE_1)
	s_sub_nc_u64 s[24:25], s[12:13], s[22:23]
	s_load_b96 s[12:14], s[0:1], 0x44
	s_cbranch_execnz .LBB12_6
.LBB12_5:
	v_cvt_f32_u32_e32 v1, s16
	s_sub_co_i32 s7, 0, s16
	s_delay_alu instid0(VALU_DEP_1) | instskip(SKIP_1) | instid1(TRANS32_DEP_1)
	v_rcp_iflag_f32_e32 v1, v1
	v_nop
	v_mul_f32_e32 v1, 0x4f7ffffe, v1
	s_delay_alu instid0(VALU_DEP_1) | instskip(NEXT) | instid1(VALU_DEP_1)
	v_cvt_u32_f32_e32 v1, v1
	v_readfirstlane_b32 s3, v1
	s_mul_i32 s7, s7, s3
	s_delay_alu instid0(SALU_CYCLE_1) | instskip(NEXT) | instid1(SALU_CYCLE_1)
	s_mul_hi_u32 s7, s3, s7
	s_add_co_i32 s3, s3, s7
	s_delay_alu instid0(SALU_CYCLE_1) | instskip(NEXT) | instid1(SALU_CYCLE_1)
	s_mul_hi_u32 s3, s8, s3
	s_mul_i32 s7, s3, s16
	s_delay_alu instid0(SALU_CYCLE_1)
	s_sub_co_i32 s7, s8, s7
	s_add_co_i32 s8, s3, 1
	s_sub_co_i32 s9, s7, s16
	s_cmp_ge_u32 s7, s16
	s_cselect_b32 s3, s8, s3
	s_cselect_b32 s7, s9, s7
	s_add_co_i32 s8, s3, 1
	s_cmp_ge_u32 s7, s16
	s_cselect_b32 s24, s8, s3
.LBB12_6:
	s_delay_alu instid0(SALU_CYCLE_1)
	s_cmp_eq_u32 s20, s24
	s_mov_b64 s[8:9], 0xffffffff
	s_cselect_b32 s3, -1, 0
	s_and_b64 s[8:9], s[20:21], s[8:9]
	s_mov_b32 s23, 0
	s_wait_kmcnt 0x0
	s_mov_b32 s22, s12
	s_mov_b32 s25, s23
	s_mul_u64 s[10:11], s[8:9], s[22:23]
	s_delay_alu instid0(SALU_CYCLE_1) | instskip(SKIP_2) | instid1(SALU_CYCLE_1)
	s_add_co_i32 s7, s11, s20
	s_mul_u64 s[10:11], s[24:25], s[22:23]
	s_lshr_b32 s12, s7, s13
	s_mul_i32 s7, s12, s14
	s_delay_alu instid0(SALU_CYCLE_1) | instskip(SKIP_2) | instid1(SALU_CYCLE_1)
	s_cmp_eq_u32 s7, s20
	s_cselect_b32 s7, -1, 0
	s_add_co_i32 s10, s11, s24
	s_lshr_b32 s10, s10, s13
	s_delay_alu instid0(SALU_CYCLE_1)
	s_cmp_eq_u32 s12, s10
	s_mul_i32 s10, s10, s14
	s_cselect_b32 s11, -1, 0
	s_cmp_lg_u32 s10, s24
	s_cselect_b32 s10, -1, 0
	s_or_b32 s3, s3, s7
	s_and_b32 s10, s11, s10
	s_delay_alu instid0(SALU_CYCLE_1) | instskip(NEXT) | instid1(SALU_CYCLE_1)
	s_or_b32 s3, s3, s10
	s_and_b32 vcc_lo, exec_lo, s3
	s_cbranch_vccnz .LBB12_24
; %bb.7:
	s_load_b256 s[24:31], s[0:1], 0x20
	s_bfe_u32 s7, ttmp6, 0x40014
	s_bfe_u32 s33, ttmp6, 0x40010
	s_lshr_b32 s3, ttmp7, 16
	s_add_co_i32 s7, s7, 1
	s_and_b32 s21, ttmp7, 0xffff
	s_add_co_i32 s33, s33, 1
	s_bfe_u32 s10, ttmp6, 0x40008
	s_mul_i32 s7, s3, s7
	s_bfe_u32 s34, ttmp6, 0x40004
	s_mul_i32 s33, s21, s33
	s_mov_b32 s11, s23
	s_add_co_i32 s35, s10, s7
	s_add_co_i32 s34, s34, s33
	s_cmp_eq_u32 s15, 0
	s_cselect_b32 s7, s21, s34
	s_cselect_b32 s3, s3, s35
	s_wait_kmcnt 0x0
	s_mov_b32 s10, s24
	s_delay_alu instid0(SALU_CYCLE_1) | instskip(NEXT) | instid1(SALU_CYCLE_1)
	s_mul_u64 s[8:9], s[8:9], s[10:11]
	s_add_co_i32 s8, s9, s20
	s_load_b32 s9, s[0:1], 0x40
	s_lshr_b32 s8, s8, s25
	s_delay_alu instid0(SALU_CYCLE_1) | instskip(NEXT) | instid1(SALU_CYCLE_1)
	s_mul_i32 s10, s8, s26
	s_sub_co_i32 s10, s20, s10
	s_delay_alu instid0(SALU_CYCLE_1) | instskip(NEXT) | instid1(SALU_CYCLE_1)
	s_mul_hi_u32 s11, s10, s27
	s_add_co_i32 s11, s10, s11
	s_delay_alu instid0(SALU_CYCLE_1) | instskip(NEXT) | instid1(SALU_CYCLE_1)
	s_lshr_b32 s15, s11, s28
	s_mul_i32 s11, s15, s29
	s_delay_alu instid0(SALU_CYCLE_1) | instskip(NEXT) | instid1(SALU_CYCLE_1)
	s_sub_co_i32 s10, s10, s11
	s_mul_hi_u32 s11, s10, s30
	s_delay_alu instid0(SALU_CYCLE_1) | instskip(NEXT) | instid1(SALU_CYCLE_1)
	s_add_co_i32 s11, s10, s11
	s_lshr_b32 s26, s11, s31
	s_mov_b32 s11, s23
	s_wait_kmcnt 0x0
	s_mul_i32 s9, s26, s9
	s_delay_alu instid0(SALU_CYCLE_1) | instskip(NEXT) | instid1(SALU_CYCLE_1)
	s_sub_co_i32 s10, s10, s9
	s_mul_u64 s[24:25], s[10:11], s[22:23]
	s_lshl_b32 s24, s26, 3
	s_add_co_i32 s9, s10, s25
	s_delay_alu instid0(SALU_CYCLE_1) | instskip(NEXT) | instid1(SALU_CYCLE_1)
	s_lshr_b32 s21, s9, s13
	s_lshl_b32 s9, s21, 1
	s_delay_alu instid0(SALU_CYCLE_1) | instskip(NEXT) | instid1(SALU_CYCLE_1)
	s_add_co_i32 s9, s9, s7
	s_cmp_lt_i32 s9, s4
	s_cselect_b32 s9, -1, 0
	s_add_co_i32 s10, s24, s3
	s_delay_alu instid0(SALU_CYCLE_1) | instskip(SKIP_1) | instid1(SALU_CYCLE_1)
	s_cmp_lt_i32 s10, s6
	s_cselect_b32 s10, -1, 0
	s_and_b32 s9, s9, s10
	s_delay_alu instid0(SALU_CYCLE_1)
	s_and_not1_b32 vcc_lo, exec_lo, s9
	s_cbranch_vccnz .LBB12_24
; %bb.8:
	s_mul_i32 s4, s8, s4
	s_load_b128 s[8:11], s[0:1], 0x0
	s_wait_xcnt 0x0
	s_add_co_i32 s0, s4, s7
	s_mul_i32 s15, s15, s6
	s_mul_i32 s0, s0, s5
	;; [unrolled: 1-line block ×3, first 2 shown]
	s_add_co_i32 s0, s0, s3
	s_lshl_b32 s1, s1, 8
	s_add_co_i32 s0, s0, s15
	s_lshl_b32 s15, s7, 3
	s_add_co_i32 s0, s0, s24
	s_add_co_i32 s15, s15, s3
	s_lshl_b32 s0, s0, 7
	v_lshl_or_b32 v6, s15, 7, v0
	s_add_co_i32 s1, s1, s0
	v_cvt_f32_u32_e32 v4, s16
	v_or_b32_e32 v2, s1, v0
	s_add_nc_u64 s[0:1], s[16:17], 0
	s_lshl_b32 s24, s16, 6
	s_xor_b64 s[6:7], s[0:1], 0
	s_lshl_b32 s0, s2, 4
	s_cvt_f32_u32 s3, s6
	s_add_co_i32 s0, s15, s0
	s_cvt_f32_u32 s4, s7
	s_ashr_i32 s1, s0, 31
	v_rcp_iflag_f32_e32 v4, v4
	s_lshl_b64 s[0:1], s[0:1], 3
	s_fmamk_f32 s3, s4, 0x4f800000, s3
	s_wait_kmcnt 0x0
	s_add_nc_u64 s[0:1], s[10:11], s[0:1]
	s_mov_b32 s25, 0
	s_load_b64 s[28:29], s[0:1], 0x0
	v_s_rcp_f32 s3, s3
	s_wait_xcnt 0x0
	s_lshl_b64 s[0:1], s[24:25], 2
	s_add_co_i32 s36, s2, -1
	s_add_nc_u64 s[26:27], s[10:11], s[0:1]
	s_sub_nc_u64 s[34:35], 0, s[6:7]
	v_mul_f32_e32 v4, 0x4f7ffffe, v4
	s_delay_alu instid0(TRANS32_DEP_1) | instskip(NEXT) | instid1(VALU_DEP_1)
	s_mul_f32 s3, s3, 0x5f7ffffc
	v_cvt_u32_f32_e32 v7, v4
	s_delay_alu instid0(SALU_CYCLE_2) | instskip(NEXT) | instid1(SALU_CYCLE_3)
	s_mul_f32 s4, s3, 0x2f800000
	s_trunc_f32 s4, s4
	s_wait_kmcnt 0x0
	v_mov_b32_e32 v0, s29
	global_load_b32 v1, v2, s[8:9] scale_offset
	v_ashrrev_i32_e32 v3, 31, v2
	s_fmamk_f32 s0, s4, 0xcf800000, s3
	s_cvt_u32_f32 s31, s4
	s_wait_xcnt 0x0
	s_delay_alu instid0(VALU_DEP_1)
	v_lshl_add_u64 v[2:3], v[2:3], 2, s[8:9]
	s_cvt_u32_f32 s30, s0
	s_mov_b64 s[8:9], 0xffffffff
.LBB12_9:                               ; =>This Inner Loop Header: Depth=1
	s_ashr_i32 s37, s36, 31
                                        ; implicit-def: $sgpr40_sgpr41
	s_delay_alu instid0(SALU_CYCLE_1) | instskip(NEXT) | instid1(SALU_CYCLE_1)
	s_mul_u64 s[0:1], s[36:37], s[18:19]
	s_and_b64 s[2:3], s[0:1], 0xffffffff00000000
	s_delay_alu instid0(SALU_CYCLE_1)
	s_cmp_lg_u64 s[2:3], 0
	s_mov_b32 s2, -1
	s_cbranch_scc0 .LBB12_11
; %bb.10:                               ;   in Loop: Header=BB12_9 Depth=1
	s_mul_u64 s[2:3], s[34:35], s[30:31]
	s_delay_alu instid0(SALU_CYCLE_1)
	s_mul_hi_u32 s5, s30, s3
	s_mul_i32 s4, s30, s3
	s_mul_hi_u32 s24, s30, s2
	s_mul_hi_u32 s17, s31, s2
	s_add_nc_u64 s[4:5], s[24:25], s[4:5]
	s_mul_i32 s2, s31, s2
	s_mul_hi_u32 s21, s31, s3
	s_add_co_u32 s2, s4, s2
	s_add_co_ci_u32 s24, s5, s17
	s_add_co_ci_u32 s5, s21, 0
	s_mul_i32 s4, s31, s3
	s_delay_alu instid0(SALU_CYCLE_1) | instskip(NEXT) | instid1(SALU_CYCLE_1)
	s_add_nc_u64 s[2:3], s[24:25], s[4:5]
	s_add_co_u32 s2, s30, s2
	s_cselect_b32 s4, -1, 0
	s_delay_alu instid0(SALU_CYCLE_1) | instskip(SKIP_1) | instid1(SALU_CYCLE_1)
	s_cmp_lg_u32 s4, 0
	s_add_co_ci_u32 s3, s31, s3
	s_mul_u64 s[4:5], s[34:35], s[2:3]
	s_delay_alu instid0(SALU_CYCLE_1)
	s_mul_hi_u32 s39, s2, s5
	s_mul_i32 s38, s2, s5
	s_mul_hi_u32 s24, s2, s4
	s_mul_hi_u32 s17, s3, s4
	s_mul_i32 s4, s3, s4
	s_add_nc_u64 s[38:39], s[24:25], s[38:39]
	s_mul_hi_u32 s21, s3, s5
	s_add_co_u32 s4, s38, s4
	s_add_co_ci_u32 s24, s39, s17
	s_mul_i32 s4, s3, s5
	s_add_co_ci_u32 s5, s21, 0
	s_delay_alu instid0(SALU_CYCLE_1) | instskip(NEXT) | instid1(SALU_CYCLE_1)
	s_add_nc_u64 s[4:5], s[24:25], s[4:5]
	s_add_co_u32 s17, s2, s4
	s_cselect_b32 s2, -1, 0
	s_delay_alu instid0(SALU_CYCLE_1) | instskip(SKIP_2) | instid1(SALU_CYCLE_1)
	s_cmp_lg_u32 s2, 0
	s_add_co_ci_u32 s21, s3, s5
	s_ashr_i32 s2, s1, 31
	s_mov_b32 s3, s2
	s_delay_alu instid0(SALU_CYCLE_1) | instskip(NEXT) | instid1(SALU_CYCLE_1)
	s_add_nc_u64 s[4:5], s[0:1], s[2:3]
	s_xor_b64 s[4:5], s[4:5], s[2:3]
	s_delay_alu instid0(SALU_CYCLE_1)
	s_mul_hi_u32 s39, s4, s21
	s_mul_i32 s38, s4, s21
	s_mul_hi_u32 s24, s4, s17
	s_mul_hi_u32 s29, s5, s17
	s_mul_i32 s17, s5, s17
	s_add_nc_u64 s[38:39], s[24:25], s[38:39]
	s_mul_hi_u32 s1, s5, s21
	s_add_co_u32 s17, s38, s17
	s_add_co_ci_u32 s24, s39, s29
	s_mul_i32 s40, s5, s21
	s_add_co_ci_u32 s41, s1, 0
	s_delay_alu instid0(SALU_CYCLE_1) | instskip(NEXT) | instid1(SALU_CYCLE_1)
	s_add_nc_u64 s[38:39], s[24:25], s[40:41]
	s_and_b64 s[40:41], s[38:39], 0xffffffff00000000
	s_delay_alu instid0(SALU_CYCLE_1) | instskip(NEXT) | instid1(SALU_CYCLE_1)
	s_or_b32 s40, s40, s38
	s_mul_u64 s[38:39], s[6:7], s[40:41]
	s_add_nc_u64 s[42:43], s[40:41], 1
	s_sub_co_u32 s1, s4, s38
	s_cselect_b32 s4, -1, 0
	s_sub_co_i32 s17, s5, s39
	s_cmp_lg_u32 s4, 0
	s_add_nc_u64 s[44:45], s[40:41], 2
	s_sub_co_ci_u32 s17, s17, s7
	s_sub_co_u32 s21, s1, s6
	s_cselect_b32 s24, -1, 0
	s_delay_alu instid0(SALU_CYCLE_1) | instskip(SKIP_1) | instid1(SALU_CYCLE_1)
	s_cmp_lg_u32 s24, 0
	s_sub_co_ci_u32 s17, s17, 0
	s_cmp_ge_u32 s17, s7
	s_cselect_b32 s24, -1, 0
	s_cmp_ge_u32 s21, s6
	s_cselect_b32 s21, -1, 0
	s_cmp_eq_u32 s17, s7
	s_cselect_b32 s17, s21, s24
	s_delay_alu instid0(SALU_CYCLE_1) | instskip(SKIP_4) | instid1(SALU_CYCLE_1)
	s_cmp_lg_u32 s17, 0
	s_cselect_b32 s17, s44, s42
	s_cselect_b32 s21, s45, s43
	s_cmp_lg_u32 s4, 0
	s_sub_co_ci_u32 s4, s5, s39
	s_cmp_ge_u32 s4, s7
	s_cselect_b32 s5, -1, 0
	s_cmp_ge_u32 s1, s6
	s_cselect_b32 s1, -1, 0
	s_cmp_eq_u32 s4, s7
	s_cselect_b32 s1, s1, s5
	s_delay_alu instid0(SALU_CYCLE_1) | instskip(SKIP_3) | instid1(SALU_CYCLE_1)
	s_cmp_lg_u32 s1, 0
	s_cselect_b32 s5, s21, s41
	s_cselect_b32 s4, s17, s40
	s_xor_b64 s[2:3], s[2:3], 0
	s_xor_b64 s[4:5], s[4:5], s[2:3]
	s_delay_alu instid0(SALU_CYCLE_1)
	s_sub_nc_u64 s[40:41], s[4:5], s[2:3]
	s_mov_b32 s2, 0
.LBB12_11:                              ;   in Loop: Header=BB12_9 Depth=1
	s_delay_alu instid0(SALU_CYCLE_1)
	s_and_not1_b32 vcc_lo, exec_lo, s2
	s_cbranch_vccnz .LBB12_13
; %bb.12:                               ;   in Loop: Header=BB12_9 Depth=1
	v_readfirstlane_b32 s1, v7
	s_sub_co_i32 s2, 0, s16
	s_delay_alu instid0(SALU_CYCLE_1) | instskip(NEXT) | instid1(SALU_CYCLE_1)
	s_mul_i32 s2, s2, s1
	s_mul_hi_u32 s2, s1, s2
	s_delay_alu instid0(SALU_CYCLE_1) | instskip(NEXT) | instid1(SALU_CYCLE_1)
	s_add_co_i32 s1, s1, s2
	s_mul_hi_u32 s1, s0, s1
	s_delay_alu instid0(SALU_CYCLE_1) | instskip(NEXT) | instid1(SALU_CYCLE_1)
	s_mul_i32 s2, s1, s16
	s_sub_co_i32 s0, s0, s2
	s_add_co_i32 s2, s1, 1
	s_sub_co_i32 s3, s0, s16
	s_cmp_ge_u32 s0, s16
	s_cselect_b32 s1, s2, s1
	s_cselect_b32 s0, s3, s0
	s_add_co_i32 s2, s1, 1
	s_cmp_ge_u32 s0, s16
	s_cselect_b32 s24, s2, s1
	s_delay_alu instid0(SALU_CYCLE_1)
	s_mov_b64 s[40:41], s[24:25]
.LBB12_13:                              ;   in Loop: Header=BB12_9 Depth=1
	s_delay_alu instid0(SALU_CYCLE_1)
	s_cmp_lg_u32 s20, s40
	s_mov_b32 s0, -1
                                        ; implicit-def: $vgpr4_vgpr5
                                        ; implicit-def: $sgpr24
                                        ; implicit-def: $sgpr17
                                        ; implicit-def: $sgpr21
                                        ; implicit-def: $sgpr29
	s_cbranch_scc0 .LBB12_18
; %bb.14:                               ;   in Loop: Header=BB12_9 Depth=1
	s_add_co_i32 s0, s36, s16
	v_max_num_f32_e64 v4, s28, s28
	s_lshl_b32 s0, s0, 4
	s_mov_b32 s29, s20
	s_add_co_i32 s0, s0, s15
	s_load_b64 s[38:39], s[10:11], s0 offset:0x0 scale_offset
	s_wait_xcnt 0x0
	v_readfirstlane_b32 s0, v4
	s_wait_kmcnt 0x0
	v_max_num_f32_e64 v5, s38, s38
	s_delay_alu instid0(VALU_DEP_1) | instskip(SKIP_1) | instid1(SALU_CYCLE_3)
	v_readfirstlane_b32 s1, v5
	s_max_num_f32 s17, s0, s1
	s_sub_f32 s33, s28, s17
	s_sub_f32 s37, s38, s17
	s_delay_alu instid0(SALU_CYCLE_2)
	s_cmp_nlt_f32 s33, 0xc2ce8ed0
	s_cselect_b32 s1, -1, 0
	s_cmp_ngt_f32 s33, 0x42b17218
	s_cselect_b32 s2, -1, 0
	s_cmp_ge_f32 s33, 0xc1a00000
	s_cselect_b32 s0, -1, 0
	s_cmp_nlt_f32 s37, 0xc2ce8ed0
	s_cselect_b32 s3, -1, 0
	s_cmp_ngt_f32 s37, 0x42b17218
	s_cselect_b32 s4, -1, 0
	s_cmp_ge_f32 s37, 0xc1a00000
	s_cselect_b32 s5, -1, 0
	s_and_b64 s[42:43], s[40:41], s[8:9]
	s_delay_alu instid0(SALU_CYCLE_1) | instskip(NEXT) | instid1(SALU_CYCLE_1)
	s_mul_u64 s[42:43], s[42:43], s[22:23]
	s_add_co_i32 s21, s43, s40
	s_delay_alu instid0(SALU_CYCLE_1) | instskip(NEXT) | instid1(SALU_CYCLE_1)
	s_lshr_b32 s21, s21, s13
	s_mul_i32 s24, s21, s14
	s_delay_alu instid0(SALU_CYCLE_1) | instskip(SKIP_3) | instid1(SALU_CYCLE_1)
	s_cmp_eq_u32 s24, s40
	s_cselect_b32 s24, -1, 0
	s_cmp_lt_u32 s21, s12
	s_cselect_b32 s21, -1, 0
	s_or_b32 s21, s21, s24
	s_mov_b32 s24, -1
	s_and_b32 vcc_lo, exec_lo, s21
	s_mov_b32 s21, s36
	s_cbranch_vccnz .LBB12_16
; %bb.15:                               ;   in Loop: Header=BB12_9 Depth=1
	s_add_co_i32 s21, s36, -1
	s_mov_b32 s24, 0
	s_mov_b32 s29, s40
.LBB12_16:                              ;   in Loop: Header=BB12_9 Depth=1
	v_lshl_add_u32 v4, s36, 11, v6
	s_mul_f32 s40, s33, 0x3fb8aa3b
	s_mul_f32 s38, s37, 0x3fb8aa3b
	s_delay_alu instid0(SALU_CYCLE_2)
	s_xor_b32 s42, s40, 0x80000000
	global_load_b32 v5, v4, s[26:27] scale_offset
	s_fmamk_f32 s42, s33, 0x3fb8aa3b, s42
	s_rndne_f32 s44, s40
	s_xor_b32 s41, s38, 0x80000000
	s_rndne_f32 s43, s38
	s_fmamk_f32 s33, s33, 0x32a5705f, s42
	s_sub_f32 s40, s40, s44
	s_fmamk_f32 s41, s37, 0x3fb8aa3b, s41
	s_sub_f32 s38, s38, s43
	s_delay_alu instid0(SALU_CYCLE_1) | instskip(NEXT) | instid1(SALU_CYCLE_1)
	s_add_f32 s33, s40, s33
	s_fmamk_f32 s37, s37, 0x32a5705f, s41
	s_cvt_i32_f32 s40, s44
	s_delay_alu instid0(SALU_CYCLE_1) | instskip(NEXT) | instid1(SALU_CYCLE_1)
	v_s_exp_f32 s33, s33
	s_add_f32 s37, s38, s37
	s_cvt_i32_f32 s38, s43
	s_delay_alu instid0(SALU_CYCLE_2) | instskip(NEXT) | instid1(TRANS32_DEP_2)
	v_s_exp_f32 s37, s37
	v_ldexp_f32 v8, s33, s40
	s_wait_xcnt 0x0
	s_delay_alu instid0(TRANS32_DEP_1) | instskip(NEXT) | instid1(VALU_DEP_2)
	v_ldexp_f32 v4, s37, s38
	v_cndmask_b32_e64 v8, 0, v8, s1
	s_delay_alu instid0(VALU_DEP_1) | instskip(NEXT) | instid1(VALU_DEP_1)
	v_cndmask_b32_e64 v9, 0x7f800000, v8, s2
	v_dual_cndmask_b32 v4, 0, v4, s3 :: v_dual_cndmask_b32 v10, 0, v9, s0
	s_delay_alu instid0(VALU_DEP_1) | instskip(NEXT) | instid1(VALU_DEP_1)
	v_cndmask_b32_e64 v4, 0x7f800000, v4, s4
	v_dual_cndmask_b32 v8, 0, v4, s5 :: v_dual_mov_b32 v4, s39
	s_wait_loadcnt 0x0
	s_delay_alu instid0(VALU_DEP_1) | instskip(NEXT) | instid1(VALU_DEP_1)
	v_pk_mul_f32 v[4:5], v[4:5], v[8:9] op_sel_hi:[1,0]
	v_pk_fma_f32 v[4:5], v[0:1], v[10:11], v[4:5] op_sel_hi:[1,0,1]
	s_cbranch_execz .LBB12_19
.LBB12_17:                              ;   in Loop: Header=BB12_9 Depth=1
	s_and_not1_b32 vcc_lo, exec_lo, s24
	s_cbranch_vccnz .LBB12_20
	s_branch .LBB12_23
.LBB12_18:                              ;   in Loop: Header=BB12_9 Depth=1
	s_and_not1_b32 vcc_lo, exec_lo, s0
	s_cbranch_vccnz .LBB12_17
.LBB12_19:                              ;   in Loop: Header=BB12_9 Depth=1
	s_wait_loadcnt 0x0
	v_mov_b64_e32 v[4:5], v[0:1]
	s_add_co_i32 s21, s36, -1
	s_mov_b32 s29, s20
	s_mov_b32 s17, s28
	s_cbranch_execz .LBB12_23
.LBB12_20:                              ;   in Loop: Header=BB12_9 Depth=1
	s_wait_loadcnt 0x0
	s_delay_alu instid0(VALU_DEP_1)
	v_mov_b64_e32 v[0:1], v[4:5]
	s_mov_b32 s20, s29
	s_mov_b32 s36, s21
	;; [unrolled: 1-line block ×3, first 2 shown]
	s_branch .LBB12_9
.LBB12_21:
                                        ; implicit-def: $sgpr20_sgpr21
	s_branch .LBB12_2
.LBB12_22:
                                        ; implicit-def: $sgpr24_sgpr25
	s_load_b96 s[12:14], s[0:1], 0x44
	s_branch .LBB12_5
.LBB12_23:
	s_delay_alu instid0(VALU_DEP_1) | instskip(SKIP_1) | instid1(VALU_DEP_1)
	v_div_scale_f32 v0, null, v4, v4, v5
	s_wait_loadcnt 0x0
	v_rcp_f32_e32 v1, v0
	v_nop
	s_delay_alu instid0(TRANS32_DEP_1) | instskip(NEXT) | instid1(VALU_DEP_1)
	v_fma_f32 v6, -v0, v1, 1.0
	v_fmac_f32_e32 v1, v6, v1
	v_div_scale_f32 v6, vcc_lo, v5, v4, v5
	s_delay_alu instid0(VALU_DEP_1) | instskip(NEXT) | instid1(VALU_DEP_1)
	v_mul_f32_e32 v7, v6, v1
	v_fma_f32 v8, -v0, v7, v6
	s_delay_alu instid0(VALU_DEP_1) | instskip(NEXT) | instid1(VALU_DEP_1)
	v_fmac_f32_e32 v7, v8, v1
	v_fma_f32 v0, -v0, v7, v6
	s_delay_alu instid0(VALU_DEP_1) | instskip(NEXT) | instid1(VALU_DEP_1)
	v_div_fmas_f32 v0, v0, v1, v7
	v_div_fixup_f32 v0, v0, v4, v5
	global_store_b32 v[2:3], v0, off
.LBB12_24:
	s_endpgm
	.section	.rodata,"a",@progbits
	.p2align	6, 0x0
	.amdhsa_kernel _ZL33flash_attn_stream_k_fixup_generalILi128ELi2ELi8EEvPfPK15HIP_vector_typeIfLj2EEiiiiS1_IjLj3EES5_S5_S5_
		.amdhsa_group_segment_fixed_size 0
		.amdhsa_private_segment_fixed_size 0
		.amdhsa_kernarg_size 336
		.amdhsa_user_sgpr_count 2
		.amdhsa_user_sgpr_dispatch_ptr 0
		.amdhsa_user_sgpr_queue_ptr 0
		.amdhsa_user_sgpr_kernarg_segment_ptr 1
		.amdhsa_user_sgpr_dispatch_id 0
		.amdhsa_user_sgpr_kernarg_preload_length 0
		.amdhsa_user_sgpr_kernarg_preload_offset 0
		.amdhsa_user_sgpr_private_segment_size 0
		.amdhsa_wavefront_size32 1
		.amdhsa_uses_dynamic_stack 0
		.amdhsa_enable_private_segment 0
		.amdhsa_system_sgpr_workgroup_id_x 1
		.amdhsa_system_sgpr_workgroup_id_y 1
		.amdhsa_system_sgpr_workgroup_id_z 1
		.amdhsa_system_sgpr_workgroup_info 0
		.amdhsa_system_vgpr_workitem_id 0
		.amdhsa_next_free_vgpr 12
		.amdhsa_next_free_sgpr 46
		.amdhsa_named_barrier_count 0
		.amdhsa_reserve_vcc 1
		.amdhsa_float_round_mode_32 0
		.amdhsa_float_round_mode_16_64 0
		.amdhsa_float_denorm_mode_32 3
		.amdhsa_float_denorm_mode_16_64 3
		.amdhsa_fp16_overflow 0
		.amdhsa_memory_ordered 1
		.amdhsa_forward_progress 1
		.amdhsa_inst_pref_size 27
		.amdhsa_round_robin_scheduling 0
		.amdhsa_exception_fp_ieee_invalid_op 0
		.amdhsa_exception_fp_denorm_src 0
		.amdhsa_exception_fp_ieee_div_zero 0
		.amdhsa_exception_fp_ieee_overflow 0
		.amdhsa_exception_fp_ieee_underflow 0
		.amdhsa_exception_fp_ieee_inexact 0
		.amdhsa_exception_int_div_zero 0
	.end_amdhsa_kernel
	.section	.text._ZL33flash_attn_stream_k_fixup_generalILi128ELi2ELi8EEvPfPK15HIP_vector_typeIfLj2EEiiiiS1_IjLj3EES5_S5_S5_,"axG",@progbits,_ZL33flash_attn_stream_k_fixup_generalILi128ELi2ELi8EEvPfPK15HIP_vector_typeIfLj2EEiiiiS1_IjLj3EES5_S5_S5_,comdat
.Lfunc_end12:
	.size	_ZL33flash_attn_stream_k_fixup_generalILi128ELi2ELi8EEvPfPK15HIP_vector_typeIfLj2EEiiiiS1_IjLj3EES5_S5_S5_, .Lfunc_end12-_ZL33flash_attn_stream_k_fixup_generalILi128ELi2ELi8EEvPfPK15HIP_vector_typeIfLj2EEiiiiS1_IjLj3EES5_S5_S5_
                                        ; -- End function
	.set _ZL33flash_attn_stream_k_fixup_generalILi128ELi2ELi8EEvPfPK15HIP_vector_typeIfLj2EEiiiiS1_IjLj3EES5_S5_S5_.num_vgpr, 12
	.set _ZL33flash_attn_stream_k_fixup_generalILi128ELi2ELi8EEvPfPK15HIP_vector_typeIfLj2EEiiiiS1_IjLj3EES5_S5_S5_.num_agpr, 0
	.set _ZL33flash_attn_stream_k_fixup_generalILi128ELi2ELi8EEvPfPK15HIP_vector_typeIfLj2EEiiiiS1_IjLj3EES5_S5_S5_.numbered_sgpr, 46
	.set _ZL33flash_attn_stream_k_fixup_generalILi128ELi2ELi8EEvPfPK15HIP_vector_typeIfLj2EEiiiiS1_IjLj3EES5_S5_S5_.num_named_barrier, 0
	.set _ZL33flash_attn_stream_k_fixup_generalILi128ELi2ELi8EEvPfPK15HIP_vector_typeIfLj2EEiiiiS1_IjLj3EES5_S5_S5_.private_seg_size, 0
	.set _ZL33flash_attn_stream_k_fixup_generalILi128ELi2ELi8EEvPfPK15HIP_vector_typeIfLj2EEiiiiS1_IjLj3EES5_S5_S5_.uses_vcc, 1
	.set _ZL33flash_attn_stream_k_fixup_generalILi128ELi2ELi8EEvPfPK15HIP_vector_typeIfLj2EEiiiiS1_IjLj3EES5_S5_S5_.uses_flat_scratch, 0
	.set _ZL33flash_attn_stream_k_fixup_generalILi128ELi2ELi8EEvPfPK15HIP_vector_typeIfLj2EEiiiiS1_IjLj3EES5_S5_S5_.has_dyn_sized_stack, 0
	.set _ZL33flash_attn_stream_k_fixup_generalILi128ELi2ELi8EEvPfPK15HIP_vector_typeIfLj2EEiiiiS1_IjLj3EES5_S5_S5_.has_recursion, 0
	.set _ZL33flash_attn_stream_k_fixup_generalILi128ELi2ELi8EEvPfPK15HIP_vector_typeIfLj2EEiiiiS1_IjLj3EES5_S5_S5_.has_indirect_call, 0
	.section	.AMDGPU.csdata,"",@progbits
; Kernel info:
; codeLenInByte = 3360
; TotalNumSgprs: 48
; NumVgprs: 12
; ScratchSize: 0
; MemoryBound: 0
; FloatMode: 240
; IeeeMode: 1
; LDSByteSize: 0 bytes/workgroup (compile time only)
; SGPRBlocks: 0
; VGPRBlocks: 0
; NumSGPRsForWavesPerEU: 48
; NumVGPRsForWavesPerEU: 12
; NamedBarCnt: 0
; Occupancy: 16
; WaveLimiterHint : 0
; COMPUTE_PGM_RSRC2:SCRATCH_EN: 0
; COMPUTE_PGM_RSRC2:USER_SGPR: 2
; COMPUTE_PGM_RSRC2:TRAP_HANDLER: 0
; COMPUTE_PGM_RSRC2:TGID_X_EN: 1
; COMPUTE_PGM_RSRC2:TGID_Y_EN: 1
; COMPUTE_PGM_RSRC2:TGID_Z_EN: 1
; COMPUTE_PGM_RSRC2:TIDIG_COMP_CNT: 0
	.section	.text._ZL15flash_attn_tileILi128ELi128ELi1ELi8ELb0EEvPKcS1_S1_S1_S1_PKiPfP15HIP_vector_typeIfLj2EEffffjfiS5_IjLj3EEiiiiiiiiiiiliiliiiiil,"axG",@progbits,_ZL15flash_attn_tileILi128ELi128ELi1ELi8ELb0EEvPKcS1_S1_S1_S1_PKiPfP15HIP_vector_typeIfLj2EEffffjfiS5_IjLj3EEiiiiiiiiiiiliiliiiiil,comdat
	.globl	_ZL15flash_attn_tileILi128ELi128ELi1ELi8ELb0EEvPKcS1_S1_S1_S1_PKiPfP15HIP_vector_typeIfLj2EEffffjfiS5_IjLj3EEiiiiiiiiiiiliiliiiiil ; -- Begin function _ZL15flash_attn_tileILi128ELi128ELi1ELi8ELb0EEvPKcS1_S1_S1_S1_PKiPfP15HIP_vector_typeIfLj2EEffffjfiS5_IjLj3EEiiiiiiiiiiiliiliiiiil
	.p2align	8
	.type	_ZL15flash_attn_tileILi128ELi128ELi1ELi8ELb0EEvPKcS1_S1_S1_S1_PKiPfP15HIP_vector_typeIfLj2EEffffjfiS5_IjLj3EEiiiiiiiiiiiliiliiiiil,@function
_ZL15flash_attn_tileILi128ELi128ELi1ELi8ELb0EEvPKcS1_S1_S1_S1_PKiPfP15HIP_vector_typeIfLj2EEffffjfiS5_IjLj3EEiiiiiiiiiiiliiliiiiil: ; @_ZL15flash_attn_tileILi128ELi128ELi1ELi8ELb0EEvPKcS1_S1_S1_S1_PKiPfP15HIP_vector_typeIfLj2EEffffjfiS5_IjLj3EEiiiiiiiiiiiliiliiiiil
; %bb.0:
	s_clause 0x1
	s_load_b128 s[20:23], s[0:1], 0x5c
	s_load_b64 s[30:31], s[0:1], 0x80
	s_bfe_u32 s5, ttmp6, 0x40014
	s_lshr_b32 s4, ttmp7, 16
	s_add_co_i32 s5, s5, 1
	s_bfe_u32 s6, ttmp6, 0x40008
	s_mul_i32 s5, s4, s5
	s_getreg_b32 s27, hwreg(HW_REG_IB_STS2, 6, 4)
	s_add_co_i32 s6, s6, s5
	s_load_b64 s[36:37], s[0:1], 0xb8
	s_mov_b64 s[34:35], 0
	s_wait_kmcnt 0x0
	s_ashr_i32 s2, s23, 31
	s_delay_alu instid0(SALU_CYCLE_1) | instskip(NEXT) | instid1(SALU_CYCLE_1)
	s_lshr_b32 s2, s2, 29
	s_add_co_i32 s2, s23, s2
	s_delay_alu instid0(SALU_CYCLE_1) | instskip(NEXT) | instid1(SALU_CYCLE_1)
	s_ashr_i32 s2, s2, 3
	s_cvt_f32_u32 s3, s2
	s_sub_co_i32 s7, 0, s2
	s_delay_alu instid0(SALU_CYCLE_2) | instskip(SKIP_1) | instid1(TRANS32_DEP_1)
	v_rcp_iflag_f32_e32 v1, s3
	v_nop
	v_readfirstlane_b32 s3, v1
	s_mul_f32 s3, s3, 0x4f7ffffe
	s_delay_alu instid0(SALU_CYCLE_3) | instskip(NEXT) | instid1(SALU_CYCLE_3)
	s_cvt_u32_f32 s3, s3
	s_mul_i32 s7, s7, s3
	s_delay_alu instid0(SALU_CYCLE_1) | instskip(NEXT) | instid1(SALU_CYCLE_1)
	s_mul_hi_u32 s7, s3, s7
	s_add_co_i32 s3, s3, s7
	s_cmp_eq_u32 s27, 0
	s_cselect_b32 s4, s4, s6
	s_delay_alu instid0(SALU_CYCLE_1) | instskip(NEXT) | instid1(SALU_CYCLE_1)
	s_mul_hi_u32 s3, s4, s3
	s_mul_i32 s5, s3, s2
	s_add_co_i32 s6, s3, 1
	s_sub_co_i32 s5, s4, s5
	s_delay_alu instid0(SALU_CYCLE_1)
	s_sub_co_i32 s7, s5, s2
	s_cmp_ge_u32 s5, s2
	s_cselect_b32 s3, s6, s3
	s_cselect_b32 s5, s7, s5
	s_add_co_i32 s6, s3, 1
	s_cmp_ge_u32 s5, s2
	s_cselect_b32 s28, s6, s3
	s_abs_i32 s2, s31
	s_abs_i32 s7, s23
	s_cvt_f32_u32 s3, s2
	s_sub_co_i32 s5, 0, s2
	s_lshl_b32 s4, s4, 3
	s_mul_i32 s6, s28, s23
	v_rcp_iflag_f32_e32 v1, s3
	s_sub_co_i32 s33, s4, s6
	s_xor_b32 s4, s23, s31
	s_delay_alu instid0(SALU_CYCLE_1) | instskip(SKIP_1) | instid1(TRANS32_DEP_1)
	s_ashr_i32 s24, s4, 31
	v_nop
	v_readfirstlane_b32 s3, v1
	s_mul_f32 s3, s3, 0x4f7ffffe
	s_delay_alu instid0(SALU_CYCLE_3) | instskip(NEXT) | instid1(SALU_CYCLE_3)
	s_cvt_u32_f32 s3, s3
	s_mul_i32 s5, s5, s3
	s_delay_alu instid0(SALU_CYCLE_1) | instskip(NEXT) | instid1(SALU_CYCLE_1)
	s_mul_hi_u32 s5, s3, s5
	s_add_co_i32 s3, s3, s5
	s_delay_alu instid0(SALU_CYCLE_1) | instskip(NEXT) | instid1(SALU_CYCLE_1)
	s_mul_hi_u32 s3, s7, s3
	s_mul_i32 s5, s3, s2
	s_delay_alu instid0(SALU_CYCLE_1)
	s_sub_co_i32 s4, s7, s5
	s_add_co_i32 s5, s3, 1
	s_sub_co_i32 s6, s4, s2
	s_cmp_ge_u32 s4, s2
	s_cselect_b32 s3, s5, s3
	s_cselect_b32 s4, s6, s4
	s_add_co_i32 s5, s3, 1
	s_cmp_ge_u32 s4, s2
	s_cselect_b32 s2, s5, s3
	s_load_b512 s[4:19], s[0:1], 0x0
	s_xor_b32 s2, s2, s24
	s_mov_b32 s3, 0
	s_sub_co_i32 s29, s2, s24
	s_delay_alu instid0(SALU_CYCLE_1) | instskip(NEXT) | instid1(SALU_CYCLE_1)
	s_abs_i32 s38, s29
	s_cvt_f32_u32 s2, s38
	s_delay_alu instid0(SALU_CYCLE_3) | instskip(SKIP_1) | instid1(TRANS32_DEP_1)
	v_rcp_iflag_f32_e32 v1, s2
	v_nop
	v_readfirstlane_b32 s2, v1
	s_wait_kmcnt 0x0
	s_cmp_eq_u64 s[10:11], 0
	s_cbranch_scc1 .LBB13_2
; %bb.1:
	s_abs_i32 s26, s36
	s_abs_i32 s31, s28
	s_cvt_f32_u32 s24, s26
	s_sub_co_i32 s25, 0, s26
	s_delay_alu instid0(SALU_CYCLE_2) | instskip(SKIP_1) | instid1(TRANS32_DEP_1)
	v_rcp_iflag_f32_e32 v1, s24
	v_nop
	v_readfirstlane_b32 s24, v1
	s_mul_f32 s24, s24, 0x4f7ffffe
	s_delay_alu instid0(SALU_CYCLE_3) | instskip(NEXT) | instid1(SALU_CYCLE_3)
	s_cvt_u32_f32 s24, s24
	s_mul_i32 s25, s25, s24
	s_delay_alu instid0(SALU_CYCLE_1) | instskip(NEXT) | instid1(SALU_CYCLE_1)
	s_mul_hi_u32 s25, s24, s25
	s_add_co_i32 s24, s24, s25
	s_delay_alu instid0(SALU_CYCLE_1) | instskip(SKIP_2) | instid1(SALU_CYCLE_1)
	s_mul_hi_u32 s34, s31, s24
	s_load_b64 s[24:25], s[0:1], 0xc8
	s_mul_i32 s34, s34, s26
	s_sub_co_i32 s31, s31, s34
	s_ashr_i32 s34, s28, 31
	s_sub_co_i32 s35, s31, s26
	s_cmp_ge_u32 s31, s26
	s_cselect_b32 s31, s35, s31
	s_delay_alu instid0(SALU_CYCLE_1) | instskip(SKIP_2) | instid1(SALU_CYCLE_1)
	s_sub_co_i32 s35, s31, s26
	s_cmp_ge_u32 s31, s26
	s_cselect_b32 s26, s35, s31
	s_xor_b32 s26, s26, s34
	s_delay_alu instid0(SALU_CYCLE_1) | instskip(NEXT) | instid1(SALU_CYCLE_1)
	s_sub_co_i32 s34, s26, s34
	s_ashr_i32 s35, s34, 31
	s_wait_kmcnt 0x0
	s_mul_u64 s[24:25], s[24:25], s[34:35]
	s_delay_alu instid0(SALU_CYCLE_1)
	s_add_nc_u64 s[34:35], s[10:11], s[24:25]
.LBB13_2:
	s_bfe_u32 s10, ttmp6, 0x4000c
	v_dual_lshrrev_b32 v1, 10, v0 :: v_dual_mov_b32 v3, 0
	s_add_co_i32 s10, s10, 1
	s_and_b32 s11, ttmp6, 15
	s_mul_i32 s10, ttmp9, s10
	s_delay_alu instid0(VALU_DEP_1) | instskip(SKIP_4) | instid1(SALU_CYCLE_1)
	v_bfe_u32 v1, v1, 2, 8
	s_add_co_i32 s11, s11, s10
	s_cmp_eq_u32 s27, 0
	s_load_b96 s[24:26], s[0:1], 0x70
	s_cselect_b32 s10, ttmp9, s11
	v_dual_mov_b32 v17, v3 :: v_dual_add_nc_u32 v48, s10, v1
	v_dual_mov_b32 v9, v3 :: v_dual_mov_b32 v13, v3
	s_delay_alu instid0(VALU_DEP_2) | instskip(NEXT) | instid1(VALU_DEP_1)
	v_mul_hi_u32 v1, s20, v48
	v_add_nc_u32_e32 v1, v48, v1
	s_wait_kmcnt 0x0
	s_mul_i32 s20, s33, s25
	s_ashr_i32 s41, s25, 31
	s_mov_b32 s40, s25
	s_ashr_i32 s25, s24, 31
	v_lshrrev_b32_e32 v1, s21, v1
	s_lshr_b64 s[24:25], s[24:25], 2
	s_ashr_i32 s21, s20, 31
	s_delay_alu instid0(VALU_DEP_1) | instskip(NEXT) | instid1(VALU_DEP_1)
	v_mul_lo_u32 v1, v1, s22
	v_sub_nc_u32_e32 v2, v48, v1
	v_bfe_u32 v1, v0, 10, 10
	s_delay_alu instid0(VALU_DEP_1) | instskip(NEXT) | instid1(VALU_DEP_3)
	v_lshlrev_b32_e32 v4, 1, v1
	v_mul_u64_e32 v[6:7], s[24:25], v[2:3]
	s_lshr_b64 s[24:25], s[40:41], 2
	s_delay_alu instid0(VALU_DEP_2) | instskip(SKIP_2) | instid1(VALU_DEP_3)
	v_and_b32_e32 v16, 6, v4
	v_bitop3_b32 v8, v4, 7, 1 bitop3:0xc8
	v_or_b32_e32 v5, 1, v4
	v_mul_u64_e32 v[10:11], s[24:25], v[16:17]
	s_delay_alu instid0(VALU_DEP_3)
	v_mul_u64_e32 v[8:9], s[24:25], v[8:9]
	s_mul_i32 s24, s28, s26
	v_and_b32_e32 v17, 0x3ff, v0
	s_ashr_i32 s25, s24, 31
	s_cmp_eq_u64 s[14:15], 0
	s_add_nc_u64 s[4:5], s[4:5], s[24:25]
	s_delay_alu instid0(SALU_CYCLE_1) | instskip(SKIP_1) | instid1(VALU_DEP_1)
	s_add_nc_u64 s[4:5], s[4:5], s[20:21]
	v_dual_lshlrev_b32 v12, 4, v17 :: v_dual_lshlrev_b32 v50, 3, v17
	v_add_nc_u32_e32 v3, 0x2400, v50
	v_lshl_add_u64 v[6:7], v[6:7], 2, s[4:5]
	s_load_b32 s4, s[0:1], 0x40
	s_delay_alu instid0(VALU_DEP_1) | instskip(NEXT) | instid1(VALU_DEP_1)
	v_add_nc_u64_e32 v[6:7], v[6:7], v[12:13]
	v_lshl_add_u64 v[14:15], v[10:11], 2, v[6:7]
	v_lshl_add_u64 v[18:19], v[8:9], 2, v[6:7]
	s_clause 0x1
	global_load_b128 v[6:9], v[14:15], off
	global_load_b128 v[10:13], v[18:19], off
	s_wait_loadcnt 0x1
	s_wait_kmcnt 0x0
	v_fma_mixlo_f16 v6, s4, v6, 0
	v_fma_mixlo_f16 v7, s4, v7, 0
	s_wait_loadcnt 0x0
	v_fma_mixlo_f16 v10, s4, v10, 0
	v_fma_mixlo_f16 v11, s4, v11, 0
	v_lshlrev_b32_e32 v0, 9, v1
	v_fma_mixlo_f16 v8, s4, v8, 0
	v_fma_mixlo_f16 v9, s4, v9, 0
	v_lshlrev_b32_e32 v7, 16, v7
	v_and_b32_e32 v6, 0xffff, v6
	v_fma_mixlo_f16 v12, s4, v12, 0
	v_fma_mixlo_f16 v13, s4, v13, 0
	v_lshlrev_b32_e32 v11, 16, v11
	v_and_b32_e32 v10, 0xffff, v10
	v_dual_add_nc_u32 v14, v3, v0 :: v_dual_lshlrev_b32 v9, 16, v9
	v_and_b32_e32 v8, 0xffff, v8
	v_dual_lshlrev_b32 v13, 16, v13 :: v_dual_bitop2_b32 v6, v7, v6 bitop3:0x54
	v_and_b32_e32 v12, 0xffff, v12
	v_or_b32_e32 v10, v11, v10
	s_delay_alu instid0(VALU_DEP_4) | instskip(NEXT) | instid1(VALU_DEP_4)
	v_or3_b32 v7, v9, v8, 0
	v_or3_b32 v6, 0, 0, v6
	v_lshl_add_u32 v3, v5, 8, v3
	v_or3_b32 v9, v13, v12, 0
	v_or3_b32 v8, 0, 0, v10
	ds_store_b64 v14, v[6:7]
	ds_store_b64 v3, v[8:9]
	s_wait_dscnt 0x0
	s_barrier_signal -1
	s_barrier_wait -1
	s_cbranch_scc1 .LBB13_4
; %bb.3:
	s_load_b32 s4, s[0:1], 0xd0
	s_wait_kmcnt 0x0
	s_mul_i32 s4, s4, s28
	s_delay_alu instid0(SALU_CYCLE_1)
	s_add_co_i32 s4, s4, s10
	s_load_b32 s30, s[14:15], s4 offset:0x0 scale_offset
.LBB13_4:
	s_wait_xcnt 0x0
	s_bfe_u32 s4, ttmp6, 0x40010
	s_and_b32 s5, ttmp7, 0xffff
	s_add_co_i32 s4, s4, 1
	s_bfe_u32 s10, ttmp6, 0x40004
	s_mul_i32 s4, s5, s4
	v_mbcnt_lo_u32_b32 v51, -1, 0
	s_add_co_i32 s10, s10, s4
	s_cmp_eq_u32 s27, 0
	s_mov_b32 s4, 0
	s_cselect_b32 s31, s5, s10
	s_delay_alu instid0(SALU_CYCLE_1)
	s_lshl_b32 s10, s31, 6
	s_wait_kmcnt 0x0
	s_cmp_lt_i32 s10, s30
	s_cbranch_scc1 .LBB13_7
; %bb.5:
	v_mbcnt_lo_u32_b32 v5, -1, 0
	s_delay_alu instid0(VALU_DEP_1)
	v_dual_mov_b32 v3, 32 :: v_dual_bitop2_b32 v56, 16, v5 bitop3:0x14
	v_xor_b32_e32 v55, 8, v5
	v_xor_b32_e32 v54, 4, v5
	;; [unrolled: 1-line block ×4, first 2 shown]
	v_lshlrev_b32_e32 v49, 2, v17
	s_and_not1_b32 vcc_lo, exec_lo, s4
	s_cbranch_vccz .LBB13_8
; %bb.6:
	v_dual_mov_b32 v21, 0 :: v_dual_mov_b32 v75, 0
	v_dual_mov_b32 v41, 0xfeffffff :: v_dual_mov_b32 v40, 0xfeffffff
	s_delay_alu instid0(VALU_DEP_2)
	v_dual_mov_b32 v76, 0 :: v_dual_mov_b32 v20, v21
	v_dual_mov_b32 v73, 0 :: v_dual_mov_b32 v74, 0
	s_branch .LBB13_11
.LBB13_7:
                                        ; implicit-def: $vgpr5
                                        ; implicit-def: $vgpr3
                                        ; implicit-def: $vgpr56
                                        ; implicit-def: $vgpr55
                                        ; implicit-def: $vgpr54
                                        ; implicit-def: $vgpr53
                                        ; implicit-def: $vgpr52
	v_lshlrev_b32_e32 v49, 2, v17
.LBB13_8:
	s_clause 0x1
	s_load_b64 s[4:5], s[0:1], 0x8c
	s_load_b128 s[24:27], s[0:1], 0x98
	s_mul_f32 s2, s2, 0x4f7ffffe
	s_sub_co_i32 s11, 0, s38
	s_mov_b32 s15, s3
	s_ashr_i32 s20, s33, 31
	s_cvt_u32_f32 s14, s2
	s_abs_i32 s2, s33
	s_ashr_i32 s21, s29, 31
	s_load_b64 s[40:41], s[0:1], 0xa8
	s_mul_i32 s11, s11, s14
	s_ashr_i32 s29, s28, 31
	s_mul_hi_u32 s11, s14, s11
	s_xor_b32 s21, s20, s21
	s_add_co_i32 s14, s14, s11
	s_ashr_i32 s11, s37, 1
	s_mul_u64 s[14:15], s[2:3], s[14:15]
	v_dual_lshrrev_b32 v3, 3, v17 :: v_dual_lshrrev_b32 v5, 4, v17
	s_mul_i32 s3, s15, s38
	s_wait_kmcnt 0x0
	s_ashr_i32 s20, s4, 2
	s_sub_co_i32 s2, s2, s3
	s_ashr_i32 s14, s26, 2
	s_add_co_i32 s3, s15, 1
	s_sub_co_i32 s4, s2, s38
	s_cmp_ge_u32 s2, s38
	v_lshl_add_u32 v3, v1, 2, v3
	s_cselect_b32 s3, s3, s15
	s_cselect_b32 s2, s4, s2
	s_add_co_i32 s4, s3, 1
	s_cmp_ge_u32 s2, s38
	v_mul_lo_u32 v18, s20, v3
	s_cselect_b32 s2, s4, s3
	v_dual_add_nc_u32 v5, v5, v4 :: v_dual_bitop2_b32 v6, 28, v49 bitop3:0x40
	s_xor_b32 s2, s2, s21
	v_mov_b32_e32 v25, 0
	s_sub_co_i32 s15, s2, s21
	s_mul_u64 s[2:3], s[24:25], s[28:29]
	s_mul_i32 s4, s15, s5
	s_add_nc_u64 s[2:3], s[6:7], s[2:3]
	s_ashr_i32 s5, s4, 31
	v_mul_lo_u32 v4, s14, v5
	s_add_nc_u64 s[24:25], s[2:3], s[4:5]
	s_mul_u64 s[2:3], s[40:41], s[28:29]
	s_mul_i32 s4, s15, s27
	s_add_nc_u64 s[2:3], s[8:9], s[2:3]
	s_ashr_i32 s5, s4, 31
	v_ashrrev_i32_e32 v19, 31, v18
	s_add_nc_u64 s[8:9], s[2:3], s[4:5]
	s_lshl_b32 s2, s20, 4
	v_lshlrev_b32_e32 v7, 2, v6
	v_add_nc_u32_e32 v22, s2, v18
	v_dual_mov_b32 v76, v25 :: v_dual_add_nc_u32 v61, 0x2400, v0
	v_mad_u32 v64, v2, s11, v17
	s_delay_alu instid0(VALU_DEP_4) | instskip(NEXT) | instid1(VALU_DEP_4)
	v_mad_u32_u24 v57, 0x90, v3, v7
	v_dual_add_nc_u32 v26, s2, v22 :: v_dual_ashrrev_i32 v23, 31, v22
	v_and_b32_e32 v8, 60, v49
	v_lshl_add_u32 v65, v1, 8, 0x2c00
	s_delay_alu instid0(VALU_DEP_4) | instskip(NEXT) | instid1(VALU_DEP_4)
	v_dual_mov_b32 v33, v25 :: v_dual_add_nc_u32 v58, 0x900, v57
	v_dual_ashrrev_i32 v27, 31, v26 :: v_dual_add_nc_u32 v28, s2, v26
	s_delay_alu instid0(VALU_DEP_4) | instskip(SKIP_3) | instid1(VALU_DEP_3)
	v_lshlrev_b32_e32 v3, 2, v8
	s_lshl_b32 s2, s14, 3
	v_dual_mov_b32 v74, v25 :: v_dual_add_nc_u32 v59, 0x1200, v57
	v_add_nc_u32_e32 v10, s2, v4
	v_lshl_or_b32 v63, v5, 8, v3
	v_ashrrev_i32_e32 v5, 31, v4
	v_ashrrev_i32_e32 v29, 31, v28
	v_dual_mov_b32 v73, v25 :: v_dual_add_nc_u32 v60, 0x1b00, v57
	v_dual_add_nc_u32 v0, s2, v10 :: v_dual_ashrrev_i32 v11, 31, v10
	s_delay_alu instid0(VALU_DEP_4) | instskip(SKIP_2) | instid1(VALU_DEP_4)
	v_lshlrev_b64_e32 v[30:31], 2, v[4:5]
	v_mul_u32_u24_e32 v62, 0x90, v17
	v_dual_mov_b32 v75, v25 :: v_dual_add_nc_u32 v66, 0x800, v63
	v_dual_add_nc_u32 v2, s2, v0 :: v_dual_ashrrev_i32 v1, 31, v0
	v_lshlrev_b64_e32 v[34:35], 2, v[10:11]
	v_dual_mov_b32 v20, v25 :: v_dual_add_nc_u32 v67, 0x1000, v63
	s_delay_alu instid0(VALU_DEP_3) | instskip(NEXT) | instid1(VALU_DEP_4)
	v_ashrrev_i32_e32 v3, 31, v2
	v_lshlrev_b64_e32 v[36:37], 2, v[0:1]
	v_dual_mov_b32 v21, v25 :: v_dual_add_nc_u32 v68, 0x1800, v63
	v_dual_mov_b32 v40, 0xfeffffff :: v_dual_add_nc_u32 v69, v65, v49
	s_delay_alu instid0(VALU_DEP_4)
	v_lshlrev_b64_e32 v[38:39], 2, v[2:3]
	v_dual_lshlrev_b32 v24, 2, v6 :: v_dual_bitop2_b32 v56, 16, v51 bitop3:0x14
	v_dual_lshlrev_b32 v32, 2, v8 :: v_dual_bitop2_b32 v55, 8, v51 bitop3:0x14
	v_xor_b32_e32 v54, 4, v51
	v_xor_b32_e32 v53, 2, v51
	;; [unrolled: 1-line block ×3, first 2 shown]
	v_add_nc_u32_e32 v70, 0x800, v50
	v_add_nc_u32_e32 v71, 0x1000, v50
	;; [unrolled: 1-line block ×3, first 2 shown]
	v_mov_b32_e32 v41, 0xfeffffff
	s_ashr_i32 s21, s20, 31
	s_ashr_i32 s15, s14, 31
	s_add_nc_u64 s[26:27], s[0:1], 0xd0
.LBB13_9:                               ; =>This Inner Loop Header: Depth=1
	v_cmp_gt_i32_e32 vcc_lo, 32, v56
	v_dual_mov_b32 v42, v41 :: v_dual_mov_b32 v43, v40
	s_ashr_i32 s11, s10, 31
	v_dual_mov_b32 v77, 0 :: v_dual_mov_b32 v78, 0
	v_cndmask_b32_e32 v0, v51, v56, vcc_lo
	v_cmp_gt_i32_e32 vcc_lo, 32, v55
	v_add_nc_u32_e32 v40, s10, v64
	s_mul_u64 s[2:3], s[10:11], s[20:21]
	v_dual_mov_b32 v79, 0 :: v_dual_mov_b32 v80, 0
	v_cndmask_b32_e32 v1, v51, v55, vcc_lo
	v_cmp_gt_i32_e32 vcc_lo, 32, v54
	s_lshl_b64 s[2:3], s[2:3], 2
	s_mul_u64 s[4:5], s[10:11], s[14:15]
	s_add_nc_u64 s[6:7], s[24:25], s[2:3]
	v_dual_lshlrev_b32 v46, 2, v1 :: v_dual_cndmask_b32 v2, v51, v54, vcc_lo
	v_cmp_gt_i32_e32 vcc_lo, 32, v53
	v_lshlrev_b32_e32 v47, 2, v0
	v_lshl_add_u64 v[0:1], v[18:19], 2, s[6:7]
	v_lshl_add_u64 v[6:7], v[28:29], 2, s[6:7]
	s_lshl_b64 s[4:5], s[4:5], 2
	v_cndmask_b32_e32 v3, v51, v53, vcc_lo
	v_cmp_gt_i32_e32 vcc_lo, 32, v52
	v_add_nc_u64_e32 v[0:1], v[0:1], v[24:25]
	v_add_nc_u64_e32 v[6:7], v[6:7], v[24:25]
	s_add_nc_u64 s[2:3], s[8:9], s[4:5]
	v_dual_cndmask_b32 v4, v51, v52 :: v_dual_lshlrev_b32 v45, 2, v2
	v_lshlrev_b32_e32 v44, 2, v3
	v_lshl_add_u64 v[2:3], v[22:23], 2, s[6:7]
	v_add_nc_u64_e32 v[8:9], s[2:3], v[30:31]
	s_delay_alu instid0(VALU_DEP_4) | instskip(SKIP_4) | instid1(VALU_DEP_4)
	v_lshlrev_b32_e32 v41, 2, v4
	v_lshl_add_u64 v[4:5], v[26:27], 2, s[6:7]
	v_add_nc_u64_e32 v[12:13], s[2:3], v[36:37]
	v_add_nc_u64_e32 v[2:3], v[2:3], v[24:25]
	;; [unrolled: 1-line block ×4, first 2 shown]
	s_clause 0x3
	global_load_b128 v[82:85], v[0:1], off
	global_load_b128 v[86:89], v[2:3], off
	;; [unrolled: 1-line block ×4, first 2 shown]
	v_add_nc_u64_e32 v[14:15], v[8:9], v[32:33]
	v_add_nc_u64_e32 v[8:9], v[12:13], v[32:33]
	;; [unrolled: 1-line block ×3, first 2 shown]
	s_wait_loadcnt 0x3
	ds_store_b128 v57, v[82:85]
	s_wait_loadcnt 0x2
	ds_store_b128 v58, v[86:89]
	;; [unrolled: 2-line block ×4, first 2 shown]
	s_wait_dscnt 0x0
	s_barrier_signal -1
	s_barrier_wait -1
	ds_load_b128 v[82:85], v62
	ds_load_b128 v[86:89], v61
	ds_load_b128 v[90:93], v61 offset:256
	ds_load_b128 v[94:97], v62 offset:4608
	s_wait_dscnt 0x2
	;;#ASMSTART
	v_dot2_f32_f16 v77, v82, v86, v77
	;;#ASMEND
	;;#ASMSTART
	v_dot2_f32_f16 v77, v83, v87, v77
	;;#ASMEND
	;;#ASMSTART
	v_dot2_f32_f16 v77, v84, v88, v77
	;;#ASMEND
	;;#ASMSTART
	v_dot2_f32_f16 v77, v85, v89, v77
	;;#ASMEND
	s_wait_dscnt 0x1
	;;#ASMSTART
	v_dot2_f32_f16 v78, v82, v90, v78
	;;#ASMEND
	;;#ASMSTART
	v_dot2_f32_f16 v78, v83, v91, v78
	;;#ASMEND
	;;#ASMSTART
	v_dot2_f32_f16 v78, v84, v92, v78
	;;#ASMEND
	;;#ASMSTART
	v_dot2_f32_f16 v78, v85, v93, v78
	;;#ASMEND
	s_wait_dscnt 0x0
	;;#ASMSTART
	v_dot2_f32_f16 v79, v94, v86, v79
	;;#ASMEND
	;;#ASMSTART
	v_dot2_f32_f16 v79, v95, v87, v79
	;;#ASMEND
	;;#ASMSTART
	v_dot2_f32_f16 v79, v96, v88, v79
	;;#ASMEND
	;;#ASMSTART
	v_dot2_f32_f16 v79, v97, v89, v79
	;;#ASMEND
	;;#ASMSTART
	v_dot2_f32_f16 v80, v94, v90, v80
	;;#ASMEND
	;;#ASMSTART
	v_dot2_f32_f16 v80, v95, v91, v80
	;;#ASMEND
	;;#ASMSTART
	v_dot2_f32_f16 v80, v96, v92, v80
	;;#ASMEND
	;;#ASMSTART
	v_dot2_f32_f16 v80, v97, v93, v80
	;;#ASMEND
	ds_load_b128 v[82:85], v62 offset:16
	ds_load_b128 v[86:89], v61 offset:16
	ds_load_b128 v[90:93], v61 offset:272
	ds_load_b128 v[94:97], v62 offset:4624
	s_wait_dscnt 0x2
	;;#ASMSTART
	v_dot2_f32_f16 v77, v82, v86, v77
	;;#ASMEND
	;;#ASMSTART
	v_dot2_f32_f16 v77, v83, v87, v77
	;;#ASMEND
	;;#ASMSTART
	v_dot2_f32_f16 v77, v84, v88, v77
	;;#ASMEND
	;;#ASMSTART
	v_dot2_f32_f16 v77, v85, v89, v77
	;;#ASMEND
	s_wait_dscnt 0x1
	;;#ASMSTART
	v_dot2_f32_f16 v78, v82, v90, v78
	;;#ASMEND
	;;#ASMSTART
	v_dot2_f32_f16 v78, v83, v91, v78
	;;#ASMEND
	;;#ASMSTART
	v_dot2_f32_f16 v78, v84, v92, v78
	;;#ASMEND
	;;#ASMSTART
	v_dot2_f32_f16 v78, v85, v93, v78
	;;#ASMEND
	s_wait_dscnt 0x0
	;;#ASMSTART
	v_dot2_f32_f16 v79, v94, v86, v79
	;;#ASMEND
	;;#ASMSTART
	v_dot2_f32_f16 v79, v95, v87, v79
	;;#ASMEND
	;;#ASMSTART
	v_dot2_f32_f16 v79, v96, v88, v79
	;;#ASMEND
	;;#ASMSTART
	v_dot2_f32_f16 v79, v97, v89, v79
	;;#ASMEND
	;;#ASMSTART
	v_dot2_f32_f16 v80, v94, v90, v80
	;;#ASMEND
	;;#ASMSTART
	v_dot2_f32_f16 v80, v95, v91, v80
	;;#ASMEND
	;;#ASMSTART
	v_dot2_f32_f16 v80, v96, v92, v80
	;;#ASMEND
	;;#ASMSTART
	v_dot2_f32_f16 v80, v97, v93, v80
	;;#ASMEND
	ds_load_b128 v[82:85], v62 offset:32
	ds_load_b128 v[86:89], v61 offset:32
	;; [unrolled: 55-line block ×7, first 2 shown]
	ds_load_b128 v[90:93], v61 offset:368
	ds_load_b128 v[94:97], v62 offset:4720
	s_wait_dscnt 0x2
	;;#ASMSTART
	v_dot2_f32_f16 v77, v82, v86, v77
	;;#ASMEND
	;;#ASMSTART
	v_dot2_f32_f16 v77, v83, v87, v77
	;;#ASMEND
	;; [unrolled: 3-line block ×4, first 2 shown]
	s_wait_dscnt 0x1
	;;#ASMSTART
	v_dot2_f32_f16 v78, v82, v90, v78
	;;#ASMEND
	;;#ASMSTART
	v_dot2_f32_f16 v78, v83, v91, v78
	;;#ASMEND
	;; [unrolled: 3-line block ×3, first 2 shown]
	v_add_nc_u64_e32 v[82:83], s[2:3], v[38:39]
	;;#ASMSTART
	v_dot2_f32_f16 v78, v85, v93, v78
	;;#ASMEND
	s_wait_dscnt 0x0
	;;#ASMSTART
	v_dot2_f32_f16 v79, v94, v86, v79
	;;#ASMEND
	;;#ASMSTART
	v_dot2_f32_f16 v79, v95, v87, v79
	;;#ASMEND
	;; [unrolled: 3-line block ×7, first 2 shown]
	v_add_nc_u64_e32 v[12:13], v[82:83], v[32:33]
	;;#ASMSTART
	v_dot2_f32_f16 v80, v97, v93, v80
	;;#ASMEND
	s_barrier_signal -1
	s_barrier_wait -1
	s_clause 0x3
	global_load_b128 v[82:85], v[0:1], off offset:128
	global_load_b128 v[0:3], v[2:3], off offset:128
	;; [unrolled: 1-line block ×4, first 2 shown]
	s_wait_loadcnt 0x3
	ds_store_b128 v57, v[82:85]
	s_wait_loadcnt 0x2
	ds_store_b128 v58, v[0:3]
	s_wait_loadcnt 0x1
	ds_store_b128 v59, v[86:89]
	s_wait_loadcnt 0x0
	ds_store_b128 v60, v[4:7]
	s_wait_dscnt 0x0
	s_barrier_signal -1
	s_barrier_wait -1
	ds_load_b128 v[0:3], v62
	ds_load_b128 v[4:7], v61 offset:128
	ds_load_b128 v[82:85], v61 offset:384
	ds_load_b128 v[86:89], v62 offset:4608
	s_wait_dscnt 0x2
	;;#ASMSTART
	v_dot2_f32_f16 v77, v0, v4, v77
	;;#ASMEND
	;;#ASMSTART
	v_dot2_f32_f16 v77, v1, v5, v77
	;;#ASMEND
	;;#ASMSTART
	v_dot2_f32_f16 v77, v2, v6, v77
	;;#ASMEND
	;;#ASMSTART
	v_dot2_f32_f16 v77, v3, v7, v77
	;;#ASMEND
	s_wait_dscnt 0x1
	;;#ASMSTART
	v_dot2_f32_f16 v78, v0, v82, v78
	;;#ASMEND
	;;#ASMSTART
	v_dot2_f32_f16 v78, v1, v83, v78
	;;#ASMEND
	;;#ASMSTART
	v_dot2_f32_f16 v78, v2, v84, v78
	;;#ASMEND
	;;#ASMSTART
	v_dot2_f32_f16 v78, v3, v85, v78
	;;#ASMEND
	s_wait_dscnt 0x0
	;;#ASMSTART
	v_dot2_f32_f16 v79, v86, v4, v79
	;;#ASMEND
	;;#ASMSTART
	v_dot2_f32_f16 v79, v87, v5, v79
	;;#ASMEND
	;;#ASMSTART
	v_dot2_f32_f16 v79, v88, v6, v79
	;;#ASMEND
	;;#ASMSTART
	v_dot2_f32_f16 v79, v89, v7, v79
	;;#ASMEND
	;;#ASMSTART
	v_dot2_f32_f16 v80, v86, v82, v80
	;;#ASMEND
	;;#ASMSTART
	v_dot2_f32_f16 v80, v87, v83, v80
	;;#ASMEND
	;;#ASMSTART
	v_dot2_f32_f16 v80, v88, v84, v80
	;;#ASMEND
	;;#ASMSTART
	v_dot2_f32_f16 v80, v89, v85, v80
	;;#ASMEND
	ds_load_b128 v[0:3], v62 offset:16
	ds_load_b128 v[4:7], v61 offset:144
	ds_load_b128 v[82:85], v61 offset:400
	ds_load_b128 v[86:89], v62 offset:4624
	s_wait_dscnt 0x2
	;;#ASMSTART
	v_dot2_f32_f16 v77, v0, v4, v77
	;;#ASMEND
	;;#ASMSTART
	v_dot2_f32_f16 v77, v1, v5, v77
	;;#ASMEND
	;;#ASMSTART
	v_dot2_f32_f16 v77, v2, v6, v77
	;;#ASMEND
	;;#ASMSTART
	v_dot2_f32_f16 v77, v3, v7, v77
	;;#ASMEND
	s_wait_dscnt 0x1
	;;#ASMSTART
	v_dot2_f32_f16 v78, v0, v82, v78
	;;#ASMEND
	;;#ASMSTART
	v_dot2_f32_f16 v78, v1, v83, v78
	;;#ASMEND
	;;#ASMSTART
	v_dot2_f32_f16 v78, v2, v84, v78
	;;#ASMEND
	;;#ASMSTART
	v_dot2_f32_f16 v78, v3, v85, v78
	;;#ASMEND
	s_wait_dscnt 0x0
	;;#ASMSTART
	v_dot2_f32_f16 v79, v86, v4, v79
	;;#ASMEND
	;;#ASMSTART
	v_dot2_f32_f16 v79, v87, v5, v79
	;;#ASMEND
	;;#ASMSTART
	v_dot2_f32_f16 v79, v88, v6, v79
	;;#ASMEND
	;;#ASMSTART
	v_dot2_f32_f16 v79, v89, v7, v79
	;;#ASMEND
	;;#ASMSTART
	v_dot2_f32_f16 v80, v86, v82, v80
	;;#ASMEND
	;;#ASMSTART
	v_dot2_f32_f16 v80, v87, v83, v80
	;;#ASMEND
	;;#ASMSTART
	v_dot2_f32_f16 v80, v88, v84, v80
	;;#ASMEND
	;;#ASMSTART
	v_dot2_f32_f16 v80, v89, v85, v80
	;;#ASMEND
	ds_load_b128 v[0:3], v62 offset:32
	;; [unrolled: 55-line block ×7, first 2 shown]
	ds_load_b128 v[4:7], v61 offset:240
	ds_load_b128 v[82:85], v61 offset:496
	;; [unrolled: 1-line block ×3, first 2 shown]
	s_wait_dscnt 0x2
	;;#ASMSTART
	v_dot2_f32_f16 v77, v0, v4, v77
	;;#ASMEND
	;;#ASMSTART
	v_dot2_f32_f16 v77, v1, v5, v77
	;;#ASMEND
	;;#ASMSTART
	v_dot2_f32_f16 v77, v2, v6, v77
	;;#ASMEND
	;;#ASMSTART
	v_dot2_f32_f16 v77, v3, v7, v77
	;;#ASMEND
	s_wait_dscnt 0x1
	;;#ASMSTART
	v_dot2_f32_f16 v78, v0, v82, v78
	;;#ASMEND
	;;#ASMSTART
	v_dot2_f32_f16 v78, v1, v83, v78
	;;#ASMEND
	;;#ASMSTART
	v_dot2_f32_f16 v78, v2, v84, v78
	;;#ASMEND
	;;#ASMSTART
	v_dot2_f32_f16 v78, v3, v85, v78
	;;#ASMEND
	;; [unrolled: 13-line block ×3, first 2 shown]
	;;#ASMSTART
	v_dot2_f32_f16 v80, v86, v82, v80
	;;#ASMEND
	;;#ASMSTART
	v_dot2_f32_f16 v80, v87, v83, v80
	;;#ASMEND
	;; [unrolled: 3-line block ×4, first 2 shown]
	s_clause 0x1
	global_load_u16 v81, v40, s[34:35] scale_offset
	global_load_u16 v40, v40, s[34:35] offset:64 scale_offset
	s_wait_loadcnt 0x0
	s_barrier_signal -1
	s_barrier_wait -1
	s_clause 0x3
	global_load_b128 v[0:3], v[14:15], off
	global_load_b128 v[4:7], v[10:11], off
	;; [unrolled: 1-line block ×4, first 2 shown]
	v_cvt_f32_f16_e32 v81, v81
	v_cvt_f32_f16_e32 v40, v40
	s_delay_alu instid0(VALU_DEP_1) | instskip(SKIP_1) | instid1(VALU_DEP_2)
	v_dual_add_f32 v77, v77, v81 :: v_dual_add_f32 v79, v79, v40
	v_dual_add_f32 v78, v78, v81 :: v_dual_add_f32 v80, v80, v40
	;; [unrolled: 1-line block ×3, first 2 shown]
	s_delay_alu instid0(VALU_DEP_2) | instskip(NEXT) | instid1(VALU_DEP_2)
	v_dual_add_f32 v83, 0x40051340, v80 :: v_dual_add_f32 v82, 0x40051340, v78
	v_max3_num_f32 v40, v43, v40, v81
	s_delay_alu instid0(VALU_DEP_2) | instskip(SKIP_4) | instid1(VALU_DEP_1)
	v_max3_num_f32 v81, v42, v82, v83
	ds_bpermute_b32 v82, v47, v40
	ds_bpermute_b32 v47, v47, v81
	s_wait_dscnt 0x0
	v_dual_max_num_f32 v47, v47, v47 :: v_dual_max_num_f32 v82, v82, v82
	v_dual_max_num_f32 v47, v81, v47 :: v_dual_max_num_f32 v40, v40, v82
	ds_bpermute_b32 v81, v46, v40
	ds_bpermute_b32 v46, v46, v47
	s_wait_dscnt 0x0
	v_dual_max_num_f32 v81, v81, v81 :: v_dual_max_num_f32 v46, v46, v46
	s_delay_alu instid0(VALU_DEP_1)
	v_dual_max_num_f32 v40, v40, v81 :: v_dual_max_num_f32 v46, v47, v46
	ds_bpermute_b32 v47, v45, v40
	s_wait_dscnt 0x0
	v_max_num_f32_e32 v47, v47, v47
	ds_bpermute_b32 v45, v45, v46
	s_wait_dscnt 0x0
	v_dual_max_num_f32 v40, v40, v47 :: v_dual_max_num_f32 v45, v45, v45
	s_delay_alu instid0(VALU_DEP_1)
	v_max_num_f32_e32 v45, v46, v45
	ds_bpermute_b32 v46, v44, v40
	s_wait_dscnt 0x0
	v_max_num_f32_e32 v46, v46, v46
	ds_bpermute_b32 v44, v44, v45
	s_wait_dscnt 0x0
	v_max_num_f32_e32 v44, v44, v44
	s_delay_alu instid0(VALU_DEP_1) | instskip(SKIP_4) | instid1(VALU_DEP_1)
	v_dual_max_num_f32 v40, v40, v46 :: v_dual_max_num_f32 v44, v45, v44
	ds_bpermute_b32 v45, v41, v40
	ds_bpermute_b32 v41, v41, v44
	s_wait_dscnt 0x1
	v_max_num_f32_e32 v45, v45, v45
	v_max_num_f32_e32 v40, v40, v45
	s_wait_dscnt 0x0
	s_delay_alu instid0(VALU_DEP_1) | instskip(NEXT) | instid1(VALU_DEP_1)
	v_dual_max_num_f32 v41, v41, v41 :: v_dual_sub_f32 v45, v79, v40
	v_dual_max_num_f32 v41, v44, v41 :: v_dual_sub_f32 v44, v77, v40
	s_delay_alu instid0(VALU_DEP_2) | instskip(NEXT) | instid1(VALU_DEP_2)
	v_cmp_ngt_f32_e64 s6, 0xc2ce8ed0, v45
	v_dual_sub_f32 v46, v78, v41 :: v_dual_sub_f32 v47, v80, v41
	s_delay_alu instid0(VALU_DEP_3) | instskip(SKIP_1) | instid1(VALU_DEP_3)
	v_dual_mul_f32 v77, 0x3fb8aa3b, v44 :: v_dual_mul_f32 v78, 0x3fb8aa3b, v45
	v_dual_sub_f32 v43, v43, v40 :: v_dual_sub_f32 v42, v42, v41
	v_mul_f32_e32 v79, 0x3fb8aa3b, v46
	s_delay_alu instid0(VALU_DEP_3) | instskip(NEXT) | instid1(VALU_DEP_4)
	v_fma_f32 v83, 0x3fb8aa3b, v44, -v77
	v_fma_f32 v84, 0x3fb8aa3b, v45, -v78
	v_rndne_f32_e32 v87, v77
	v_rndne_f32_e32 v88, v78
	v_fma_f32 v85, 0x3fb8aa3b, v46, -v79
	v_rndne_f32_e32 v89, v79
	v_mul_f32_e32 v80, 0x3fb8aa3b, v47
	v_dual_mul_f32 v81, 0x3fb8aa3b, v43 :: v_dual_mul_f32 v82, 0x3fb8aa3b, v42
	v_dual_fmac_f32 v83, 0x32a5705f, v44 :: v_dual_fmac_f32 v84, 0x32a5705f, v45
	v_dual_sub_f32 v77, v77, v87 :: v_dual_sub_f32 v78, v78, v88
	v_sub_f32_e32 v79, v79, v89
	v_fma_f32 v86, 0x3fb8aa3b, v47, -v80
	v_fmac_f32_e32 v85, 0x32a5705f, v46
	v_rndne_f32_e32 v90, v80
	v_fma_f32 v91, 0x3fb8aa3b, v43, -v81
	v_fma_f32 v92, 0x3fb8aa3b, v42, -v82
	v_rndne_f32_e32 v93, v81
	v_dual_fmac_f32 v86, 0x32a5705f, v47 :: v_dual_add_f32 v79, v79, v85
	v_add_f32_e32 v78, v78, v84
	v_rndne_f32_e32 v94, v82
	v_dual_sub_f32 v80, v80, v90 :: v_dual_fmac_f32 v91, 0x32a5705f, v43
	v_dual_fmac_f32 v92, 0x32a5705f, v42 :: v_dual_sub_f32 v81, v81, v93
	s_delay_alu instid0(VALU_DEP_4) | instskip(SKIP_2) | instid1(VALU_DEP_3)
	v_exp_f32_e32 v78, v78
	v_cvt_i32_f32_e32 v88, v88
	v_dual_sub_f32 v82, v82, v94 :: v_dual_add_f32 v77, v77, v83
	v_dual_add_f32 v80, v80, v86 :: v_dual_add_f32 v81, v81, v91
	v_exp_f32_e32 v79, v79
	s_delay_alu instid0(TRANS32_DEP_2) | instid1(VALU_DEP_3)
	v_ldexp_f32 v78, v78, v88
	s_delay_alu instid0(VALU_DEP_3) | instskip(NEXT) | instid1(VALU_DEP_3)
	v_add_f32_e32 v82, v82, v92
	v_exp_f32_e32 v80, v80
	v_exp_f32_e32 v77, v77
	;; [unrolled: 1-line block ×3, first 2 shown]
	v_cvt_i32_f32_e32 v87, v87
	v_cvt_i32_f32_e32 v89, v89
	;; [unrolled: 1-line block ×4, first 2 shown]
	v_cndmask_b32_e64 v78, 0, v78, s6
	v_exp_f32_e32 v82, v82
	v_cvt_i32_f32_e32 v94, v94
	v_ldexp_f32 v79, v79, v89
	v_cmp_ngt_f32_e32 vcc_lo, 0xc2ce8ed0, v46
	v_ldexp_f32 v80, v80, v90
	v_cmp_ngt_f32_e64 s2, 0xc2ce8ed0, v47
	v_ldexp_f32 v77, v77, v87
	v_cmp_ngt_f32_e64 s3, 0xc2ce8ed0, v44
	;; [unrolled: 2-line block ×4, first 2 shown]
	v_cmp_nlt_f32_e64 s6, 0x42b17218, v45
	v_dual_cndmask_b32 v45, 0, v79, vcc_lo :: v_dual_cndmask_b32 v79, 0, v80, s2
	v_cmp_nlt_f32_e32 vcc_lo, 0x42b17218, v46
	v_cmp_nlt_f32_e64 s2, 0x42b17218, v47
	v_dual_cndmask_b32 v46, 0, v77, s3 :: v_dual_cndmask_b32 v77, 0, v82, s4
	v_cmp_nlt_f32_e64 s3, 0x42b17218, v42
	v_cndmask_b32_e64 v42, 0, v81, s5
	v_cmp_nlt_f32_e64 s5, 0x42b17218, v44
	v_cndmask_b32_e32 v45, 0x7f800000, v45, vcc_lo
	v_cndmask_b32_e64 v47, 0x7f800000, v79, s2
	v_cmp_nlt_f32_e64 s4, 0x42b17218, v43
	v_cndmask_b32_e64 v43, 0x7f800000, v77, s3
	v_cndmask_b32_e64 v44, 0x7f800000, v46, s5
	;; [unrolled: 1-line block ×3, first 2 shown]
	s_or_b32 s2, s10, 32
	v_cndmask_b32_e64 v42, 0x7f800000, v42, s4
	v_cvt_f16_f32_e32 v77, v43
	v_cvt_pk_f16_f32 v79, v44, v45
	v_cvt_pk_f16_f32 v80, v46, v47
	ds_store_2addr_b32 v69, v79, v80 offset1:32
	s_wait_loadcnt 0x3
	ds_store_b128 v63, v[0:3]
	s_wait_loadcnt 0x2
	ds_store_b128 v66, v[4:7]
	;; [unrolled: 2-line block ×4, first 2 shown]
	s_wait_dscnt 0x0
	s_barrier_signal -1
	s_barrier_wait -1
	ds_load_b128 v[0:3], v65
	ds_load_b128 v[4:7], v65 offset:16
	v_cvt_f16_f32_e32 v78, v42
	v_pk_add_f32 v[82:83], v[44:45], v[46:47]
	ds_load_2addr_b64 v[8:11], v50 offset1:32
	ds_load_b128 v[12:15], v65 offset:32
	ds_load_b128 v[44:47], v65 offset:48
	v_and_b32_e32 v77, 0xffff, v77
	s_ashr_i32 s3, s2, 31
	v_and_b32_e32 v78, 0xffff, v78
	v_pk_fma_f32 v[20:21], v[20:21], v[42:43], v[82:83]
	s_mul_u64 s[2:3], s[2:3], s[14:15]
	s_delay_alu instid0(SALU_CYCLE_1) | instskip(NEXT) | instid1(VALU_DEP_2)
	s_lshl_b64 s[2:3], s[2:3], 2
	v_mul_u32_u24_e32 v42, 0x10001, v78
	s_add_nc_u64 s[2:3], s[8:9], s[2:3]
	s_delay_alu instid0(VALU_DEP_1)
	v_pk_mul_f16 v43, v76, v42
	s_wait_dscnt 0x4
	v_and_b32_e32 v76, 0xffff, v0
	s_wait_dscnt 0x3
	v_and_b32_e32 v85, 0xffff, v4
	v_dual_lshrrev_b32 v86, 16, v4 :: v_dual_lshrrev_b32 v88, 16, v5
	v_lshrrev_b32_e32 v78, 16, v0
	v_mul_u32_u24_e32 v4, 0x10001, v76
	v_and_b32_e32 v79, 0xffff, v1
	v_dual_lshrrev_b32 v80, 16, v1 :: v_dual_lshrrev_b32 v83, 16, v3
	v_and_b32_e32 v81, 0xffff, v2
	s_wait_dscnt 0x2
	v_pk_mul_f16 v0, v8, v4
	v_lshrrev_b32_e32 v82, 16, v2
	v_and_b32_e32 v84, 0xffff, v3
	v_and_b32_e32 v87, 0xffff, v5
	;; [unrolled: 1-line block ×3, first 2 shown]
	v_pk_fma_f16 v5, v75, v42, v0
	ds_load_b128 v[0:3], v65 offset:64
	v_dual_lshrrev_b32 v90, 16, v6 :: v_dual_lshrrev_b32 v91, 16, v7
	s_wait_dscnt 0x2
	v_and_b32_e32 v95, 0xffff, v14
	v_dual_lshrrev_b32 v96, 16, v14 :: v_dual_lshrrev_b32 v97, 16, v15
	v_mul_u32_u24_e32 v6, 0x10001, v77
	v_mul_u32_u24_e32 v14, 0x10001, v78
	v_and_b32_e32 v92, 0xffff, v7
	v_and_b32_e32 v98, 0xffff, v15
	v_mul_u32_u24_e32 v15, 0x10001, v79
	v_pk_mul_f16 v7, v74, v6
	v_pk_fma_f16 v4, v9, v4, v43
	v_pk_mul_f16 v8, v8, v14
	v_mul_u32_u24_e32 v42, 0x10001, v80
	v_and_b32_e32 v93, 0xffff, v12
	v_pk_fma_f16 v9, v9, v14, v7
	v_pk_fma_f16 v14, v11, v15, v4
	v_pk_fma_f16 v8, v73, v6, v8
	v_pk_fma_f16 v15, v10, v15, v5
	ds_load_b128 v[4:7], v65 offset:80
	s_wait_dscnt 0x1
	v_and_b32_e32 v73, 0xffff, v0
	v_dual_lshrrev_b32 v74, 16, v0 :: v_dual_lshrrev_b32 v78, 16, v1
	v_and_b32_e32 v75, 0xffff, v1
	v_and_b32_e32 v79, 0xffff, v2
	v_dual_lshrrev_b32 v80, 16, v2 :: v_dual_lshrrev_b32 v105, 16, v3
	v_and_b32_e32 v106, 0xffff, v3
	ds_load_2addr_b64 v[0:3], v50 offset0:64 offset1:96
	v_pk_fma_f16 v8, v10, v42, v8
	v_mul_u32_u24_e32 v10, 0x10001, v81
	v_pk_fma_f16 v9, v11, v42, v9
	v_lshrrev_b32_e32 v12, 16, v12
	v_and_b32_e32 v94, 0xffff, v13
	v_lshrrev_b32_e32 v13, 16, v13
	v_and_b32_e32 v101, 0xffff, v46
	v_dual_lshrrev_b32 v102, 16, v46 :: v_dual_lshrrev_b32 v103, 16, v47
	v_mul_u32_u24_e32 v12, 0x10001, v12
	s_wait_dscnt 0x1
	v_and_b32_e32 v108, 0xffff, v6
	v_dual_lshrrev_b32 v109, 16, v6 :: v_dual_lshrrev_b32 v110, 16, v7
	v_mul_u32_u24_e32 v6, 0x10001, v86
	v_lshrrev_b32_e32 v107, 16, v5
	v_and_b32_e32 v111, 0xffff, v7
	v_mul_u32_u24_e32 v42, 0x10001, v94
	v_and_b32_e32 v104, 0xffff, v47
	v_and_b32_e32 v99, 0xffff, v44
	s_wait_dscnt 0x0
	v_pk_fma_f16 v11, v1, v10, v14
	v_mul_u32_u24_e32 v14, 0x10001, v82
	v_pk_fma_f16 v10, v0, v10, v15
	v_and_b32_e32 v82, 0xffff, v4
	v_lshrrev_b32_e32 v44, 16, v44
	v_and_b32_e32 v100, 0xffff, v45
	v_pk_fma_f16 v0, v0, v14, v8
	v_mul_u32_u24_e32 v8, 0x10001, v84
	v_pk_fma_f16 v1, v1, v14, v9
	v_and_b32_e32 v84, 0xffff, v5
	v_mul_u32_u24_e32 v14, 0x10001, v93
	v_lshrrev_b32_e32 v45, 16, v45
	v_pk_fma_f16 v9, v3, v8, v11
	v_pk_fma_f16 v8, v2, v8, v10
	v_mul_u32_u24_e32 v10, 0x10001, v83
	v_lshrrev_b32_e32 v83, 16, v4
	v_mul_u32_u24_e32 v4, 0x10001, v85
	v_mul_u32_u24_e32 v43, 0x10001, v44
	;; [unrolled: 1-line block ×3, first 2 shown]
	v_pk_fma_f16 v11, v3, v10, v1
	v_pk_fma_f16 v10, v2, v10, v0
	ds_load_2addr_b64 v[0:3], v50 offset0:128 offset1:160
	v_mul_u32_u24_e32 v76, 0x10001, v101
	v_mul_u32_u24_e32 v77, 0x10001, v102
	;; [unrolled: 1-line block ×13, first 2 shown]
	s_wait_dscnt 0x0
	v_pk_fma_f16 v5, v1, v4, v9
	v_pk_fma_f16 v4, v0, v4, v8
	;; [unrolled: 1-line block ×4, first 2 shown]
	v_mul_u32_u24_e32 v6, 0x10001, v87
	v_mul_u32_u24_e32 v8, 0x10001, v89
	;; [unrolled: 1-line block ×4, first 2 shown]
	s_delay_alu instid0(VALU_DEP_4) | instskip(SKIP_2) | instid1(VALU_DEP_1)
	v_pk_fma_f16 v5, v3, v6, v5
	v_pk_fma_f16 v4, v2, v6, v4
	v_mul_u32_u24_e32 v6, 0x10001, v88
	v_pk_fma_f16 v7, v3, v6, v1
	v_pk_fma_f16 v6, v2, v6, v0
	ds_load_2addr_b64 v[0:3], v50 offset0:192 offset1:224
	s_wait_dscnt 0x0
	v_pk_fma_f16 v9, v1, v8, v5
	v_pk_fma_f16 v8, v0, v8, v4
	;; [unrolled: 1-line block ×4, first 2 shown]
	v_mul_u32_u24_e32 v10, 0x10001, v91
	v_pk_fma_f16 v9, v3, v11, v9
	v_pk_fma_f16 v8, v2, v11, v8
	v_add_nc_u64_e32 v[4:5], s[2:3], v[30:31]
	v_add_nc_u64_e32 v[6:7], s[2:3], v[34:35]
	v_pk_fma_f16 v11, v3, v10, v1
	v_pk_fma_f16 v10, v2, v10, v0
	ds_load_2addr_b64 v[0:3], v70 offset1:32
	v_add_nc_u64_e32 v[46:47], v[6:7], v[32:33]
	s_wait_dscnt 0x0
	v_pk_fma_f16 v15, v1, v14, v9
	v_pk_fma_f16 v14, v0, v14, v8
	;; [unrolled: 1-line block ×4, first 2 shown]
	v_add_nc_u64_e32 v[8:9], s[2:3], v[36:37]
	v_pk_fma_f16 v12, v3, v42, v15
	v_pk_fma_f16 v42, v2, v42, v14
	v_add_nc_u64_e32 v[14:15], v[4:5], v[32:33]
	v_mul_u32_u24_e32 v4, 0x10001, v13
	v_add_nc_u64_e32 v[0:1], s[2:3], v[38:39]
	v_add_nc_u64_e32 v[90:91], v[8:9], v[32:33]
	v_mul_u32_u24_e32 v8, 0x10001, v95
	s_delay_alu instid0(VALU_DEP_4)
	v_pk_fma_f16 v6, v3, v4, v11
	v_pk_fma_f16 v7, v2, v4, v10
	ds_load_2addr_b64 v[2:5], v70 offset0:64 offset1:96
	v_mul_u32_u24_e32 v9, 0x10001, v96
	v_mul_u32_u24_e32 v10, 0x10001, v98
	v_add_nc_u64_e32 v[0:1], v[0:1], v[32:33]
	s_wait_dscnt 0x0
	v_pk_fma_f16 v11, v3, v8, v12
	v_pk_fma_f16 v3, v3, v9, v6
	;; [unrolled: 1-line block ×4, first 2 shown]
	v_mul_u32_u24_e32 v12, 0x10001, v97
	v_pk_fma_f16 v11, v5, v10, v11
	v_mul_u32_u24_e32 v42, 0x10001, v99
	v_pk_fma_f16 v10, v4, v10, v6
	ds_load_2addr_b64 v[6:9], v70 offset0:128 offset1:160
	v_pk_fma_f16 v13, v5, v12, v3
	v_pk_fma_f16 v12, v4, v12, v2
	ds_load_2addr_b64 v[2:5], v70 offset0:192 offset1:224
	s_wait_dscnt 0x1
	v_pk_fma_f16 v11, v7, v42, v11
	v_pk_fma_f16 v10, v6, v42, v10
	;; [unrolled: 1-line block ×4, first 2 shown]
	s_delay_alu instid0(VALU_DEP_4) | instskip(NEXT) | instid1(VALU_DEP_4)
	v_pk_fma_f16 v42, v9, v44, v11
	v_pk_fma_f16 v43, v8, v44, v10
	ds_load_2addr_b64 v[10:13], v71 offset1:32
	v_mul_u32_u24_e32 v44, 0x10001, v45
	s_wait_dscnt 0x1
	v_pk_fma_f16 v42, v3, v76, v42
	v_pk_fma_f16 v43, v2, v76, v43
	s_delay_alu instid0(VALU_DEP_3)
	v_pk_fma_f16 v45, v9, v44, v7
	v_pk_fma_f16 v44, v8, v44, v6
	ds_load_2addr_b64 v[6:9], v71 offset0:64 offset1:96
	v_pk_fma_f16 v76, v5, v81, v42
	v_pk_fma_f16 v3, v3, v77, v45
	;; [unrolled: 1-line block ×4, first 2 shown]
	v_mul_u32_u24_e32 v81, 0x10001, v103
	ds_load_2addr_b64 v[42:45], v71 offset0:128 offset1:160
	v_pk_fma_f16 v85, v5, v81, v3
	v_pk_fma_f16 v81, v4, v81, v2
	s_wait_dscnt 0x2
	v_pk_fma_f16 v76, v11, v73, v76
	v_pk_fma_f16 v73, v10, v73, v77
	ds_load_2addr_b64 v[2:5], v71 offset0:192 offset1:224
	v_pk_fma_f16 v11, v11, v74, v85
	v_pk_fma_f16 v10, v10, v74, v81
	;; [unrolled: 1-line block ×4, first 2 shown]
	ds_load_b128 v[74:77], v65 offset:96
	v_pk_fma_f16 v85, v13, v78, v11
	v_pk_fma_f16 v78, v12, v78, v10
	s_wait_dscnt 0x3
	v_pk_fma_f16 v81, v7, v79, v81
	v_pk_fma_f16 v73, v6, v79, v73
	ds_load_2addr_b64 v[10:13], v72 offset1:32
	v_pk_fma_f16 v7, v7, v80, v85
	v_pk_fma_f16 v6, v6, v80, v78
	;; [unrolled: 1-line block ×4, first 2 shown]
	v_mul_u32_u24_e32 v86, 0x10001, v105
	ds_load_2addr_b64 v[78:81], v72 offset0:64 offset1:96
	s_wait_dscnt 0x4
	v_pk_fma_f16 v85, v43, v82, v85
	v_pk_fma_f16 v73, v42, v82, v73
	;; [unrolled: 1-line block ×4, first 2 shown]
	ds_load_b128 v[6:9], v65 offset:112
	v_pk_fma_f16 v73, v44, v84, v73
	v_pk_fma_f16 v43, v43, v83, v87
	;; [unrolled: 1-line block ×3, first 2 shown]
	v_mul_u32_u24_e32 v87, 0x10001, v107
	v_pk_fma_f16 v86, v45, v84, v85
	ds_load_2addr_b64 v[82:85], v72 offset0:128 offset1:160
	s_wait_dscnt 0x4
	v_and_b32_e32 v95, 0xffff, v75
	v_lshrrev_b32_e32 v96, 16, v75
	v_pk_fma_f16 v92, v45, v87, v43
	v_pk_fma_f16 v93, v44, v87, v42
	v_mul_u32_u24_e32 v87, 0x10001, v108
	ds_load_2addr_b64 v[42:45], v72 offset0:192 offset1:224
	s_wait_dscnt 0x0
	s_barrier_signal -1
	s_barrier_wait -1
	v_pk_fma_f16 v94, v3, v87, v86
	v_pk_fma_f16 v73, v2, v87, v73
	global_load_b128 v[86:89], v[14:15], off
	s_wait_xcnt 0x0
	v_mul_u32_u24_e32 v14, 0x10001, v109
	v_mul_u32_u24_e32 v15, 0x10001, v111
	v_and_b32_e32 v97, 0xffff, v76
	v_dual_lshrrev_b32 v98, 16, v76 :: v_dual_lshrrev_b32 v99, 16, v77
	s_delay_alu instid0(VALU_DEP_4)
	v_pk_fma_f16 v3, v3, v14, v92
	v_pk_fma_f16 v2, v2, v14, v93
	v_and_b32_e32 v14, 0xffff, v74
	v_pk_fma_f16 v92, v5, v15, v94
	v_pk_fma_f16 v15, v4, v15, v73
	v_lshrrev_b32_e32 v73, 16, v74
	v_mul_u32_u24_e32 v74, 0x10001, v110
	v_mul_u32_u24_e32 v14, 0x10001, v14
	v_and_b32_e32 v100, 0xffff, v77
	s_delay_alu instid0(VALU_DEP_3)
	v_pk_fma_f16 v93, v5, v74, v3
	v_pk_fma_f16 v94, v4, v74, v2
	s_clause 0x1
	global_load_b128 v[2:5], v[46:47], off
	global_load_b128 v[74:77], v[90:91], off
	s_wait_xcnt 0x1
	v_pk_fma_f16 v46, v11, v14, v92
	v_pk_fma_f16 v14, v10, v14, v15
	v_mul_u32_u24_e32 v15, 0x10001, v73
	v_mul_u32_u24_e32 v47, 0x10001, v95
	v_and_b32_e32 v73, 0xffff, v8
	s_wait_xcnt 0x0
	v_dual_lshrrev_b32 v90, 16, v8 :: v_dual_lshrrev_b32 v91, 16, v9
	v_pk_fma_f16 v11, v11, v15, v93
	v_pk_fma_f16 v10, v10, v15, v94
	v_and_b32_e32 v15, 0xffff, v6
	v_pk_fma_f16 v46, v13, v47, v46
	v_pk_fma_f16 v14, v12, v47, v14
	v_lshrrev_b32_e32 v47, 16, v6
	v_mul_u32_u24_e32 v6, 0x10001, v96
	v_and_b32_e32 v92, 0xffff, v9
	v_mul_u32_u24_e32 v93, 0x10001, v100
	v_mul_u32_u24_e32 v94, 0x10001, v99
	;; [unrolled: 1-line block ×3, first 2 shown]
	v_pk_fma_f16 v11, v13, v6, v11
	v_pk_fma_f16 v10, v12, v6, v10
	v_and_b32_e32 v12, 0xffff, v7
	v_lshrrev_b32_e32 v13, 16, v7
	global_load_b128 v[6:9], v[0:1], off
	s_wait_xcnt 0x0
	v_mul_u32_u24_e32 v0, 0x10001, v97
	v_mul_u32_u24_e32 v1, 0x10001, v98
	v_mul_u32_u24_e32 v47, 0x10001, v47
	v_mul_u32_u24_e32 v12, 0x10001, v12
	v_mul_u32_u24_e32 v13, 0x10001, v13
	v_pk_fma_f16 v46, v79, v0, v46
	v_pk_fma_f16 v11, v79, v1, v11
	v_pk_fma_f16 v0, v78, v0, v14
	v_pk_fma_f16 v1, v78, v1, v10
	v_mul_u32_u24_e32 v73, 0x10001, v73
	v_pk_fma_f16 v10, v81, v93, v46
	v_pk_fma_f16 v11, v81, v94, v11
	v_pk_fma_f16 v0, v80, v93, v0
	v_pk_fma_f16 v1, v80, v94, v1
	v_mul_u32_u24_e32 v90, 0x10001, v90
	;; [unrolled: 5-line block ×4, first 2 shown]
	v_pk_fma_f16 v10, v43, v73, v10
	v_pk_fma_f16 v11, v43, v90, v11
	;; [unrolled: 1-line block ×4, first 2 shown]
	s_wait_loadcnt 0x3
	ds_store_b128 v63, v[86:89]
	s_wait_loadcnt 0x2
	ds_store_b128 v66, v[2:5]
	;; [unrolled: 2-line block ×4, first 2 shown]
	v_pk_fma_f16 v46, v45, v92, v10
	v_pk_fma_f16 v47, v45, v91, v11
	;; [unrolled: 1-line block ×4, first 2 shown]
	s_wait_dscnt 0x0
	s_barrier_signal -1
	s_barrier_wait -1
	ds_load_b128 v[4:7], v65 offset:128
	ds_load_b128 v[8:11], v65 offset:144
	;; [unrolled: 1-line block ×3, first 2 shown]
	ds_load_2addr_b64 v[0:3], v50 offset1:32
	ds_load_b128 v[42:45], v65 offset:176
	s_wait_dscnt 0x4
	v_and_b32_e32 v74, 0xffff, v4
	v_dual_lshrrev_b32 v75, 16, v4 :: v_dual_lshrrev_b32 v77, 16, v5
	v_and_b32_e32 v76, 0xffff, v5
	s_wait_dscnt 0x3
	v_and_b32_e32 v83, 0xffff, v8
	v_dual_lshrrev_b32 v84, 16, v8 :: v_dual_lshrrev_b32 v86, 16, v9
	v_and_b32_e32 v85, 0xffff, v9
	v_and_b32_e32 v87, 0xffff, v10
	v_dual_lshrrev_b32 v88, 16, v10 :: v_dual_lshrrev_b32 v89, 16, v11
	v_and_b32_e32 v90, 0xffff, v11
	s_wait_dscnt 0x0
	v_and_b32_e32 v11, 0xffff, v42
	v_dual_lshrrev_b32 v10, 16, v42 :: v_dual_lshrrev_b32 v8, 16, v43
	v_and_b32_e32 v9, 0xffff, v43
	v_mul_u32_u24_e32 v42, 0x10001, v74
	v_mul_u32_u24_e32 v43, 0x10001, v75
	v_and_b32_e32 v79, 0xffff, v6
	v_dual_lshrrev_b32 v80, 16, v6 :: v_dual_lshrrev_b32 v81, 16, v7
	v_and_b32_e32 v82, 0xffff, v7
	v_and_b32_e32 v91, 0xffff, v12
	v_dual_lshrrev_b32 v92, 16, v12 :: v_dual_lshrrev_b32 v94, 16, v13
	v_and_b32_e32 v93, 0xffff, v13
	;; [unrolled: 3-line block ×4, first 2 shown]
	ds_load_b128 v[12:15], v65 offset:192
	v_mul_u32_u24_e32 v44, 0x10001, v76
	v_pk_fma_f16 v45, v0, v42, v73
	v_pk_fma_f16 v42, v1, v42, v46
	;; [unrolled: 1-line block ×4, first 2 shown]
	v_mul_u32_u24_e32 v73, 0x10001, v77
	v_pk_fma_f16 v46, v2, v44, v45
	v_pk_fma_f16 v47, v3, v44, v42
	ds_load_b128 v[42:45], v65 offset:208
	v_mul_u32_u24_e32 v75, 0x10001, v91
	v_pk_fma_f16 v74, v2, v73, v0
	v_pk_fma_f16 v73, v3, v73, v1
	ds_load_2addr_b64 v[0:3], v50 offset0:64 offset1:96
	v_mul_u32_u24_e32 v76, 0x10001, v92
	v_mul_u32_u24_e32 v77, 0x10001, v93
	;; [unrolled: 1-line block ×6, first 2 shown]
	s_wait_dscnt 0x2
	v_and_b32_e32 v78, 0xffff, v12
	v_dual_lshrrev_b32 v99, 16, v12 :: v_dual_lshrrev_b32 v101, 16, v13
	v_and_b32_e32 v102, 0xffff, v14
	v_dual_lshrrev_b32 v103, 16, v14 :: v_dual_lshrrev_b32 v104, 16, v15
	v_mul_u32_u24_e32 v12, 0x10001, v79
	v_mul_u32_u24_e32 v14, 0x10001, v80
	v_and_b32_e32 v100, 0xffff, v13
	v_and_b32_e32 v105, 0xffff, v15
	s_wait_dscnt 0x1
	v_and_b32_e32 v79, 0xffff, v42
	v_lshrrev_b32_e32 v80, 16, v42
	v_mul_u32_u24_e32 v42, 0x10001, v83
	s_wait_dscnt 0x0
	v_pk_fma_f16 v13, v0, v12, v46
	v_pk_fma_f16 v12, v1, v12, v47
	;; [unrolled: 1-line block ×4, first 2 shown]
	v_mul_u32_u24_e32 v14, 0x10001, v82
	v_lshrrev_b32_e32 v82, 16, v43
	v_mul_u32_u24_e32 v6, 0x10001, v6
	v_mul_u32_u24_e32 v5, 0x10001, v5
	v_mul_u32_u24_e32 v7, 0x10001, v7
	v_pk_fma_f16 v47, v3, v14, v12
	v_mul_u32_u24_e32 v12, 0x10001, v81
	v_pk_fma_f16 v46, v2, v14, v13
	v_and_b32_e32 v81, 0xffff, v43
	v_mul_u32_u24_e32 v4, 0x10001, v4
	s_delay_alu instid0(VALU_DEP_4)
	v_pk_fma_f16 v73, v2, v12, v0
	v_pk_fma_f16 v74, v3, v12, v1
	ds_load_2addr_b64 v[12:15], v50 offset0:128 offset1:160
	v_and_b32_e32 v2, 0xffff, v44
	v_dual_lshrrev_b32 v1, 16, v44 :: v_dual_lshrrev_b32 v0, 16, v45
	v_mul_u32_u24_e32 v44, 0x10001, v84
	v_and_b32_e32 v3, 0xffff, v45
	s_delay_alu instid0(VALU_DEP_4) | instskip(NEXT) | instid1(VALU_DEP_4)
	v_mul_u32_u24_e32 v2, 0x10001, v2
	v_mul_u32_u24_e32 v1, 0x10001, v1
	;; [unrolled: 1-line block ×3, first 2 shown]
	s_delay_alu instid0(VALU_DEP_4)
	v_mul_u32_u24_e32 v3, 0x10001, v3
	s_wait_dscnt 0x0
	v_pk_fma_f16 v43, v12, v42, v46
	v_pk_fma_f16 v42, v13, v42, v47
	;; [unrolled: 1-line block ×4, first 2 shown]
	v_mul_u32_u24_e32 v44, 0x10001, v85
	v_mul_u32_u24_e32 v46, 0x10001, v87
	;; [unrolled: 1-line block ×4, first 2 shown]
	s_delay_alu instid0(VALU_DEP_4) | instskip(SKIP_2) | instid1(VALU_DEP_1)
	v_pk_fma_f16 v43, v14, v44, v43
	v_pk_fma_f16 v42, v15, v44, v42
	v_mul_u32_u24_e32 v44, 0x10001, v86
	v_pk_fma_f16 v45, v14, v44, v12
	v_pk_fma_f16 v44, v15, v44, v13
	ds_load_2addr_b64 v[12:15], v50 offset0:192 offset1:224
	s_wait_dscnt 0x0
	v_pk_fma_f16 v43, v12, v46, v43
	v_pk_fma_f16 v42, v13, v46, v42
	;; [unrolled: 1-line block ×4, first 2 shown]
	s_delay_alu instid0(VALU_DEP_4) | instskip(NEXT) | instid1(VALU_DEP_4)
	v_pk_fma_f16 v46, v14, v73, v43
	v_pk_fma_f16 v47, v15, v73, v42
	ds_load_2addr_b64 v[42:45], v70 offset1:32
	v_mul_u32_u24_e32 v73, 0x10001, v89
	s_delay_alu instid0(VALU_DEP_1)
	v_pk_fma_f16 v74, v14, v73, v12
	v_pk_fma_f16 v73, v15, v73, v13
	ds_load_b128 v[12:15], v65 offset:224
	s_wait_dscnt 0x1
	v_pk_fma_f16 v46, v42, v75, v46
	v_pk_fma_f16 v47, v43, v75, v47
	;; [unrolled: 1-line block ×4, first 2 shown]
	v_mul_u32_u24_e32 v73, 0x10001, v94
	v_pk_fma_f16 v46, v44, v77, v46
	v_pk_fma_f16 v47, v45, v77, v47
	ds_load_b128 v[74:77], v65 offset:240
	s_wait_dscnt 0x1
	v_dual_lshrrev_b32 v83, 16, v12 :: v_dual_lshrrev_b32 v85, 16, v13
	v_pk_fma_f16 v42, v44, v73, v42
	v_pk_fma_f16 v43, v45, v73, v43
	v_and_b32_e32 v73, 0xffff, v12
	v_and_b32_e32 v84, 0xffff, v13
	;; [unrolled: 1-line block ×3, first 2 shown]
	v_dual_lshrrev_b32 v87, 16, v14 :: v_dual_lshrrev_b32 v88, 16, v15
	v_and_b32_e32 v89, 0xffff, v15
	ds_load_2addr_b64 v[12:15], v70 offset0:64 offset1:96
	v_mul_u32_u24_e32 v44, 0x10001, v95
	v_mul_u32_u24_e32 v73, 0x10001, v73
	;; [unrolled: 1-line block ×3, first 2 shown]
	s_wait_dscnt 0x1
	v_lshrrev_b32_e32 v90, 16, v75
	v_and_b32_e32 v91, 0xffff, v75
	v_dual_lshrrev_b32 v92, 16, v76 :: v_dual_lshrrev_b32 v94, 16, v77
	v_and_b32_e32 v93, 0xffff, v76
	v_mul_u32_u24_e32 v75, 0x10001, v103
	v_mul_u32_u24_e32 v76, 0x10001, v105
	v_and_b32_e32 v95, 0xffff, v77
	s_wait_dscnt 0x0
	v_pk_fma_f16 v45, v12, v44, v46
	v_mul_u32_u24_e32 v46, 0x10001, v96
	v_pk_fma_f16 v44, v13, v44, v47
	v_and_b32_e32 v47, 0xffff, v74
	s_delay_alu instid0(VALU_DEP_3) | instskip(SKIP_3) | instid1(VALU_DEP_3)
	v_pk_fma_f16 v12, v12, v46, v42
	v_mul_u32_u24_e32 v42, 0x10001, v98
	v_pk_fma_f16 v13, v13, v46, v43
	v_lshrrev_b32_e32 v46, 16, v74
	v_pk_fma_f16 v43, v14, v42, v45
	v_pk_fma_f16 v42, v15, v42, v44
	v_mul_u32_u24_e32 v44, 0x10001, v97
	s_delay_alu instid0(VALU_DEP_1)
	v_pk_fma_f16 v45, v14, v44, v12
	v_pk_fma_f16 v44, v15, v44, v13
	ds_load_2addr_b64 v[12:15], v70 offset0:128 offset1:160
	s_wait_dscnt 0x0
	v_pk_fma_f16 v43, v12, v11, v43
	v_pk_fma_f16 v11, v13, v11, v42
	;; [unrolled: 1-line block ×4, first 2 shown]
	v_mul_u32_u24_e32 v44, 0x10001, v100
	v_pk_fma_f16 v13, v14, v9, v43
	v_pk_fma_f16 v42, v15, v9, v11
	;; [unrolled: 1-line block ×4, first 2 shown]
	ds_load_2addr_b64 v[8:11], v70 offset0:192 offset1:224
	v_mul_u32_u24_e32 v43, 0x10001, v99
	s_wait_dscnt 0x0
	v_pk_fma_f16 v13, v8, v6, v13
	v_pk_fma_f16 v6, v9, v6, v42
	;; [unrolled: 1-line block ×4, first 2 shown]
	s_delay_alu instid0(VALU_DEP_4) | instskip(NEXT) | instid1(VALU_DEP_4)
	v_pk_fma_f16 v14, v10, v7, v13
	v_pk_fma_f16 v15, v11, v7, v6
	ds_load_2addr_b64 v[6:9], v71 offset1:32
	v_pk_fma_f16 v42, v10, v4, v12
	v_pk_fma_f16 v4, v11, v4, v5
	ds_load_2addr_b64 v[10:13], v71 offset0:64 offset1:96
	v_mul_u32_u24_e32 v5, 0x10001, v78
	v_mul_u32_u24_e32 v78, 0x10001, v79
	v_mul_u32_u24_e32 v79, 0x10001, v80
	v_mul_u32_u24_e32 v80, 0x10001, v81
	s_wait_dscnt 0x1
	v_pk_fma_f16 v14, v6, v5, v14
	v_pk_fma_f16 v5, v7, v5, v15
	;; [unrolled: 1-line block ×4, first 2 shown]
	v_mul_u32_u24_e32 v43, 0x10001, v101
	v_pk_fma_f16 v14, v8, v44, v14
	v_pk_fma_f16 v74, v9, v44, v5
	ds_load_2addr_b64 v[4:7], v71 offset0:128 offset1:160
	v_pk_fma_f16 v8, v8, v43, v15
	v_mul_u32_u24_e32 v15, 0x10001, v102
	v_pk_fma_f16 v9, v9, v43, v42
	ds_load_2addr_b64 v[42:45], v71 offset0:192 offset1:224
	s_wait_dscnt 0x2
	v_pk_fma_f16 v14, v10, v15, v14
	v_pk_fma_f16 v15, v11, v15, v74
	;; [unrolled: 1-line block ×4, first 2 shown]
	ds_load_2addr_b64 v[8:11], v72 offset1:32
	v_pk_fma_f16 v77, v12, v76, v14
	v_pk_fma_f16 v76, v13, v76, v15
	v_mul_u32_u24_e32 v14, 0x10001, v104
	s_delay_alu instid0(VALU_DEP_1)
	v_pk_fma_f16 v74, v12, v14, v74
	v_pk_fma_f16 v75, v13, v14, v75
	s_wait_dscnt 0x2
	v_pk_fma_f16 v77, v4, v78, v77
	v_pk_fma_f16 v76, v5, v78, v76
	ds_load_2addr_b64 v[12:15], v72 offset0:64 offset1:96
	v_pk_fma_f16 v4, v4, v79, v74
	v_pk_fma_f16 v5, v5, v79, v75
	;; [unrolled: 1-line block ×4, first 2 shown]
	v_mul_u32_u24_e32 v80, 0x10001, v82
	v_mul_u32_u24_e32 v82, 0x10001, v83
	ds_load_2addr_b64 v[74:77], v72 offset0:128 offset1:160
	s_wait_dscnt 0x3
	v_pk_fma_f16 v78, v42, v2, v78
	v_pk_fma_f16 v2, v43, v2, v79
	;; [unrolled: 1-line block ×4, first 2 shown]
	v_mul_u32_u24_e32 v83, 0x10001, v84
	v_mul_u32_u24_e32 v84, 0x10001, v85
	v_pk_fma_f16 v2, v45, v3, v2
	v_pk_fma_f16 v42, v42, v1, v81
	;; [unrolled: 1-line block ×3, first 2 shown]
	v_mul_u32_u24_e32 v43, 0x10001, v47
	v_pk_fma_f16 v47, v44, v3, v78
	s_wait_dscnt 0x2
	v_pk_fma_f16 v2, v9, v73, v2
	v_pk_fma_f16 v42, v44, v0, v42
	;; [unrolled: 1-line block ×3, first 2 shown]
	v_mul_u32_u24_e32 v85, 0x10001, v86
	v_pk_fma_f16 v3, v8, v73, v47
	v_mul_u32_u24_e32 v86, 0x10001, v87
	v_pk_fma_f16 v8, v8, v82, v42
	v_pk_fma_f16 v0, v9, v82, v0
	;; [unrolled: 1-line block ×4, first 2 shown]
	ds_load_2addr_b64 v[4:7], v72 offset0:192 offset1:224
	v_pk_fma_f16 v8, v10, v84, v8
	v_pk_fma_f16 v0, v11, v84, v0
	v_mul_u32_u24_e32 v87, 0x10001, v89
	s_wait_dscnt 0x2
	v_pk_fma_f16 v3, v12, v85, v3
	v_pk_fma_f16 v2, v13, v85, v2
	;; [unrolled: 1-line block ×4, first 2 shown]
	s_wait_dscnt 0x0
	s_barrier_signal -1
	s_barrier_wait -1
	s_load_b32 s2, s[26:27], 0x4
	v_mul_u32_u24_e32 v1, 0x10001, v46
	v_pk_fma_f16 v3, v14, v87, v3
	v_pk_fma_f16 v8, v14, v88, v8
	v_pk_fma_f16 v2, v15, v87, v2
	v_pk_fma_f16 v0, v15, v88, v0
	v_mul_u32_u24_e32 v9, 0x10001, v91
	v_mul_u32_u24_e32 v10, 0x10001, v90
	v_pk_fma_f16 v3, v74, v43, v3
	v_pk_fma_f16 v8, v74, v1, v8
	v_pk_fma_f16 v2, v75, v43, v2
	v_pk_fma_f16 v0, v75, v1, v0
	v_mul_u32_u24_e32 v11, 0x10001, v93
	;; [unrolled: 6-line block ×3, first 2 shown]
	v_mul_u32_u24_e32 v9, 0x10001, v94
	v_pk_fma_f16 v3, v4, v11, v3
	v_pk_fma_f16 v4, v4, v12, v8
	;; [unrolled: 1-line block ×4, first 2 shown]
	s_wait_kmcnt 0x0
	s_lshl_b32 s2, s2, 6
	v_pk_fma_f16 v75, v6, v1, v3
	v_pk_fma_f16 v73, v6, v9, v4
	;; [unrolled: 1-line block ×4, first 2 shown]
	s_add_co_i32 s10, s2, s10
	s_delay_alu instid0(SALU_CYCLE_1)
	s_cmp_ge_i32 s10, s30
	s_cbranch_scc0 .LBB13_9
; %bb.10:
	v_dual_mov_b32 v3, 32 :: v_dual_mov_b32 v5, v51
.LBB13_11:
	s_delay_alu instid0(VALU_DEP_1)
	v_cmp_lt_i32_e32 vcc_lo, v56, v3
	s_cmp_lg_u64 s[12:13], 0
	s_cselect_b32 s2, -1, 0
	s_cmp_eq_u32 s31, 0
	v_cndmask_b32_e32 v0, v5, v56, vcc_lo
	v_cmp_lt_i32_e32 vcc_lo, v55, v3
	s_cselect_b32 s3, -1, 0
	s_delay_alu instid0(SALU_CYCLE_1) | instskip(NEXT) | instid1(VALU_DEP_2)
	s_and_b32 s2, s3, s2
	v_dual_cndmask_b32 v2, v5, v55 :: v_dual_lshlrev_b32 v1, 2, v0
	v_cmp_lt_i32_e32 vcc_lo, v54, v3
	s_delay_alu instid0(VALU_DEP_2)
	v_lshlrev_b32_e32 v2, 2, v2
	ds_bpermute_b32 v0, v1, v20
	ds_bpermute_b32 v1, v1, v21
	s_wait_dscnt 0x0
	v_pk_add_f32 v[0:1], v[20:21], v[0:1]
	ds_bpermute_b32 v6, v2, v0
	ds_bpermute_b32 v7, v2, v1
	v_cndmask_b32_e32 v2, v5, v54, vcc_lo
	v_cmp_lt_i32_e32 vcc_lo, v53, v3
	s_delay_alu instid0(VALU_DEP_2)
	v_lshlrev_b32_e32 v2, 2, v2
	s_wait_dscnt 0x0
	v_pk_add_f32 v[0:1], v[0:1], v[6:7]
	ds_bpermute_b32 v6, v2, v0
	ds_bpermute_b32 v7, v2, v1
	v_cndmask_b32_e32 v2, v5, v53, vcc_lo
	v_cmp_lt_i32_e32 vcc_lo, v52, v3
	s_delay_alu instid0(VALU_DEP_2)
	v_lshlrev_b32_e32 v2, 2, v2
	s_wait_dscnt 0x0
	v_pk_add_f32 v[0:1], v[0:1], v[6:7]
	ds_bpermute_b32 v6, v2, v0
	ds_bpermute_b32 v7, v2, v1
	v_cndmask_b32_e32 v2, v5, v52, vcc_lo
	s_and_b32 vcc_lo, exec_lo, s2
	s_mov_b32 s2, 0
	s_delay_alu instid0(VALU_DEP_1)
	v_lshlrev_b32_e32 v2, 2, v2
	s_wait_dscnt 0x0
	v_pk_add_f32 v[0:1], v[0:1], v[6:7]
	ds_bpermute_b32 v4, v2, v0
	ds_bpermute_b32 v5, v2, v1
	v_add_nc_u32_e32 v2, s33, v16
	s_cbranch_vccnz .LBB13_14
; %bb.12:
	v_add_nc_u32_e32 v3, s33, v16
	s_wait_dscnt 0x0
	v_pk_add_f32 v[0:1], v[0:1], v[4:5]
	s_and_not1_b32 vcc_lo, exec_lo, s2
	s_cbranch_vccz .LBB13_15
; %bb.13:
	v_mov_b32_e32 v2, v3
	s_branch .LBB13_16
.LBB13_14:
                                        ; implicit-def: $vgpr3
	s_wait_dscnt 0x0
	v_pk_add_f32 v[0:1], v[0:1], v[4:5]
.LBB13_15:
	s_delay_alu instid0(VALU_DEP_2) | instskip(NEXT) | instid1(VALU_DEP_1)
	v_dual_ashrrev_i32 v3, 31, v2 :: v_dual_max_num_f32 v7, v41, v41
	v_lshl_add_u64 v[4:5], v[2:3], 2, s[12:13]
	v_max_num_f32_e32 v3, v40, v40
	global_load_b64 v[4:5], v[4:5], off
	s_wait_loadcnt 0x0
	v_dual_max_num_f32 v6, v4, v4 :: v_dual_max_num_f32 v8, v5, v5
	s_delay_alu instid0(VALU_DEP_1) | instskip(NEXT) | instid1(VALU_DEP_1)
	v_max_num_f32_e32 v6, v3, v6
	v_dual_max_num_f32 v7, v7, v8 :: v_dual_sub_f32 v3, v40, v6
	s_delay_alu instid0(VALU_DEP_1) | instskip(SKIP_2) | instid1(VALU_DEP_3)
	v_dual_sub_f32 v8, v4, v6 :: v_dual_sub_f32 v9, v41, v7
	v_sub_f32_e32 v10, v5, v7
	v_mov_b64_e32 v[40:41], v[6:7]
	v_dual_mul_f32 v4, 0x3fb8aa3b, v3 :: v_dual_mul_f32 v5, 0x3fb8aa3b, v8
	s_delay_alu instid0(VALU_DEP_4) | instskip(SKIP_1) | instid1(VALU_DEP_3)
	v_mul_f32_e32 v11, 0x3fb8aa3b, v9
	v_cmp_ngt_f32_e32 vcc_lo, 0xc2ce8ed0, v3
	v_fma_f32 v13, 0x3fb8aa3b, v3, -v4
	v_rndne_f32_e32 v14, v4
	s_delay_alu instid0(VALU_DEP_4) | instskip(SKIP_2) | instid1(VALU_DEP_4)
	v_fma_f32 v18, 0x3fb8aa3b, v9, -v11
	v_rndne_f32_e32 v19, v11
	v_mul_f32_e32 v12, 0x3fb8aa3b, v10
	v_dual_fmac_f32 v13, 0x32a5705f, v3 :: v_dual_sub_f32 v4, v4, v14
	v_fma_f32 v15, 0x3fb8aa3b, v8, -v5
	v_rndne_f32_e32 v16, v5
	v_dual_fmac_f32 v18, 0x32a5705f, v9 :: v_dual_sub_f32 v11, v11, v19
	s_delay_alu instid0(VALU_DEP_4) | instskip(SKIP_2) | instid1(VALU_DEP_4)
	v_add_f32_e32 v4, v4, v13
	v_rndne_f32_e32 v21, v12
	v_fmac_f32_e32 v15, 0x32a5705f, v8
	v_dual_sub_f32 v5, v5, v16 :: v_dual_add_f32 v11, v11, v18
	s_delay_alu instid0(VALU_DEP_4) | instskip(SKIP_4) | instid1(VALU_DEP_3)
	v_exp_f32_e32 v4, v4
	v_fma_f32 v20, 0x3fb8aa3b, v10, -v12
	v_cvt_i32_f32_e32 v14, v14
	v_sub_f32_e32 v12, v12, v21
	v_exp_f32_e32 v11, v11
	v_dual_add_f32 v5, v5, v15 :: v_dual_fmac_f32 v20, 0x32a5705f, v10
	v_cvt_i32_f32_e32 v15, v19
	v_ldexp_f32 v4, v4, v14
	v_cvt_i32_f32_e32 v13, v16
	s_delay_alu instid0(VALU_DEP_4) | instskip(SKIP_4) | instid1(VALU_DEP_3)
	v_exp_f32_e32 v5, v5
	v_cvt_i32_f32_e32 v16, v21
	v_ldexp_f32 v11, v11, v15
	v_cndmask_b32_e32 v4, 0, v4, vcc_lo
	v_cmp_ngt_f32_e32 vcc_lo, 0xc2ce8ed0, v9
	v_dual_add_f32 v12, v12, v20 :: v_dual_cndmask_b32 v11, 0, v11
	v_cmp_nlt_f32_e32 vcc_lo, 0x42b17218, v3
	s_delay_alu instid0(VALU_DEP_2) | instskip(SKIP_3) | instid1(TRANS32_DEP_1)
	v_exp_f32_e32 v12, v12
	v_ldexp_f32 v3, v5, v13
	v_cndmask_b32_e32 v4, 0x7f800000, v4, vcc_lo
	v_cmp_nlt_f32_e32 vcc_lo, 0x42b17218, v9
	v_ldexp_f32 v9, v12, v16
	v_cndmask_b32_e32 v5, 0x7f800000, v11, vcc_lo
	v_cmp_ngt_f32_e32 vcc_lo, 0xc2ce8ed0, v8
	v_cvt_f16_f32_e32 v11, v4
	s_delay_alu instid0(VALU_DEP_3) | instskip(SKIP_2) | instid1(VALU_DEP_4)
	v_cvt_f16_f32_e32 v12, v5
	v_cndmask_b32_e32 v3, 0, v3, vcc_lo
	v_cmp_ngt_f32_e32 vcc_lo, 0xc2ce8ed0, v10
	v_and_b32_e32 v11, 0xffff, v11
	v_cndmask_b32_e32 v9, 0, v9, vcc_lo
	v_cmp_nlt_f32_e32 vcc_lo, 0x42b17218, v8
	v_cndmask_b32_e32 v8, 0x7f800000, v3, vcc_lo
	v_and_b32_e32 v3, 0xffff, v12
	v_cmp_nlt_f32_e32 vcc_lo, 0x42b17218, v10
	v_mul_u32_u24_e32 v10, 0x10001, v11
	s_delay_alu instid0(VALU_DEP_3) | instskip(SKIP_1) | instid1(VALU_DEP_3)
	v_mul_u32_u24_e32 v3, 0x10001, v3
	v_cndmask_b32_e32 v9, 0x7f800000, v9, vcc_lo
	v_pk_mul_f16 v75, v75, v10
	v_pk_mul_f16 v76, v76, v10
	s_delay_alu instid0(VALU_DEP_4) | instskip(NEXT) | instid1(VALU_DEP_4)
	v_pk_mul_f16 v73, v73, v3
	v_pk_fma_f32 v[0:1], v[0:1], v[4:5], v[8:9]
	v_pk_mul_f16 v74, v74, v3
.LBB13_16:
	s_load_b32 s0, s[0:1], 0xd4
	v_mov_b32_e32 v4, 1.0
	s_wait_kmcnt 0x0
	s_cmp_lg_u32 s0, 1
	s_cselect_b32 s2, -1, 0
	s_cmp_eq_u32 s0, 1
	s_cselect_b32 s1, -1, 0
	s_and_b32 vcc_lo, exec_lo, s2
	s_cbranch_vccnz .LBB13_18
; %bb.17:
	v_div_scale_f32 v3, null, v0, v0, 1.0
	s_delay_alu instid0(VALU_DEP_1) | instskip(SKIP_1) | instid1(TRANS32_DEP_1)
	v_rcp_f32_e32 v4, v3
	v_nop
	v_fma_f32 v5, -v3, v4, 1.0
	s_delay_alu instid0(VALU_DEP_1) | instskip(SKIP_1) | instid1(VALU_DEP_1)
	v_fmac_f32_e32 v4, v5, v4
	v_div_scale_f32 v5, vcc_lo, 1.0, v0, 1.0
	v_mul_f32_e32 v6, v5, v4
	s_delay_alu instid0(VALU_DEP_1) | instskip(NEXT) | instid1(VALU_DEP_1)
	v_fma_f32 v7, -v3, v6, v5
	v_fmac_f32_e32 v6, v7, v4
	s_delay_alu instid0(VALU_DEP_1) | instskip(NEXT) | instid1(VALU_DEP_1)
	v_fma_f32 v3, -v3, v6, v5
	v_div_fmas_f32 v3, v3, v4, v6
	s_delay_alu instid0(VALU_DEP_1)
	v_div_fixup_f32 v4, v3, v0, 1.0
.LBB13_18:
	v_mad_u32 v3, s28, s22, v48
	v_lshrrev_b32_e32 v5, 16, v76
	v_cvt_f32_f16_e32 v6, v75
	v_cvt_f32_f16_e32 v10, v76
	v_cmp_eq_u32_e32 vcc_lo, 0, v17
	v_mov_b32_e32 v9, 0
	v_cvt_f32_f16_e32 v11, v5
	s_and_b32 s2, vcc_lo, s2
	v_mad_u32 v2, v3, s23, v2
	v_lshrrev_b32_e32 v3, 16, v75
	s_delay_alu instid0(VALU_DEP_1) | instskip(NEXT) | instid1(VALU_DEP_1)
	v_cvt_f32_f16_e32 v7, v3
	v_pk_mul_f32 v[6:7], v[4:5], v[6:7] op_sel_hi:[0,1]
	s_delay_alu instid0(VALU_DEP_4) | instskip(NEXT) | instid1(VALU_DEP_1)
	v_mad_u32 v2, s0, v2, s31
	v_lshl_add_u32 v8, v2, 7, v49
	s_delay_alu instid0(VALU_DEP_1)
	v_lshl_add_u64 v[12:13], v[8:9], 2, s[16:17]
	v_pk_mul_f32 v[8:9], v[4:5], v[10:11] op_sel_hi:[0,1]
	global_store_b128 v[12:13], v[6:9], off
	s_wait_xcnt 0x0
	s_and_saveexec_b32 s3, s2
	s_cbranch_execz .LBB13_20
; %bb.19:
	v_dual_mov_b32 v4, v40 :: v_dual_mov_b32 v5, v0
	global_store_b64 v2, v[4:5], s[18:19] scale_offset
.LBB13_20:
	s_wait_xcnt 0x0
	s_or_b32 exec_lo, exec_lo, s3
	v_mov_b32_e32 v0, 1.0
	s_and_not1_b32 vcc_lo, exec_lo, s1
	s_cbranch_vccnz .LBB13_22
; %bb.21:
	v_div_scale_f32 v0, null, v1, v1, 1.0
	s_delay_alu instid0(VALU_DEP_1) | instskip(SKIP_1) | instid1(TRANS32_DEP_1)
	v_rcp_f32_e32 v3, v0
	v_nop
	v_fma_f32 v4, -v0, v3, 1.0
	s_delay_alu instid0(VALU_DEP_1) | instskip(SKIP_1) | instid1(VALU_DEP_1)
	v_fmac_f32_e32 v3, v4, v3
	v_div_scale_f32 v4, vcc_lo, 1.0, v1, 1.0
	v_mul_f32_e32 v5, v4, v3
	s_delay_alu instid0(VALU_DEP_1) | instskip(NEXT) | instid1(VALU_DEP_1)
	v_fma_f32 v6, -v0, v5, v4
	v_fmac_f32_e32 v5, v6, v3
	s_delay_alu instid0(VALU_DEP_1) | instskip(NEXT) | instid1(VALU_DEP_1)
	v_fma_f32 v0, -v0, v5, v4
	v_div_fmas_f32 v0, v0, v3, v5
	s_delay_alu instid0(VALU_DEP_1)
	v_div_fixup_f32 v0, v0, v1, 1.0
.LBB13_22:
	v_dual_add_nc_u32 v2, s0, v2 :: v_dual_lshrrev_b32 v3, 16, v73
	v_dual_mov_b32 v5, 0 :: v_dual_lshrrev_b32 v9, 16, v74
	v_cvt_f32_f16_e32 v6, v73
	s_delay_alu instid0(VALU_DEP_3) | instskip(NEXT) | instid1(VALU_DEP_4)
	v_lshl_add_u32 v4, v2, 7, v49
	v_cvt_f32_f16_e32 v7, v3
	v_cvt_f32_f16_e32 v8, v74
	;; [unrolled: 1-line block ×3, first 2 shown]
	s_delay_alu instid0(VALU_DEP_4) | instskip(NEXT) | instid1(VALU_DEP_4)
	v_lshl_add_u64 v[10:11], v[4:5], 2, s[16:17]
	v_pk_mul_f32 v[4:5], v[0:1], v[6:7] op_sel_hi:[0,1]
	s_delay_alu instid0(VALU_DEP_3)
	v_pk_mul_f32 v[6:7], v[0:1], v[8:9] op_sel_hi:[0,1]
	global_store_b128 v[10:11], v[4:7], off
	s_wait_xcnt 0x0
	s_and_saveexec_b32 s0, s2
	s_cbranch_execz .LBB13_24
; %bb.23:
	v_mov_b32_e32 v0, v41
	global_store_b64 v2, v[0:1], s[18:19] scale_offset
.LBB13_24:
	s_sendmsg sendmsg(MSG_DEALLOC_VGPRS)
	s_endpgm
	.section	.rodata,"a",@progbits
	.p2align	6, 0x0
	.amdhsa_kernel _ZL15flash_attn_tileILi128ELi128ELi1ELi8ELb0EEvPKcS1_S1_S1_S1_PKiPfP15HIP_vector_typeIfLj2EEffffjfiS5_IjLj3EEiiiiiiiiiiiliiliiiiil
		.amdhsa_group_segment_fixed_size 12288
		.amdhsa_private_segment_fixed_size 0
		.amdhsa_kernarg_size 464
		.amdhsa_user_sgpr_count 2
		.amdhsa_user_sgpr_dispatch_ptr 0
		.amdhsa_user_sgpr_queue_ptr 0
		.amdhsa_user_sgpr_kernarg_segment_ptr 1
		.amdhsa_user_sgpr_dispatch_id 0
		.amdhsa_user_sgpr_kernarg_preload_length 0
		.amdhsa_user_sgpr_kernarg_preload_offset 0
		.amdhsa_user_sgpr_private_segment_size 0
		.amdhsa_wavefront_size32 1
		.amdhsa_uses_dynamic_stack 0
		.amdhsa_enable_private_segment 0
		.amdhsa_system_sgpr_workgroup_id_x 1
		.amdhsa_system_sgpr_workgroup_id_y 1
		.amdhsa_system_sgpr_workgroup_id_z 1
		.amdhsa_system_sgpr_workgroup_info 0
		.amdhsa_system_vgpr_workitem_id 1
		.amdhsa_next_free_vgpr 112
		.amdhsa_next_free_sgpr 42
		.amdhsa_named_barrier_count 0
		.amdhsa_reserve_vcc 1
		.amdhsa_float_round_mode_32 0
		.amdhsa_float_round_mode_16_64 0
		.amdhsa_float_denorm_mode_32 3
		.amdhsa_float_denorm_mode_16_64 3
		.amdhsa_fp16_overflow 0
		.amdhsa_memory_ordered 1
		.amdhsa_forward_progress 1
		.amdhsa_inst_pref_size 82
		.amdhsa_round_robin_scheduling 0
		.amdhsa_exception_fp_ieee_invalid_op 0
		.amdhsa_exception_fp_denorm_src 0
		.amdhsa_exception_fp_ieee_div_zero 0
		.amdhsa_exception_fp_ieee_overflow 0
		.amdhsa_exception_fp_ieee_underflow 0
		.amdhsa_exception_fp_ieee_inexact 0
		.amdhsa_exception_int_div_zero 0
	.end_amdhsa_kernel
	.section	.text._ZL15flash_attn_tileILi128ELi128ELi1ELi8ELb0EEvPKcS1_S1_S1_S1_PKiPfP15HIP_vector_typeIfLj2EEffffjfiS5_IjLj3EEiiiiiiiiiiiliiliiiiil,"axG",@progbits,_ZL15flash_attn_tileILi128ELi128ELi1ELi8ELb0EEvPKcS1_S1_S1_S1_PKiPfP15HIP_vector_typeIfLj2EEffffjfiS5_IjLj3EEiiiiiiiiiiiliiliiiiil,comdat
.Lfunc_end13:
	.size	_ZL15flash_attn_tileILi128ELi128ELi1ELi8ELb0EEvPKcS1_S1_S1_S1_PKiPfP15HIP_vector_typeIfLj2EEffffjfiS5_IjLj3EEiiiiiiiiiiiliiliiiiil, .Lfunc_end13-_ZL15flash_attn_tileILi128ELi128ELi1ELi8ELb0EEvPKcS1_S1_S1_S1_PKiPfP15HIP_vector_typeIfLj2EEffffjfiS5_IjLj3EEiiiiiiiiiiiliiliiiiil
                                        ; -- End function
	.set _ZL15flash_attn_tileILi128ELi128ELi1ELi8ELb0EEvPKcS1_S1_S1_S1_PKiPfP15HIP_vector_typeIfLj2EEffffjfiS5_IjLj3EEiiiiiiiiiiiliiliiiiil.num_vgpr, 112
	.set _ZL15flash_attn_tileILi128ELi128ELi1ELi8ELb0EEvPKcS1_S1_S1_S1_PKiPfP15HIP_vector_typeIfLj2EEffffjfiS5_IjLj3EEiiiiiiiiiiiliiliiiiil.num_agpr, 0
	.set _ZL15flash_attn_tileILi128ELi128ELi1ELi8ELb0EEvPKcS1_S1_S1_S1_PKiPfP15HIP_vector_typeIfLj2EEffffjfiS5_IjLj3EEiiiiiiiiiiiliiliiiiil.numbered_sgpr, 42
	.set _ZL15flash_attn_tileILi128ELi128ELi1ELi8ELb0EEvPKcS1_S1_S1_S1_PKiPfP15HIP_vector_typeIfLj2EEffffjfiS5_IjLj3EEiiiiiiiiiiiliiliiiiil.num_named_barrier, 0
	.set _ZL15flash_attn_tileILi128ELi128ELi1ELi8ELb0EEvPKcS1_S1_S1_S1_PKiPfP15HIP_vector_typeIfLj2EEffffjfiS5_IjLj3EEiiiiiiiiiiiliiliiiiil.private_seg_size, 0
	.set _ZL15flash_attn_tileILi128ELi128ELi1ELi8ELb0EEvPKcS1_S1_S1_S1_PKiPfP15HIP_vector_typeIfLj2EEffffjfiS5_IjLj3EEiiiiiiiiiiiliiliiiiil.uses_vcc, 1
	.set _ZL15flash_attn_tileILi128ELi128ELi1ELi8ELb0EEvPKcS1_S1_S1_S1_PKiPfP15HIP_vector_typeIfLj2EEffffjfiS5_IjLj3EEiiiiiiiiiiiliiliiiiil.uses_flat_scratch, 0
	.set _ZL15flash_attn_tileILi128ELi128ELi1ELi8ELb0EEvPKcS1_S1_S1_S1_PKiPfP15HIP_vector_typeIfLj2EEffffjfiS5_IjLj3EEiiiiiiiiiiiliiliiiiil.has_dyn_sized_stack, 0
	.set _ZL15flash_attn_tileILi128ELi128ELi1ELi8ELb0EEvPKcS1_S1_S1_S1_PKiPfP15HIP_vector_typeIfLj2EEffffjfiS5_IjLj3EEiiiiiiiiiiiliiliiiiil.has_recursion, 0
	.set _ZL15flash_attn_tileILi128ELi128ELi1ELi8ELb0EEvPKcS1_S1_S1_S1_PKiPfP15HIP_vector_typeIfLj2EEffffjfiS5_IjLj3EEiiiiiiiiiiiliiliiiiil.has_indirect_call, 0
	.section	.AMDGPU.csdata,"",@progbits
; Kernel info:
; codeLenInByte = 10412
; TotalNumSgprs: 44
; NumVgprs: 112
; ScratchSize: 0
; MemoryBound: 0
; FloatMode: 240
; IeeeMode: 1
; LDSByteSize: 12288 bytes/workgroup (compile time only)
; SGPRBlocks: 0
; VGPRBlocks: 6
; NumSGPRsForWavesPerEU: 44
; NumVGPRsForWavesPerEU: 112
; NamedBarCnt: 0
; Occupancy: 9
; WaveLimiterHint : 1
; COMPUTE_PGM_RSRC2:SCRATCH_EN: 0
; COMPUTE_PGM_RSRC2:USER_SGPR: 2
; COMPUTE_PGM_RSRC2:TRAP_HANDLER: 0
; COMPUTE_PGM_RSRC2:TGID_X_EN: 1
; COMPUTE_PGM_RSRC2:TGID_Y_EN: 1
; COMPUTE_PGM_RSRC2:TGID_Z_EN: 1
; COMPUTE_PGM_RSRC2:TIDIG_COMP_CNT: 1
	.section	.text._ZL25flash_attn_mask_to_KV_maxILi1EEvPK7__half2Piiii,"axG",@progbits,_ZL25flash_attn_mask_to_KV_maxILi1EEvPK7__half2Piiii,comdat
	.globl	_ZL25flash_attn_mask_to_KV_maxILi1EEvPK7__half2Piiii ; -- Begin function _ZL25flash_attn_mask_to_KV_maxILi1EEvPK7__half2Piiii
	.p2align	8
	.type	_ZL25flash_attn_mask_to_KV_maxILi1EEvPK7__half2Piiii,@function
_ZL25flash_attn_mask_to_KV_maxILi1EEvPK7__half2Piiii: ; @_ZL25flash_attn_mask_to_KV_maxILi1EEvPK7__half2Piiii
; %bb.0:
	s_load_b128 s[4:7], s[0:1], 0x0
	s_mov_b32 s2, exec_lo
	v_cmpx_gt_u32_e32 32, v0
; %bb.1:
	v_dual_mov_b32 v2, 1 :: v_dual_lshlrev_b32 v1, 2, v0
	ds_store_b32 v1, v2
; %bb.2:
	s_or_b32 exec_lo, exec_lo, s2
	s_clause 0x1
	s_load_b96 s[8:10], s[0:1], 0x10
	s_load_b32 s11, s[0:1], 0x20
	s_wait_xcnt 0x0
	s_bfe_u32 s1, ttmp6, 0x4000c
	s_bfe_u32 s2, ttmp6, 0x40010
	s_add_co_i32 s1, s1, 1
	s_add_co_i32 s2, s2, 1
	s_and_b32 s0, ttmp6, 15
	s_bfe_u32 s3, ttmp6, 0x40004
	s_mul_i32 s1, ttmp9, s1
	s_mul_i32 s2, ttmp7, s2
	s_getreg_b32 s12, hwreg(HW_REG_IB_STS2, 6, 4)
	s_add_co_i32 s0, s0, s1
	s_add_co_i32 s3, s3, s2
	s_cmp_eq_u32 s12, 0
	v_dual_lshrrev_b32 v1, 3, v0 :: v_dual_bitop2_b32 v2, 31, v0 bitop3:0x40
	s_cselect_b32 s1, ttmp7, s3
	s_cselect_b32 s12, ttmp9, s0
	s_wait_dscnt 0x0
	s_barrier_signal -1
	s_wait_kmcnt 0x0
	s_mul_i32 s0, s10, s1
	s_mul_i32 s2, s9, s12
	s_barrier_wait -1
	s_add_co_i32 s2, s0, s2
	v_cmp_eq_u32_e64 s0, 0, v2
	s_ashr_i32 s3, s2, 31
	v_lshlrev_b32_e32 v2, 2, v2
	s_lshl_b64 s[2:3], s[2:3], 2
	s_delay_alu instid0(SALU_CYCLE_1)
	s_add_nc_u64 s[2:3], s[4:5], s[2:3]
	s_lshl_b32 s5, s8, 8
	s_branch .LBB14_4
.LBB14_3:                               ;   in Loop: Header=BB14_4 Depth=1
	s_or_b32 exec_lo, exec_lo, s9
	s_wait_dscnt 0x0
	s_barrier_signal -1
	s_barrier_wait -1
	ds_load_b32 v3, v2
	s_wait_dscnt 0x0
	s_barrier_signal -1
	s_barrier_wait -1
	v_cmp_ne_u32_e32 vcc_lo, 0, v3
	s_cmp_lg_u32 vcc_lo, exec_lo
	s_cselect_b32 s8, -1, 0
	s_delay_alu instid0(SALU_CYCLE_1)
	s_and_b32 vcc_lo, exec_lo, s8
	s_cbranch_vccnz .LBB14_8
.LBB14_4:                               ; =>This Inner Loop Header: Depth=1
	s_mov_b32 s4, s5
	s_addk_co_i32 s5, 0xff00
	s_delay_alu instid0(SALU_CYCLE_1)
	s_cmp_lt_i32 s5, 0
	s_cbranch_scc1 .LBB14_7
; %bb.5:                                ;   in Loop: Header=BB14_4 Depth=1
	s_lshr_b32 s9, s5, 1
	s_mov_b32 s8, exec_lo
	v_add_nc_u32_e32 v3, s9, v0
	global_load_b32 v3, v3, s[2:3] scale_offset
	s_wait_loadcnt 0x0
	v_lshrrev_b32_e32 v4, 16, v3
	v_cmp_class_f16_e64 s9, v3, 0x204
	s_delay_alu instid0(VALU_DEP_2) | instskip(SKIP_1) | instid1(SALU_CYCLE_1)
	v_cmp_class_f16_e64 s10, v4, 0x204
	s_and_b32 s9, s9, s10
	v_cndmask_b32_e64 v3, 0, 1, s9
	s_delay_alu instid0(VALU_DEP_1)
	v_cmp_ne_u32_e32 vcc_lo, 0, v3
	s_and_saveexec_b32 s9, s0
	s_cbranch_execz .LBB14_3
; %bb.6:                                ;   in Loop: Header=BB14_4 Depth=1
	s_cmp_eq_u32 vcc_lo, s8
	s_cselect_b32 s8, -1, 0
	s_delay_alu instid0(SALU_CYCLE_1)
	v_cndmask_b32_e64 v3, 0, 1, s8
	ds_store_b32 v1, v3
	s_branch .LBB14_3
.LBB14_7:                               ;   in Loop: Header=BB14_4 Depth=1
	s_cbranch_execz .LBB14_4
.LBB14_8:
	s_mov_b32 s0, exec_lo
	v_cmpx_eq_u32_e32 0, v0
	s_cbranch_execz .LBB14_10
; %bb.9:
	s_mul_i32 s0, s11, s1
	v_mov_b32_e32 v1, s4
	s_add_co_i32 s0, s0, s12
	s_delay_alu instid0(SALU_CYCLE_1)
	v_mov_b32_e32 v0, s0
	global_store_b32 v0, v1, s[6:7] scale_offset
.LBB14_10:
	s_endpgm
	.section	.rodata,"a",@progbits
	.p2align	6, 0x0
	.amdhsa_kernel _ZL25flash_attn_mask_to_KV_maxILi1EEvPK7__half2Piiii
		.amdhsa_group_segment_fixed_size 128
		.amdhsa_private_segment_fixed_size 0
		.amdhsa_kernarg_size 288
		.amdhsa_user_sgpr_count 2
		.amdhsa_user_sgpr_dispatch_ptr 0
		.amdhsa_user_sgpr_queue_ptr 0
		.amdhsa_user_sgpr_kernarg_segment_ptr 1
		.amdhsa_user_sgpr_dispatch_id 0
		.amdhsa_user_sgpr_kernarg_preload_length 0
		.amdhsa_user_sgpr_kernarg_preload_offset 0
		.amdhsa_user_sgpr_private_segment_size 0
		.amdhsa_wavefront_size32 1
		.amdhsa_uses_dynamic_stack 0
		.amdhsa_enable_private_segment 0
		.amdhsa_system_sgpr_workgroup_id_x 1
		.amdhsa_system_sgpr_workgroup_id_y 1
		.amdhsa_system_sgpr_workgroup_id_z 0
		.amdhsa_system_sgpr_workgroup_info 0
		.amdhsa_system_vgpr_workitem_id 0
		.amdhsa_next_free_vgpr 5
		.amdhsa_next_free_sgpr 13
		.amdhsa_named_barrier_count 0
		.amdhsa_reserve_vcc 1
		.amdhsa_float_round_mode_32 0
		.amdhsa_float_round_mode_16_64 0
		.amdhsa_float_denorm_mode_32 3
		.amdhsa_float_denorm_mode_16_64 3
		.amdhsa_fp16_overflow 0
		.amdhsa_memory_ordered 1
		.amdhsa_forward_progress 1
		.amdhsa_inst_pref_size 4
		.amdhsa_round_robin_scheduling 0
		.amdhsa_exception_fp_ieee_invalid_op 0
		.amdhsa_exception_fp_denorm_src 0
		.amdhsa_exception_fp_ieee_div_zero 0
		.amdhsa_exception_fp_ieee_overflow 0
		.amdhsa_exception_fp_ieee_underflow 0
		.amdhsa_exception_fp_ieee_inexact 0
		.amdhsa_exception_int_div_zero 0
	.end_amdhsa_kernel
	.section	.text._ZL25flash_attn_mask_to_KV_maxILi1EEvPK7__half2Piiii,"axG",@progbits,_ZL25flash_attn_mask_to_KV_maxILi1EEvPK7__half2Piiii,comdat
.Lfunc_end14:
	.size	_ZL25flash_attn_mask_to_KV_maxILi1EEvPK7__half2Piiii, .Lfunc_end14-_ZL25flash_attn_mask_to_KV_maxILi1EEvPK7__half2Piiii
                                        ; -- End function
	.set _ZL25flash_attn_mask_to_KV_maxILi1EEvPK7__half2Piiii.num_vgpr, 5
	.set _ZL25flash_attn_mask_to_KV_maxILi1EEvPK7__half2Piiii.num_agpr, 0
	.set _ZL25flash_attn_mask_to_KV_maxILi1EEvPK7__half2Piiii.numbered_sgpr, 13
	.set _ZL25flash_attn_mask_to_KV_maxILi1EEvPK7__half2Piiii.num_named_barrier, 0
	.set _ZL25flash_attn_mask_to_KV_maxILi1EEvPK7__half2Piiii.private_seg_size, 0
	.set _ZL25flash_attn_mask_to_KV_maxILi1EEvPK7__half2Piiii.uses_vcc, 1
	.set _ZL25flash_attn_mask_to_KV_maxILi1EEvPK7__half2Piiii.uses_flat_scratch, 0
	.set _ZL25flash_attn_mask_to_KV_maxILi1EEvPK7__half2Piiii.has_dyn_sized_stack, 0
	.set _ZL25flash_attn_mask_to_KV_maxILi1EEvPK7__half2Piiii.has_recursion, 0
	.set _ZL25flash_attn_mask_to_KV_maxILi1EEvPK7__half2Piiii.has_indirect_call, 0
	.section	.AMDGPU.csdata,"",@progbits
; Kernel info:
; codeLenInByte = 456
; TotalNumSgprs: 15
; NumVgprs: 5
; ScratchSize: 0
; MemoryBound: 0
; FloatMode: 240
; IeeeMode: 1
; LDSByteSize: 128 bytes/workgroup (compile time only)
; SGPRBlocks: 0
; VGPRBlocks: 0
; NumSGPRsForWavesPerEU: 15
; NumVGPRsForWavesPerEU: 5
; NamedBarCnt: 0
; Occupancy: 16
; WaveLimiterHint : 0
; COMPUTE_PGM_RSRC2:SCRATCH_EN: 0
; COMPUTE_PGM_RSRC2:USER_SGPR: 2
; COMPUTE_PGM_RSRC2:TRAP_HANDLER: 0
; COMPUTE_PGM_RSRC2:TGID_X_EN: 1
; COMPUTE_PGM_RSRC2:TGID_Y_EN: 1
; COMPUTE_PGM_RSRC2:TGID_Z_EN: 0
; COMPUTE_PGM_RSRC2:TIDIG_COMP_CNT: 0
	.section	.text._ZL33flash_attn_stream_k_fixup_uniformILi128ELi1ELi8EEvPfPK15HIP_vector_typeIfLj2EEiiiiiiS1_IjLj3EES5_S5_,"axG",@progbits,_ZL33flash_attn_stream_k_fixup_uniformILi128ELi1ELi8EEvPfPK15HIP_vector_typeIfLj2EEiiiiiiS1_IjLj3EES5_S5_,comdat
	.globl	_ZL33flash_attn_stream_k_fixup_uniformILi128ELi1ELi8EEvPfPK15HIP_vector_typeIfLj2EEiiiiiiS1_IjLj3EES5_S5_ ; -- Begin function _ZL33flash_attn_stream_k_fixup_uniformILi128ELi1ELi8EEvPfPK15HIP_vector_typeIfLj2EEiiiiiiS1_IjLj3EES5_S5_
	.p2align	8
	.type	_ZL33flash_attn_stream_k_fixup_uniformILi128ELi1ELi8EEvPfPK15HIP_vector_typeIfLj2EEiiiiiiS1_IjLj3EES5_S5_,@function
_ZL33flash_attn_stream_k_fixup_uniformILi128ELi1ELi8EEvPfPK15HIP_vector_typeIfLj2EEiiiiiiS1_IjLj3EES5_S5_: ; @_ZL33flash_attn_stream_k_fixup_uniformILi128ELi1ELi8EEvPfPK15HIP_vector_typeIfLj2EEiiiiiiS1_IjLj3EES5_S5_
; %bb.0:
	s_load_b256 s[4:11], s[0:1], 0x1c
	s_bfe_u32 s2, ttmp6, 0x40014
	s_lshr_b32 s3, ttmp7, 16
	s_add_co_i32 s2, s2, 1
	s_bfe_u32 s13, ttmp6, 0x40010
	s_mul_i32 s2, s3, s2
	s_bfe_u32 s12, ttmp6, 0x40008
	s_and_b32 s15, ttmp7, 0xffff
	s_add_co_i32 s13, s13, 1
	s_bfe_u32 s14, ttmp6, 0x4000c
	s_add_co_i32 s12, s12, s2
	s_mul_i32 s2, s15, s13
	s_bfe_u32 s13, ttmp6, 0x40004
	s_add_co_i32 s14, s14, 1
	s_add_co_i32 s13, s13, s2
	s_and_b32 s2, ttmp6, 15
	s_mul_i32 s14, ttmp9, s14
	s_getreg_b32 s20, hwreg(HW_REG_IB_STS2, 6, 4)
	s_add_co_i32 s2, s2, s14
	s_load_b128 s[16:19], s[0:1], 0x3c
	s_cmp_eq_u32 s20, 0
	s_cselect_b32 s14, ttmp9, s2
	s_cselect_b32 s13, s15, s13
	s_wait_kmcnt 0x0
	s_mul_hi_u32 s2, s7, s14
	s_cselect_b32 s12, s3, s12
	s_add_co_i32 s2, s14, s2
	s_delay_alu instid0(SALU_CYCLE_1) | instskip(NEXT) | instid1(SALU_CYCLE_1)
	s_lshr_b32 s7, s2, s8
	s_mul_i32 s2, s7, s9
	s_delay_alu instid0(SALU_CYCLE_1) | instskip(SKIP_2) | instid1(SALU_CYCLE_1)
	s_sub_co_i32 s8, s14, s2
	s_load_b64 s[2:3], s[0:1], 0x10
	s_mul_hi_u32 s9, s8, s10
	s_add_co_i32 s9, s8, s9
	s_delay_alu instid0(SALU_CYCLE_1) | instskip(NEXT) | instid1(SALU_CYCLE_1)
	s_lshr_b32 s15, s9, s11
	s_mul_i32 s9, s15, s16
	s_delay_alu instid0(SALU_CYCLE_1) | instskip(NEXT) | instid1(SALU_CYCLE_1)
	s_sub_co_i32 s8, s8, s9
	s_mul_hi_u32 s9, s8, s17
	s_delay_alu instid0(SALU_CYCLE_1) | instskip(NEXT) | instid1(SALU_CYCLE_1)
	s_add_co_i32 s9, s8, s9
	s_lshr_b32 s9, s9, s18
	s_delay_alu instid0(SALU_CYCLE_1) | instskip(SKIP_2) | instid1(SALU_CYCLE_1)
	s_mul_i32 s10, s9, s19
	s_lshl_b32 s17, s9, 3
	s_sub_co_i32 s16, s8, s10
	s_add_co_i32 s16, s16, s13
	s_wait_kmcnt 0x0
	s_cmp_lt_i32 s16, s2
	s_cselect_b32 s8, -1, 0
	s_add_co_i32 s17, s17, s12
	s_delay_alu instid0(SALU_CYCLE_1) | instskip(SKIP_1) | instid1(SALU_CYCLE_1)
	s_cmp_lt_i32 s17, s5
	s_cselect_b32 s9, -1, 0
	s_and_b32 s8, s8, s9
	s_delay_alu instid0(SALU_CYCLE_1)
	s_and_not1_b32 vcc_lo, exec_lo, s8
	s_cbranch_vccnz .LBB15_6
; %bb.1:
	s_load_b128 s[8:11], s[0:1], 0x0
	s_mul_i32 s7, s7, s2
	s_mul_i32 s15, s15, s5
	s_wait_xcnt 0x0
	s_add_co_i32 s0, s16, s7
	s_add_co_i32 s1, s17, s15
	s_mul_i32 s0, s0, s3
	s_mul_i32 s7, s6, s14
	s_add_co_i32 s1, s1, s0
	s_add_co_i32 s5, s7, s6
	v_lshl_or_b32 v4, s1, 7, v0
	s_add_co_i32 s0, s13, s5
	s_add_co_i32 s2, s5, -2
	s_lshl_b32 s0, s0, 3
	s_delay_alu instid0(SALU_CYCLE_1) | instskip(SKIP_2) | instid1(SALU_CYCLE_1)
	s_add_co_i32 s0, s0, s12
	v_ashrrev_i32_e32 v5, 31, v4
	s_add_co_i32 s0, s0, -8
	s_ashr_i32 s1, s0, 31
	s_delay_alu instid0(SALU_CYCLE_1)
	s_lshl_b64 s[0:1], s[0:1], 3
	s_wait_kmcnt 0x0
	global_load_b32 v3, v4, s[8:9] scale_offset
	s_add_nc_u64 s[0:1], s[10:11], s[0:1]
	s_cmp_lt_i32 s2, s7
	s_load_b32 s15, s[0:1], 0x4
	s_cbranch_scc1 .LBB15_4
; %bb.2:
	s_wait_xcnt 0x0
	s_load_b32 s0, s[0:1], 0x0
	s_add_co_i32 s14, s14, 1
	s_wait_xcnt 0x0
	s_lshl_b32 s1, s12, 7
	s_mul_i32 s3, s6, s14
	s_lshl_b32 s6, s13, 10
	s_lshl_b32 s14, s3, 10
	s_add_co_i32 s1, s1, s6
	s_lshl_b32 s2, s4, 5
	s_add_co_i32 s1, s1, s14
	s_add_co_i32 s4, s13, s4
	s_wait_kmcnt 0x0
	v_dual_mov_b32 v2, s15 :: v_dual_bitop2_b32 v0, s1, v0 bitop3:0x54
	s_add_co_i32 s4, s4, s5
	s_ashr_i32 s3, s2, 31
	s_lshl_b32 s1, s4, 3
	s_delay_alu instid0(VALU_DEP_1)
	v_add_nc_u32_e32 v0, 0xfffff800, v0
	s_lshl_b64 s[2:3], s[2:3], 2
	s_add_co_i32 s4, s12, s1
	s_add_nc_u64 s[2:3], s[10:11], s[2:3]
	s_add_co_i32 s1, s5, -1
	s_add_co_i32 s4, s4, -16
.LBB15_3:                               ; =>This Inner Loop Header: Depth=1
	global_load_b32 v7, v0, s[2:3] scale_offset
	s_ashr_i32 s5, s4, 31
	v_max_num_f32_e64 v1, s0, s0
	s_lshl_b64 s[12:13], s[4:5], 3
	s_delay_alu instid0(SALU_CYCLE_1) | instskip(SKIP_1) | instid1(VALU_DEP_1)
	s_add_nc_u64 s[12:13], s[10:11], s[12:13]
	s_load_b64 s[12:13], s[12:13], 0x0
	v_readfirstlane_b32 s5, v1
	v_add_nc_u32_e32 v0, 0xfffffc00, v0
	s_wait_kmcnt 0x0
	v_max_num_f32_e64 v1, s12, s12
	s_delay_alu instid0(VALU_DEP_1) | instskip(SKIP_1) | instid1(SALU_CYCLE_3)
	v_readfirstlane_b32 s6, v1
	s_max_num_f32 s5, s5, s6
	s_sub_f32 s0, s0, s5
	s_sub_f32 s6, s12, s5
	s_delay_alu instid0(SALU_CYCLE_2) | instskip(NEXT) | instid1(SALU_CYCLE_2)
	s_mul_f32 s12, s0, 0x3fb8aa3b
	s_mul_f32 s14, s6, 0x3fb8aa3b
	s_delay_alu instid0(SALU_CYCLE_2)
	s_xor_b32 s15, s12, 0x80000000
	s_rndne_f32 s16, s12
	s_fmamk_f32 s15, s0, 0x3fb8aa3b, s15
	s_cmp_nlt_f32 s0, 0xc2ce8ed0
	s_rndne_f32 s17, s14
	s_sub_f32 s12, s12, s16
	s_fmamk_f32 s15, s0, 0x32a5705f, s15
	s_cselect_b32 vcc_lo, -1, 0
	s_cmp_ngt_f32 s0, 0x42b17218
	s_delay_alu instid0(SALU_CYCLE_1) | instskip(SKIP_2) | instid1(SALU_CYCLE_1)
	s_add_f32 s12, s12, s15
	s_cvt_i32_f32 s15, s16
	s_sub_f32 s16, s14, s17
	v_s_exp_f32 s12, s12
	v_nop
	s_delay_alu instid0(TRANS32_DEP_1) | instskip(SKIP_1) | instid1(VALU_DEP_1)
	v_ldexp_f32 v1, s12, s15
	s_cvt_i32_f32 s12, s17
	v_cndmask_b32_e32 v1, 0, v1, vcc_lo
	s_cselect_b32 vcc_lo, -1, 0
	s_cmp_ge_f32 s0, 0xc1a00000
	s_delay_alu instid0(VALU_DEP_1)
	v_cndmask_b32_e32 v1, 0x7f800000, v1, vcc_lo
	s_cselect_b32 vcc_lo, -1, 0
	s_xor_b32 s0, s14, 0x80000000
	s_cmp_nlt_f32 s6, 0xc2ce8ed0
	s_fmamk_f32 s0, s6, 0x3fb8aa3b, s0
	v_cndmask_b32_e32 v10, 0, v1, vcc_lo
	s_delay_alu instid0(SALU_CYCLE_2) | instskip(NEXT) | instid1(SALU_CYCLE_3)
	s_fmamk_f32 s0, s6, 0x32a5705f, s0
	s_add_f32 s0, s16, s0
	s_delay_alu instid0(SALU_CYCLE_3) | instskip(SKIP_1) | instid1(TRANS32_DEP_1)
	v_s_exp_f32 s0, s0
	v_nop
	v_ldexp_f32 v6, s0, s12
	s_cselect_b32 s0, -1, 0
	s_cmp_ngt_f32 s6, 0x42b17218
	s_delay_alu instid0(VALU_DEP_1) | instskip(SKIP_2) | instid1(VALU_DEP_1)
	v_cndmask_b32_e64 v6, 0, v6, s0
	s_cselect_b32 s0, -1, 0
	s_cmp_ge_f32 s6, 0xc1a00000
	v_cndmask_b32_e64 v8, 0x7f800000, v6, s0
	s_cselect_b32 s0, -1, 0
	v_mov_b32_e32 v6, s13
	s_add_co_i32 s1, s1, -1
	s_add_co_i32 s4, s4, -8
	v_cndmask_b32_e64 v8, 0, v8, s0
	s_cmp_le_i32 s1, s7
	s_mov_b32 s0, s5
	s_wait_loadcnt 0x0
	s_delay_alu instid0(VALU_DEP_1) | instskip(NEXT) | instid1(VALU_DEP_1)
	v_pk_mul_f32 v[6:7], v[6:7], v[8:9] op_sel_hi:[1,0]
	v_pk_fma_f32 v[2:3], v[2:3], v[10:11], v[6:7] op_sel_hi:[1,0,1]
	s_cbranch_scc0 .LBB15_3
	s_branch .LBB15_5
.LBB15_4:
	s_wait_kmcnt 0x0
	v_mov_b32_e32 v2, s15
.LBB15_5:
	v_lshl_add_u64 v[0:1], v[4:5], 2, s[8:9]
	s_wait_loadcnt 0x0
	s_delay_alu instid0(VALU_DEP_2) | instskip(NEXT) | instid1(VALU_DEP_1)
	v_div_scale_f32 v4, null, v2, v2, v3
	v_rcp_f32_e32 v5, v4
	v_nop
	s_delay_alu instid0(TRANS32_DEP_1) | instskip(NEXT) | instid1(VALU_DEP_1)
	v_fma_f32 v6, -v4, v5, 1.0
	v_fmac_f32_e32 v5, v6, v5
	v_div_scale_f32 v6, vcc_lo, v3, v2, v3
	s_delay_alu instid0(VALU_DEP_1) | instskip(NEXT) | instid1(VALU_DEP_1)
	v_mul_f32_e32 v7, v6, v5
	v_fma_f32 v8, -v4, v7, v6
	s_delay_alu instid0(VALU_DEP_1) | instskip(NEXT) | instid1(VALU_DEP_1)
	v_fmac_f32_e32 v7, v8, v5
	v_fma_f32 v4, -v4, v7, v6
	s_delay_alu instid0(VALU_DEP_1) | instskip(NEXT) | instid1(VALU_DEP_1)
	v_div_fmas_f32 v4, v4, v5, v7
	v_div_fixup_f32 v2, v4, v2, v3
	global_store_b32 v[0:1], v2, off
.LBB15_6:
	s_endpgm
	.section	.rodata,"a",@progbits
	.p2align	6, 0x0
	.amdhsa_kernel _ZL33flash_attn_stream_k_fixup_uniformILi128ELi1ELi8EEvPfPK15HIP_vector_typeIfLj2EEiiiiiiS1_IjLj3EES5_S5_
		.amdhsa_group_segment_fixed_size 0
		.amdhsa_private_segment_fixed_size 0
		.amdhsa_kernarg_size 76
		.amdhsa_user_sgpr_count 2
		.amdhsa_user_sgpr_dispatch_ptr 0
		.amdhsa_user_sgpr_queue_ptr 0
		.amdhsa_user_sgpr_kernarg_segment_ptr 1
		.amdhsa_user_sgpr_dispatch_id 0
		.amdhsa_user_sgpr_kernarg_preload_length 0
		.amdhsa_user_sgpr_kernarg_preload_offset 0
		.amdhsa_user_sgpr_private_segment_size 0
		.amdhsa_wavefront_size32 1
		.amdhsa_uses_dynamic_stack 0
		.amdhsa_enable_private_segment 0
		.amdhsa_system_sgpr_workgroup_id_x 1
		.amdhsa_system_sgpr_workgroup_id_y 1
		.amdhsa_system_sgpr_workgroup_id_z 1
		.amdhsa_system_sgpr_workgroup_info 0
		.amdhsa_system_vgpr_workitem_id 0
		.amdhsa_next_free_vgpr 12
		.amdhsa_next_free_sgpr 21
		.amdhsa_named_barrier_count 0
		.amdhsa_reserve_vcc 1
		.amdhsa_float_round_mode_32 0
		.amdhsa_float_round_mode_16_64 0
		.amdhsa_float_denorm_mode_32 3
		.amdhsa_float_denorm_mode_16_64 3
		.amdhsa_fp16_overflow 0
		.amdhsa_memory_ordered 1
		.amdhsa_forward_progress 1
		.amdhsa_inst_pref_size 9
		.amdhsa_round_robin_scheduling 0
		.amdhsa_exception_fp_ieee_invalid_op 0
		.amdhsa_exception_fp_denorm_src 0
		.amdhsa_exception_fp_ieee_div_zero 0
		.amdhsa_exception_fp_ieee_overflow 0
		.amdhsa_exception_fp_ieee_underflow 0
		.amdhsa_exception_fp_ieee_inexact 0
		.amdhsa_exception_int_div_zero 0
	.end_amdhsa_kernel
	.section	.text._ZL33flash_attn_stream_k_fixup_uniformILi128ELi1ELi8EEvPfPK15HIP_vector_typeIfLj2EEiiiiiiS1_IjLj3EES5_S5_,"axG",@progbits,_ZL33flash_attn_stream_k_fixup_uniformILi128ELi1ELi8EEvPfPK15HIP_vector_typeIfLj2EEiiiiiiS1_IjLj3EES5_S5_,comdat
.Lfunc_end15:
	.size	_ZL33flash_attn_stream_k_fixup_uniformILi128ELi1ELi8EEvPfPK15HIP_vector_typeIfLj2EEiiiiiiS1_IjLj3EES5_S5_, .Lfunc_end15-_ZL33flash_attn_stream_k_fixup_uniformILi128ELi1ELi8EEvPfPK15HIP_vector_typeIfLj2EEiiiiiiS1_IjLj3EES5_S5_
                                        ; -- End function
	.set _ZL33flash_attn_stream_k_fixup_uniformILi128ELi1ELi8EEvPfPK15HIP_vector_typeIfLj2EEiiiiiiS1_IjLj3EES5_S5_.num_vgpr, 12
	.set _ZL33flash_attn_stream_k_fixup_uniformILi128ELi1ELi8EEvPfPK15HIP_vector_typeIfLj2EEiiiiiiS1_IjLj3EES5_S5_.num_agpr, 0
	.set _ZL33flash_attn_stream_k_fixup_uniformILi128ELi1ELi8EEvPfPK15HIP_vector_typeIfLj2EEiiiiiiS1_IjLj3EES5_S5_.numbered_sgpr, 21
	.set _ZL33flash_attn_stream_k_fixup_uniformILi128ELi1ELi8EEvPfPK15HIP_vector_typeIfLj2EEiiiiiiS1_IjLj3EES5_S5_.num_named_barrier, 0
	.set _ZL33flash_attn_stream_k_fixup_uniformILi128ELi1ELi8EEvPfPK15HIP_vector_typeIfLj2EEiiiiiiS1_IjLj3EES5_S5_.private_seg_size, 0
	.set _ZL33flash_attn_stream_k_fixup_uniformILi128ELi1ELi8EEvPfPK15HIP_vector_typeIfLj2EEiiiiiiS1_IjLj3EES5_S5_.uses_vcc, 1
	.set _ZL33flash_attn_stream_k_fixup_uniformILi128ELi1ELi8EEvPfPK15HIP_vector_typeIfLj2EEiiiiiiS1_IjLj3EES5_S5_.uses_flat_scratch, 0
	.set _ZL33flash_attn_stream_k_fixup_uniformILi128ELi1ELi8EEvPfPK15HIP_vector_typeIfLj2EEiiiiiiS1_IjLj3EES5_S5_.has_dyn_sized_stack, 0
	.set _ZL33flash_attn_stream_k_fixup_uniformILi128ELi1ELi8EEvPfPK15HIP_vector_typeIfLj2EEiiiiiiS1_IjLj3EES5_S5_.has_recursion, 0
	.set _ZL33flash_attn_stream_k_fixup_uniformILi128ELi1ELi8EEvPfPK15HIP_vector_typeIfLj2EEiiiiiiS1_IjLj3EES5_S5_.has_indirect_call, 0
	.section	.AMDGPU.csdata,"",@progbits
; Kernel info:
; codeLenInByte = 1072
; TotalNumSgprs: 23
; NumVgprs: 12
; ScratchSize: 0
; MemoryBound: 0
; FloatMode: 240
; IeeeMode: 1
; LDSByteSize: 0 bytes/workgroup (compile time only)
; SGPRBlocks: 0
; VGPRBlocks: 0
; NumSGPRsForWavesPerEU: 23
; NumVGPRsForWavesPerEU: 12
; NamedBarCnt: 0
; Occupancy: 16
; WaveLimiterHint : 0
; COMPUTE_PGM_RSRC2:SCRATCH_EN: 0
; COMPUTE_PGM_RSRC2:USER_SGPR: 2
; COMPUTE_PGM_RSRC2:TRAP_HANDLER: 0
; COMPUTE_PGM_RSRC2:TGID_X_EN: 1
; COMPUTE_PGM_RSRC2:TGID_Y_EN: 1
; COMPUTE_PGM_RSRC2:TGID_Z_EN: 1
; COMPUTE_PGM_RSRC2:TIDIG_COMP_CNT: 0
	.section	.text._ZL33flash_attn_stream_k_fixup_generalILi128ELi1ELi8EEvPfPK15HIP_vector_typeIfLj2EEiiiiS1_IjLj3EES5_S5_S5_,"axG",@progbits,_ZL33flash_attn_stream_k_fixup_generalILi128ELi1ELi8EEvPfPK15HIP_vector_typeIfLj2EEiiiiS1_IjLj3EES5_S5_S5_,comdat
	.globl	_ZL33flash_attn_stream_k_fixup_generalILi128ELi1ELi8EEvPfPK15HIP_vector_typeIfLj2EEiiiiS1_IjLj3EES5_S5_S5_ ; -- Begin function _ZL33flash_attn_stream_k_fixup_generalILi128ELi1ELi8EEvPfPK15HIP_vector_typeIfLj2EEiiiiS1_IjLj3EES5_S5_S5_
	.p2align	8
	.type	_ZL33flash_attn_stream_k_fixup_generalILi128ELi1ELi8EEvPfPK15HIP_vector_typeIfLj2EEiiiiS1_IjLj3EES5_S5_S5_,@function
_ZL33flash_attn_stream_k_fixup_generalILi128ELi1ELi8EEvPfPK15HIP_vector_typeIfLj2EEiiiiS1_IjLj3EES5_S5_S5_: ; @_ZL33flash_attn_stream_k_fixup_generalILi128ELi1ELi8EEvPfPK15HIP_vector_typeIfLj2EEiiiiS1_IjLj3EES5_S5_S5_
; %bb.0:
	s_clause 0x1
	s_load_b128 s[4:7], s[0:1], 0x10
	s_load_b32 s16, s[0:1], 0x50
	s_bfe_u32 s2, ttmp6, 0x4000c
	s_and_b32 s3, ttmp6, 15
	s_add_co_i32 s2, s2, 1
	s_getreg_b32 s15, hwreg(HW_REG_IB_STS2, 6, 4)
	s_mul_i32 s2, ttmp9, s2
	s_mov_b32 s17, 0
	s_add_co_i32 s3, s3, s2
	s_cmp_eq_u32 s15, 0
	s_cselect_b32 s2, ttmp9, s3
	s_delay_alu instid0(SALU_CYCLE_1) | instskip(SKIP_3) | instid1(SALU_CYCLE_1)
	s_ashr_i32 s3, s2, 31
	s_wait_kmcnt 0x0
	s_ashr_i32 s19, s7, 31
	s_mov_b32 s18, s7
	s_mul_u64 s[8:9], s[18:19], s[2:3]
	s_delay_alu instid0(SALU_CYCLE_1) | instskip(NEXT) | instid1(SALU_CYCLE_1)
	s_and_b64 s[10:11], s[8:9], 0xffffffff00000000
	s_cmp_lg_u64 s[10:11], 0
	s_cbranch_scc0 .LBB16_21
; %bb.1:
	s_add_nc_u64 s[10:11], s[16:17], 0
	s_mov_b32 s23, s17
	s_xor_b64 s[10:11], s[10:11], 0
	s_mov_b32 s27, s17
	s_cvt_f32_u32 s3, s10
	s_cvt_f32_u32 s7, s11
	s_sub_nc_u64 s[20:21], 0, s[10:11]
	s_delay_alu instid0(SALU_CYCLE_2) | instskip(NEXT) | instid1(SALU_CYCLE_3)
	s_fmamk_f32 s3, s7, 0x4f800000, s3
	v_s_rcp_f32 s3, s3
	s_delay_alu instid0(TRANS32_DEP_1) | instskip(NEXT) | instid1(SALU_CYCLE_3)
	s_mul_f32 s3, s3, 0x5f7ffffc
	s_mul_f32 s7, s3, 0x2f800000
	s_delay_alu instid0(SALU_CYCLE_3) | instskip(NEXT) | instid1(SALU_CYCLE_3)
	s_trunc_f32 s7, s7
	s_fmamk_f32 s3, s7, 0xcf800000, s3
	s_cvt_u32_f32 s13, s7
	s_delay_alu instid0(SALU_CYCLE_2) | instskip(NEXT) | instid1(SALU_CYCLE_3)
	s_cvt_u32_f32 s12, s3
	s_mul_u64 s[24:25], s[20:21], s[12:13]
	s_delay_alu instid0(SALU_CYCLE_1)
	s_mul_hi_u32 s29, s12, s25
	s_mul_i32 s28, s12, s25
	s_mul_hi_u32 s22, s12, s24
	s_mul_i32 s7, s13, s24
	s_add_nc_u64 s[22:23], s[22:23], s[28:29]
	s_mul_hi_u32 s3, s13, s24
	s_mul_hi_u32 s14, s13, s25
	s_add_co_u32 s7, s22, s7
	s_add_co_ci_u32 s26, s23, s3
	s_mul_i32 s24, s13, s25
	s_add_co_ci_u32 s25, s14, 0
	s_delay_alu instid0(SALU_CYCLE_1) | instskip(SKIP_3) | instid1(SALU_CYCLE_1)
	s_add_nc_u64 s[22:23], s[26:27], s[24:25]
	s_mov_b32 s25, s17
	s_add_co_u32 s12, s12, s22
	s_cselect_b32 s3, -1, 0
	s_cmp_lg_u32 s3, 0
	s_add_co_ci_u32 s13, s13, s23
	s_mov_b32 s23, s17
	s_mul_u64 s[20:21], s[20:21], s[12:13]
	s_delay_alu instid0(SALU_CYCLE_1)
	s_mul_hi_u32 s27, s12, s21
	s_mul_i32 s26, s12, s21
	s_mul_hi_u32 s22, s12, s20
	s_mul_i32 s7, s13, s20
	s_add_nc_u64 s[22:23], s[22:23], s[26:27]
	s_mul_hi_u32 s3, s13, s20
	s_mul_hi_u32 s14, s13, s21
	s_add_co_u32 s7, s22, s7
	s_add_co_ci_u32 s24, s23, s3
	s_mul_i32 s20, s13, s21
	s_add_co_ci_u32 s21, s14, 0
	s_mov_b32 s23, s17
	s_add_nc_u64 s[20:21], s[24:25], s[20:21]
	s_delay_alu instid0(SALU_CYCLE_1) | instskip(SKIP_1) | instid1(SALU_CYCLE_1)
	s_add_co_u32 s3, s12, s20
	s_cselect_b32 s7, -1, 0
	s_cmp_lg_u32 s7, 0
	s_add_co_ci_u32 s7, s13, s21
	s_ashr_i32 s12, s9, 31
	s_delay_alu instid0(SALU_CYCLE_1) | instskip(NEXT) | instid1(SALU_CYCLE_1)
	s_mov_b32 s13, s12
	s_add_nc_u64 s[20:21], s[8:9], s[12:13]
	s_delay_alu instid0(SALU_CYCLE_1) | instskip(NEXT) | instid1(SALU_CYCLE_1)
	s_xor_b64 s[20:21], s[20:21], s[12:13]
	s_mul_hi_u32 s27, s20, s7
	s_mul_i32 s26, s20, s7
	s_mul_hi_u32 s22, s20, s3
	s_mul_hi_u32 s14, s21, s3
	s_mul_i32 s3, s21, s3
	s_add_nc_u64 s[22:23], s[22:23], s[26:27]
	s_mul_hi_u32 s9, s21, s7
	s_add_co_u32 s3, s22, s3
	s_add_co_ci_u32 s24, s23, s14
	s_mul_i32 s26, s21, s7
	s_add_co_ci_u32 s27, s9, 0
	s_delay_alu instid0(SALU_CYCLE_1) | instskip(NEXT) | instid1(SALU_CYCLE_1)
	s_add_nc_u64 s[22:23], s[24:25], s[26:27]
	s_and_b64 s[24:25], s[22:23], 0xffffffff00000000
	s_delay_alu instid0(SALU_CYCLE_1) | instskip(NEXT) | instid1(SALU_CYCLE_1)
	s_or_b32 s24, s24, s22
	s_mul_u64 s[22:23], s[10:11], s[24:25]
	s_add_nc_u64 s[26:27], s[24:25], 1
	s_sub_co_u32 s3, s20, s22
	s_cselect_b32 s7, -1, 0
	s_sub_co_i32 s9, s21, s23
	s_cmp_lg_u32 s7, 0
	s_add_nc_u64 s[28:29], s[24:25], 2
	s_sub_co_ci_u32 s9, s9, s11
	s_sub_co_u32 s14, s3, s10
	s_cselect_b32 s20, -1, 0
	s_delay_alu instid0(SALU_CYCLE_1) | instskip(SKIP_1) | instid1(SALU_CYCLE_1)
	s_cmp_lg_u32 s20, 0
	s_sub_co_ci_u32 s9, s9, 0
	s_cmp_ge_u32 s9, s11
	s_cselect_b32 s20, -1, 0
	s_cmp_ge_u32 s14, s10
	s_cselect_b32 s14, -1, 0
	s_cmp_eq_u32 s9, s11
	s_cselect_b32 s9, s14, s20
	s_delay_alu instid0(SALU_CYCLE_1) | instskip(SKIP_4) | instid1(SALU_CYCLE_1)
	s_cmp_lg_u32 s9, 0
	s_cselect_b32 s9, s28, s26
	s_cselect_b32 s14, s29, s27
	s_cmp_lg_u32 s7, 0
	s_sub_co_ci_u32 s7, s21, s23
	s_cmp_ge_u32 s7, s11
	s_cselect_b32 s20, -1, 0
	s_cmp_ge_u32 s3, s10
	s_cselect_b32 s3, -1, 0
	s_cmp_eq_u32 s7, s11
	s_cselect_b32 s3, s3, s20
	s_delay_alu instid0(SALU_CYCLE_1) | instskip(SKIP_4) | instid1(SALU_CYCLE_1)
	s_cmp_lg_u32 s3, 0
	s_mov_b32 s3, s17
	s_cselect_b32 s11, s14, s25
	s_cselect_b32 s10, s9, s24
	s_xor_b64 s[12:13], s[12:13], 0
	s_xor_b64 s[10:11], s[10:11], s[12:13]
	s_delay_alu instid0(SALU_CYCLE_1)
	s_sub_nc_u64 s[20:21], s[10:11], s[12:13]
	s_and_not1_b32 vcc_lo, exec_lo, s3
	s_cbranch_vccnz .LBB16_3
.LBB16_2:
	v_cvt_f32_u32_e32 v1, s16
	s_sub_co_i32 s7, 0, s16
	s_mov_b32 s21, 0
	s_delay_alu instid0(VALU_DEP_1) | instskip(SKIP_1) | instid1(TRANS32_DEP_1)
	v_rcp_iflag_f32_e32 v1, v1
	v_nop
	v_mul_f32_e32 v1, 0x4f7ffffe, v1
	s_delay_alu instid0(VALU_DEP_1) | instskip(NEXT) | instid1(VALU_DEP_1)
	v_cvt_u32_f32_e32 v1, v1
	v_readfirstlane_b32 s3, v1
	s_mul_i32 s7, s7, s3
	s_delay_alu instid0(SALU_CYCLE_1) | instskip(NEXT) | instid1(SALU_CYCLE_1)
	s_mul_hi_u32 s7, s3, s7
	s_add_co_i32 s3, s3, s7
	s_delay_alu instid0(SALU_CYCLE_1) | instskip(NEXT) | instid1(SALU_CYCLE_1)
	s_mul_hi_u32 s3, s8, s3
	s_mul_i32 s7, s3, s16
	s_delay_alu instid0(SALU_CYCLE_1)
	s_sub_co_i32 s7, s8, s7
	s_add_co_i32 s8, s3, 1
	s_sub_co_i32 s9, s7, s16
	s_cmp_ge_u32 s7, s16
	s_cselect_b32 s3, s8, s3
	s_cselect_b32 s7, s9, s7
	s_add_co_i32 s8, s3, 1
	s_cmp_ge_u32 s7, s16
	s_cselect_b32 s20, s8, s3
.LBB16_3:
	s_add_co_i32 s8, s2, 1
	s_delay_alu instid0(SALU_CYCLE_1) | instskip(NEXT) | instid1(SALU_CYCLE_1)
	s_ashr_i32 s9, s8, 31
	s_mul_u64 s[8:9], s[18:19], s[8:9]
	s_delay_alu instid0(SALU_CYCLE_1) | instskip(NEXT) | instid1(SALU_CYCLE_1)
	s_and_b64 s[10:11], s[8:9], 0xffffffff00000000
	s_cmp_lg_u64 s[10:11], 0
	s_cbranch_scc0 .LBB16_22
; %bb.4:
	s_add_nc_u64 s[10:11], s[16:17], 0
	s_delay_alu instid0(SALU_CYCLE_1) | instskip(SKIP_4) | instid1(SALU_CYCLE_2)
	s_xor_b64 s[12:13], s[10:11], 0
	s_mov_b32 s11, 0
	s_cvt_f32_u32 s3, s12
	s_cvt_f32_u32 s7, s13
	s_sub_nc_u64 s[24:25], 0, s[12:13]
	s_fmamk_f32 s3, s7, 0x4f800000, s3
	s_delay_alu instid0(SALU_CYCLE_3) | instskip(NEXT) | instid1(TRANS32_DEP_1)
	v_s_rcp_f32 s3, s3
	s_mul_f32 s3, s3, 0x5f7ffffc
	s_delay_alu instid0(SALU_CYCLE_3) | instskip(NEXT) | instid1(SALU_CYCLE_3)
	s_mul_f32 s7, s3, 0x2f800000
	s_trunc_f32 s7, s7
	s_delay_alu instid0(SALU_CYCLE_3) | instskip(SKIP_1) | instid1(SALU_CYCLE_2)
	s_fmamk_f32 s3, s7, 0xcf800000, s3
	s_cvt_u32_f32 s23, s7
	s_cvt_u32_f32 s22, s3
	s_delay_alu instid0(SALU_CYCLE_3) | instskip(NEXT) | instid1(SALU_CYCLE_1)
	s_mul_u64 s[26:27], s[24:25], s[22:23]
	s_mul_hi_u32 s29, s22, s27
	s_mul_i32 s28, s22, s27
	s_mul_hi_u32 s10, s22, s26
	s_mul_i32 s7, s23, s26
	s_add_nc_u64 s[28:29], s[10:11], s[28:29]
	s_mul_hi_u32 s3, s23, s26
	s_mul_hi_u32 s14, s23, s27
	s_add_co_u32 s7, s28, s7
	s_add_co_ci_u32 s10, s29, s3
	s_mul_i32 s26, s23, s27
	s_add_co_ci_u32 s27, s14, 0
	s_delay_alu instid0(SALU_CYCLE_1) | instskip(NEXT) | instid1(SALU_CYCLE_1)
	s_add_nc_u64 s[26:27], s[10:11], s[26:27]
	s_add_co_u32 s22, s22, s26
	s_cselect_b32 s3, -1, 0
	s_delay_alu instid0(SALU_CYCLE_1) | instskip(SKIP_1) | instid1(SALU_CYCLE_1)
	s_cmp_lg_u32 s3, 0
	s_add_co_ci_u32 s23, s23, s27
	s_mul_u64 s[24:25], s[24:25], s[22:23]
	s_delay_alu instid0(SALU_CYCLE_1)
	s_mul_hi_u32 s27, s22, s25
	s_mul_i32 s26, s22, s25
	s_mul_hi_u32 s10, s22, s24
	s_mul_i32 s7, s23, s24
	s_add_nc_u64 s[26:27], s[10:11], s[26:27]
	s_mul_hi_u32 s3, s23, s24
	s_mul_hi_u32 s14, s23, s25
	s_add_co_u32 s7, s26, s7
	s_add_co_ci_u32 s10, s27, s3
	s_mul_i32 s24, s23, s25
	s_add_co_ci_u32 s25, s14, 0
	s_delay_alu instid0(SALU_CYCLE_1) | instskip(NEXT) | instid1(SALU_CYCLE_1)
	s_add_nc_u64 s[24:25], s[10:11], s[24:25]
	s_add_co_u32 s3, s22, s24
	s_cselect_b32 s7, -1, 0
	s_delay_alu instid0(SALU_CYCLE_1) | instskip(SKIP_2) | instid1(SALU_CYCLE_1)
	s_cmp_lg_u32 s7, 0
	s_add_co_ci_u32 s7, s23, s25
	s_ashr_i32 s22, s9, 31
	s_mov_b32 s23, s22
	s_delay_alu instid0(SALU_CYCLE_1) | instskip(NEXT) | instid1(SALU_CYCLE_1)
	s_add_nc_u64 s[24:25], s[8:9], s[22:23]
	s_xor_b64 s[24:25], s[24:25], s[22:23]
	s_delay_alu instid0(SALU_CYCLE_1)
	s_mul_hi_u32 s27, s24, s7
	s_mul_i32 s26, s24, s7
	s_mul_hi_u32 s10, s24, s3
	s_mul_hi_u32 s14, s25, s3
	s_mul_i32 s3, s25, s3
	s_add_nc_u64 s[26:27], s[10:11], s[26:27]
	s_mul_hi_u32 s9, s25, s7
	s_add_co_u32 s3, s26, s3
	s_add_co_ci_u32 s10, s27, s14
	s_mul_i32 s28, s25, s7
	s_add_co_ci_u32 s29, s9, 0
	s_delay_alu instid0(SALU_CYCLE_1) | instskip(NEXT) | instid1(SALU_CYCLE_1)
	s_add_nc_u64 s[26:27], s[10:11], s[28:29]
	s_and_b64 s[28:29], s[26:27], 0xffffffff00000000
	s_delay_alu instid0(SALU_CYCLE_1) | instskip(NEXT) | instid1(SALU_CYCLE_1)
	s_or_b32 s28, s28, s26
	s_mul_u64 s[26:27], s[12:13], s[28:29]
	s_add_nc_u64 s[30:31], s[28:29], 1
	s_sub_co_u32 s3, s24, s26
	s_cselect_b32 s7, -1, 0
	s_sub_co_i32 s9, s25, s27
	s_cmp_lg_u32 s7, 0
	s_add_nc_u64 s[34:35], s[28:29], 2
	s_sub_co_ci_u32 s9, s9, s13
	s_sub_co_u32 s10, s3, s12
	s_cselect_b32 s14, -1, 0
	s_delay_alu instid0(SALU_CYCLE_1) | instskip(SKIP_1) | instid1(SALU_CYCLE_1)
	s_cmp_lg_u32 s14, 0
	s_sub_co_ci_u32 s9, s9, 0
	s_cmp_ge_u32 s9, s13
	s_cselect_b32 s14, -1, 0
	s_cmp_ge_u32 s10, s12
	s_cselect_b32 s10, -1, 0
	s_cmp_eq_u32 s9, s13
	s_cselect_b32 s9, s10, s14
	s_delay_alu instid0(SALU_CYCLE_1) | instskip(SKIP_4) | instid1(SALU_CYCLE_1)
	s_cmp_lg_u32 s9, 0
	s_cselect_b32 s9, s34, s30
	s_cselect_b32 s10, s35, s31
	s_cmp_lg_u32 s7, 0
	s_sub_co_ci_u32 s7, s25, s27
	s_cmp_ge_u32 s7, s13
	s_cselect_b32 s14, -1, 0
	s_cmp_ge_u32 s3, s12
	s_cselect_b32 s3, -1, 0
	s_cmp_eq_u32 s7, s13
	s_cselect_b32 s3, s3, s14
	s_delay_alu instid0(SALU_CYCLE_1) | instskip(SKIP_3) | instid1(SALU_CYCLE_1)
	s_cmp_lg_u32 s3, 0
	s_cselect_b32 s13, s10, s29
	s_cselect_b32 s12, s9, s28
	s_xor_b64 s[22:23], s[22:23], 0
	s_xor_b64 s[12:13], s[12:13], s[22:23]
	s_delay_alu instid0(SALU_CYCLE_1)
	s_sub_nc_u64 s[24:25], s[12:13], s[22:23]
	s_load_b96 s[12:14], s[0:1], 0x44
	s_cbranch_execnz .LBB16_6
.LBB16_5:
	v_cvt_f32_u32_e32 v1, s16
	s_sub_co_i32 s7, 0, s16
	s_delay_alu instid0(VALU_DEP_1) | instskip(SKIP_1) | instid1(TRANS32_DEP_1)
	v_rcp_iflag_f32_e32 v1, v1
	v_nop
	v_mul_f32_e32 v1, 0x4f7ffffe, v1
	s_delay_alu instid0(VALU_DEP_1) | instskip(NEXT) | instid1(VALU_DEP_1)
	v_cvt_u32_f32_e32 v1, v1
	v_readfirstlane_b32 s3, v1
	s_mul_i32 s7, s7, s3
	s_delay_alu instid0(SALU_CYCLE_1) | instskip(NEXT) | instid1(SALU_CYCLE_1)
	s_mul_hi_u32 s7, s3, s7
	s_add_co_i32 s3, s3, s7
	s_delay_alu instid0(SALU_CYCLE_1) | instskip(NEXT) | instid1(SALU_CYCLE_1)
	s_mul_hi_u32 s3, s8, s3
	s_mul_i32 s7, s3, s16
	s_delay_alu instid0(SALU_CYCLE_1)
	s_sub_co_i32 s7, s8, s7
	s_add_co_i32 s8, s3, 1
	s_sub_co_i32 s9, s7, s16
	s_cmp_ge_u32 s7, s16
	s_cselect_b32 s3, s8, s3
	s_cselect_b32 s7, s9, s7
	s_add_co_i32 s8, s3, 1
	s_cmp_ge_u32 s7, s16
	s_cselect_b32 s24, s8, s3
.LBB16_6:
	s_delay_alu instid0(SALU_CYCLE_1)
	s_cmp_eq_u32 s20, s24
	s_mov_b64 s[8:9], 0xffffffff
	s_cselect_b32 s3, -1, 0
	s_and_b64 s[8:9], s[20:21], s[8:9]
	s_mov_b32 s23, 0
	s_wait_kmcnt 0x0
	s_mov_b32 s22, s12
	s_mov_b32 s25, s23
	s_mul_u64 s[10:11], s[8:9], s[22:23]
	s_delay_alu instid0(SALU_CYCLE_1) | instskip(SKIP_2) | instid1(SALU_CYCLE_1)
	s_add_co_i32 s7, s11, s20
	s_mul_u64 s[10:11], s[24:25], s[22:23]
	s_lshr_b32 s12, s7, s13
	s_mul_i32 s7, s12, s14
	s_delay_alu instid0(SALU_CYCLE_1) | instskip(SKIP_2) | instid1(SALU_CYCLE_1)
	s_cmp_eq_u32 s7, s20
	s_cselect_b32 s7, -1, 0
	s_add_co_i32 s10, s11, s24
	s_lshr_b32 s10, s10, s13
	s_delay_alu instid0(SALU_CYCLE_1)
	s_cmp_eq_u32 s12, s10
	s_mul_i32 s10, s10, s14
	s_cselect_b32 s11, -1, 0
	s_cmp_lg_u32 s10, s24
	s_cselect_b32 s10, -1, 0
	s_or_b32 s3, s3, s7
	s_and_b32 s10, s11, s10
	s_delay_alu instid0(SALU_CYCLE_1) | instskip(NEXT) | instid1(SALU_CYCLE_1)
	s_or_b32 s3, s3, s10
	s_and_b32 vcc_lo, exec_lo, s3
	s_cbranch_vccnz .LBB16_24
; %bb.7:
	s_load_b256 s[24:31], s[0:1], 0x20
	s_bfe_u32 s7, ttmp6, 0x40014
	s_bfe_u32 s33, ttmp6, 0x40010
	s_lshr_b32 s3, ttmp7, 16
	s_add_co_i32 s7, s7, 1
	s_and_b32 s21, ttmp7, 0xffff
	s_add_co_i32 s33, s33, 1
	s_bfe_u32 s10, ttmp6, 0x40008
	s_mul_i32 s7, s3, s7
	s_bfe_u32 s34, ttmp6, 0x40004
	s_mul_i32 s33, s21, s33
	s_mov_b32 s11, s23
	s_add_co_i32 s7, s10, s7
	s_add_co_i32 s34, s34, s33
	s_cmp_eq_u32 s15, 0
	s_cselect_b32 s15, s21, s34
	s_cselect_b32 s21, s3, s7
	s_wait_kmcnt 0x0
	s_mov_b32 s10, s24
	s_delay_alu instid0(SALU_CYCLE_1) | instskip(SKIP_2) | instid1(SALU_CYCLE_1)
	s_mul_u64 s[8:9], s[8:9], s[10:11]
	s_load_b32 s8, s[0:1], 0x40
	s_add_co_i32 s3, s9, s20
	s_lshr_b32 s3, s3, s25
	s_delay_alu instid0(SALU_CYCLE_1) | instskip(NEXT) | instid1(SALU_CYCLE_1)
	s_mul_i32 s7, s3, s26
	s_sub_co_i32 s9, s20, s7
	s_delay_alu instid0(SALU_CYCLE_1) | instskip(NEXT) | instid1(SALU_CYCLE_1)
	s_mul_hi_u32 s7, s9, s27
	s_add_co_i32 s7, s9, s7
	s_delay_alu instid0(SALU_CYCLE_1) | instskip(NEXT) | instid1(SALU_CYCLE_1)
	s_lshr_b32 s7, s7, s28
	s_mul_i32 s10, s7, s29
	s_delay_alu instid0(SALU_CYCLE_1) | instskip(NEXT) | instid1(SALU_CYCLE_1)
	s_sub_co_i32 s10, s9, s10
	s_mul_hi_u32 s9, s10, s30
	s_delay_alu instid0(SALU_CYCLE_1) | instskip(NEXT) | instid1(SALU_CYCLE_1)
	s_add_co_i32 s9, s10, s9
	s_lshr_b32 s25, s9, s31
	s_mov_b32 s9, s23
	s_wait_kmcnt 0x0
	s_mul_i32 s8, s25, s8
	s_lshl_b32 s25, s25, 3
	s_sub_co_i32 s8, s10, s8
	s_delay_alu instid0(SALU_CYCLE_1) | instskip(NEXT) | instid1(SALU_CYCLE_1)
	s_mul_u64 s[10:11], s[8:9], s[22:23]
	s_add_co_i32 s8, s8, s11
	s_delay_alu instid0(SALU_CYCLE_1) | instskip(NEXT) | instid1(SALU_CYCLE_1)
	s_lshr_b32 s24, s8, s13
	s_add_co_i32 s24, s24, s15
	s_delay_alu instid0(SALU_CYCLE_1) | instskip(SKIP_2) | instid1(SALU_CYCLE_1)
	s_cmp_lt_i32 s24, s4
	s_cselect_b32 s8, -1, 0
	s_add_co_i32 s25, s25, s21
	s_cmp_lt_i32 s25, s6
	s_cselect_b32 s9, -1, 0
	s_delay_alu instid0(SALU_CYCLE_1) | instskip(NEXT) | instid1(SALU_CYCLE_1)
	s_and_b32 s8, s8, s9
	s_and_not1_b32 vcc_lo, exec_lo, s8
	s_cbranch_vccnz .LBB16_24
; %bb.8:
	s_load_b128 s[8:11], s[0:1], 0x0
	s_mul_i32 s3, s3, s4
	s_mul_i32 s7, s7, s6
	s_wait_xcnt 0x0
	s_add_co_i32 s0, s24, s3
	s_add_co_i32 s1, s25, s7
	s_mul_i32 s0, s0, s5
	s_add_co_i32 s3, s15, s2
	s_add_co_i32 s1, s1, s0
	v_cvt_f32_u32_e32 v4, s16
	v_lshl_or_b32 v2, s1, 7, v0
	s_add_nc_u64 s[0:1], s[16:17], 0
	s_lshl_b32 s24, s16, 5
	s_xor_b64 s[6:7], s[0:1], 0
	s_lshl_b32 s0, s3, 3
	s_cvt_f32_u32 s3, s6
	s_cvt_f32_u32 s4, s7
	s_add_co_i32 s0, s0, s21
	v_rcp_iflag_f32_e32 v4, v4
	s_ashr_i32 s1, s0, 31
	s_fmamk_f32 s3, s4, 0x4f800000, s3
	s_wait_kmcnt 0x0
	global_load_b32 v1, v2, s[8:9] scale_offset
	s_lshl_b64 s[0:1], s[0:1], 3
	s_mov_b32 s25, 0
	v_s_rcp_f32 s3, s3
	s_add_nc_u64 s[0:1], s[10:11], s[0:1]
	v_dual_mul_f32 v4, 0x4f7ffffe, v4 :: v_dual_ashrrev_i32 v3, 31, v2
	s_load_b64 s[28:29], s[0:1], 0x0
	s_wait_xcnt 0x0
	s_lshl_b64 s[0:1], s[24:25], 2
	v_lshl_or_b32 v6, s21, 7, v0
	s_add_nc_u64 s[26:27], s[10:11], s[0:1]
	s_mul_f32 s3, s3, 0x5f7ffffc
	v_lshl_add_u64 v[2:3], v[2:3], 2, s[8:9]
	v_cvt_u32_f32_e32 v7, v4
	s_mov_b64 s[8:9], 0xffffffff
	s_mul_f32 s4, s3, 0x2f800000
	s_add_co_i32 s36, s2, -1
	s_sub_nc_u64 s[34:35], 0, s[6:7]
	s_delay_alu instid0(SALU_CYCLE_1) | instskip(NEXT) | instid1(SALU_CYCLE_3)
	s_trunc_f32 s4, s4
	s_fmamk_f32 s0, s4, 0xcf800000, s3
	s_cvt_u32_f32 s31, s4
	s_wait_kmcnt 0x0
	v_mov_b32_e32 v0, s29
	s_cvt_u32_f32 s30, s0
.LBB16_9:                               ; =>This Inner Loop Header: Depth=1
	s_ashr_i32 s37, s36, 31
                                        ; implicit-def: $sgpr40_sgpr41
	s_delay_alu instid0(SALU_CYCLE_1) | instskip(NEXT) | instid1(SALU_CYCLE_1)
	s_mul_u64 s[0:1], s[36:37], s[18:19]
	s_and_b64 s[2:3], s[0:1], 0xffffffff00000000
	s_delay_alu instid0(SALU_CYCLE_1)
	s_cmp_lg_u64 s[2:3], 0
	s_mov_b32 s2, -1
	s_cbranch_scc0 .LBB16_11
; %bb.10:                               ;   in Loop: Header=BB16_9 Depth=1
	s_mul_u64 s[2:3], s[34:35], s[30:31]
	s_delay_alu instid0(SALU_CYCLE_1)
	s_mul_hi_u32 s5, s30, s3
	s_mul_i32 s4, s30, s3
	s_mul_hi_u32 s24, s30, s2
	s_mul_hi_u32 s17, s31, s2
	s_add_nc_u64 s[4:5], s[24:25], s[4:5]
	s_mul_i32 s2, s31, s2
	s_mul_hi_u32 s29, s31, s3
	s_add_co_u32 s2, s4, s2
	s_add_co_ci_u32 s24, s5, s17
	s_add_co_ci_u32 s5, s29, 0
	s_mul_i32 s4, s31, s3
	s_delay_alu instid0(SALU_CYCLE_1) | instskip(NEXT) | instid1(SALU_CYCLE_1)
	s_add_nc_u64 s[2:3], s[24:25], s[4:5]
	s_add_co_u32 s2, s30, s2
	s_cselect_b32 s4, -1, 0
	s_delay_alu instid0(SALU_CYCLE_1) | instskip(SKIP_1) | instid1(SALU_CYCLE_1)
	s_cmp_lg_u32 s4, 0
	s_add_co_ci_u32 s3, s31, s3
	s_mul_u64 s[4:5], s[34:35], s[2:3]
	s_delay_alu instid0(SALU_CYCLE_1)
	s_mul_hi_u32 s39, s2, s5
	s_mul_i32 s38, s2, s5
	s_mul_hi_u32 s24, s2, s4
	s_mul_hi_u32 s17, s3, s4
	s_mul_i32 s4, s3, s4
	s_add_nc_u64 s[38:39], s[24:25], s[38:39]
	s_mul_hi_u32 s29, s3, s5
	s_add_co_u32 s4, s38, s4
	s_add_co_ci_u32 s24, s39, s17
	s_mul_i32 s4, s3, s5
	s_add_co_ci_u32 s5, s29, 0
	s_delay_alu instid0(SALU_CYCLE_1) | instskip(NEXT) | instid1(SALU_CYCLE_1)
	s_add_nc_u64 s[4:5], s[24:25], s[4:5]
	s_add_co_u32 s17, s2, s4
	s_cselect_b32 s2, -1, 0
	s_delay_alu instid0(SALU_CYCLE_1) | instskip(SKIP_2) | instid1(SALU_CYCLE_1)
	s_cmp_lg_u32 s2, 0
	s_add_co_ci_u32 s29, s3, s5
	s_ashr_i32 s2, s1, 31
	s_mov_b32 s3, s2
	s_delay_alu instid0(SALU_CYCLE_1) | instskip(NEXT) | instid1(SALU_CYCLE_1)
	s_add_nc_u64 s[4:5], s[0:1], s[2:3]
	s_xor_b64 s[4:5], s[4:5], s[2:3]
	s_delay_alu instid0(SALU_CYCLE_1)
	s_mul_hi_u32 s39, s4, s29
	s_mul_i32 s38, s4, s29
	s_mul_hi_u32 s24, s4, s17
	s_mul_hi_u32 s33, s5, s17
	s_mul_i32 s17, s5, s17
	s_add_nc_u64 s[38:39], s[24:25], s[38:39]
	s_mul_hi_u32 s1, s5, s29
	s_add_co_u32 s17, s38, s17
	s_add_co_ci_u32 s24, s39, s33
	s_mul_i32 s40, s5, s29
	s_add_co_ci_u32 s41, s1, 0
	s_delay_alu instid0(SALU_CYCLE_1) | instskip(NEXT) | instid1(SALU_CYCLE_1)
	s_add_nc_u64 s[38:39], s[24:25], s[40:41]
	s_and_b64 s[40:41], s[38:39], 0xffffffff00000000
	s_delay_alu instid0(SALU_CYCLE_1) | instskip(NEXT) | instid1(SALU_CYCLE_1)
	s_or_b32 s40, s40, s38
	s_mul_u64 s[38:39], s[6:7], s[40:41]
	s_add_nc_u64 s[42:43], s[40:41], 1
	s_sub_co_u32 s1, s4, s38
	s_cselect_b32 s4, -1, 0
	s_sub_co_i32 s17, s5, s39
	s_cmp_lg_u32 s4, 0
	s_add_nc_u64 s[44:45], s[40:41], 2
	s_sub_co_ci_u32 s17, s17, s7
	s_sub_co_u32 s24, s1, s6
	s_cselect_b32 s29, -1, 0
	s_delay_alu instid0(SALU_CYCLE_1) | instskip(SKIP_1) | instid1(SALU_CYCLE_1)
	s_cmp_lg_u32 s29, 0
	s_sub_co_ci_u32 s17, s17, 0
	s_cmp_ge_u32 s17, s7
	s_cselect_b32 s29, -1, 0
	s_cmp_ge_u32 s24, s6
	s_cselect_b32 s24, -1, 0
	s_cmp_eq_u32 s17, s7
	s_cselect_b32 s17, s24, s29
	s_delay_alu instid0(SALU_CYCLE_1) | instskip(SKIP_4) | instid1(SALU_CYCLE_1)
	s_cmp_lg_u32 s17, 0
	s_cselect_b32 s17, s44, s42
	s_cselect_b32 s24, s45, s43
	s_cmp_lg_u32 s4, 0
	s_sub_co_ci_u32 s4, s5, s39
	s_cmp_ge_u32 s4, s7
	s_cselect_b32 s5, -1, 0
	s_cmp_ge_u32 s1, s6
	s_cselect_b32 s1, -1, 0
	s_cmp_eq_u32 s4, s7
	s_cselect_b32 s1, s1, s5
	s_delay_alu instid0(SALU_CYCLE_1) | instskip(SKIP_3) | instid1(SALU_CYCLE_1)
	s_cmp_lg_u32 s1, 0
	s_cselect_b32 s5, s24, s41
	s_cselect_b32 s4, s17, s40
	s_xor_b64 s[2:3], s[2:3], 0
	s_xor_b64 s[4:5], s[4:5], s[2:3]
	s_delay_alu instid0(SALU_CYCLE_1)
	s_sub_nc_u64 s[40:41], s[4:5], s[2:3]
	s_mov_b32 s2, 0
.LBB16_11:                              ;   in Loop: Header=BB16_9 Depth=1
	s_delay_alu instid0(SALU_CYCLE_1)
	s_and_not1_b32 vcc_lo, exec_lo, s2
	s_cbranch_vccnz .LBB16_13
; %bb.12:                               ;   in Loop: Header=BB16_9 Depth=1
	v_readfirstlane_b32 s1, v7
	s_sub_co_i32 s2, 0, s16
	s_delay_alu instid0(SALU_CYCLE_1) | instskip(NEXT) | instid1(SALU_CYCLE_1)
	s_mul_i32 s2, s2, s1
	s_mul_hi_u32 s2, s1, s2
	s_delay_alu instid0(SALU_CYCLE_1) | instskip(NEXT) | instid1(SALU_CYCLE_1)
	s_add_co_i32 s1, s1, s2
	s_mul_hi_u32 s1, s0, s1
	s_delay_alu instid0(SALU_CYCLE_1) | instskip(NEXT) | instid1(SALU_CYCLE_1)
	s_mul_i32 s2, s1, s16
	s_sub_co_i32 s0, s0, s2
	s_add_co_i32 s2, s1, 1
	s_sub_co_i32 s3, s0, s16
	s_cmp_ge_u32 s0, s16
	s_cselect_b32 s1, s2, s1
	s_cselect_b32 s0, s3, s0
	s_add_co_i32 s2, s1, 1
	s_cmp_ge_u32 s0, s16
	s_cselect_b32 s24, s2, s1
	s_delay_alu instid0(SALU_CYCLE_1)
	s_mov_b64 s[40:41], s[24:25]
.LBB16_13:                              ;   in Loop: Header=BB16_9 Depth=1
	s_delay_alu instid0(SALU_CYCLE_1)
	s_cmp_lg_u32 s20, s40
	s_mov_b32 s0, -1
                                        ; implicit-def: $vgpr4_vgpr5
                                        ; implicit-def: $sgpr29
                                        ; implicit-def: $sgpr17
                                        ; implicit-def: $sgpr24
                                        ; implicit-def: $sgpr33
	s_cbranch_scc0 .LBB16_18
; %bb.14:                               ;   in Loop: Header=BB16_9 Depth=1
	s_add_co_i32 s42, s36, s15
	v_max_num_f32_e64 v4, s28, s28
	s_add_co_i32 s0, s42, s16
	s_mov_b32 s33, s20
	s_lshl_b32 s0, s0, 3
	s_delay_alu instid0(SALU_CYCLE_1)
	s_add_co_i32 s0, s0, s21
	s_load_b64 s[38:39], s[10:11], s0 offset:0x0 scale_offset
	s_wait_xcnt 0x0
	v_readfirstlane_b32 s0, v4
	s_wait_kmcnt 0x0
	v_max_num_f32_e64 v5, s38, s38
	s_delay_alu instid0(VALU_DEP_1) | instskip(SKIP_1) | instid1(SALU_CYCLE_3)
	v_readfirstlane_b32 s1, v5
	s_max_num_f32 s17, s0, s1
	s_sub_f32 s37, s28, s17
	s_sub_f32 s38, s38, s17
	s_delay_alu instid0(SALU_CYCLE_2)
	s_cmp_nlt_f32 s37, 0xc2ce8ed0
	s_cselect_b32 s1, -1, 0
	s_cmp_ngt_f32 s37, 0x42b17218
	s_cselect_b32 s2, -1, 0
	s_cmp_ge_f32 s37, 0xc1a00000
	s_cselect_b32 s0, -1, 0
	s_cmp_nlt_f32 s38, 0xc2ce8ed0
	s_cselect_b32 s3, -1, 0
	s_cmp_ngt_f32 s38, 0x42b17218
	s_cselect_b32 s4, -1, 0
	s_cmp_ge_f32 s38, 0xc1a00000
	s_cselect_b32 s5, -1, 0
	s_and_b64 s[44:45], s[40:41], s[8:9]
	s_delay_alu instid0(SALU_CYCLE_1) | instskip(NEXT) | instid1(SALU_CYCLE_1)
	s_mul_u64 s[44:45], s[44:45], s[22:23]
	s_add_co_i32 s24, s45, s40
	s_delay_alu instid0(SALU_CYCLE_1) | instskip(NEXT) | instid1(SALU_CYCLE_1)
	s_lshr_b32 s24, s24, s13
	s_mul_i32 s29, s24, s14
	s_delay_alu instid0(SALU_CYCLE_1) | instskip(SKIP_3) | instid1(SALU_CYCLE_1)
	s_cmp_eq_u32 s29, s40
	s_cselect_b32 s29, -1, 0
	s_cmp_lt_u32 s24, s12
	s_cselect_b32 s24, -1, 0
	s_or_b32 s24, s24, s29
	s_mov_b32 s29, -1
	s_and_b32 vcc_lo, exec_lo, s24
	s_mov_b32 s24, s36
	s_cbranch_vccnz .LBB16_16
; %bb.15:                               ;   in Loop: Header=BB16_9 Depth=1
	s_add_co_i32 s24, s36, -1
	s_mov_b32 s29, 0
	s_mov_b32 s33, s40
.LBB16_16:                              ;   in Loop: Header=BB16_9 Depth=1
	v_lshl_add_u32 v4, s42, 10, v6
	s_mul_f32 s41, s37, 0x3fb8aa3b
	s_mul_f32 s40, s38, 0x3fb8aa3b
	s_delay_alu instid0(SALU_CYCLE_2)
	s_xor_b32 s43, s41, 0x80000000
	global_load_b32 v5, v4, s[26:27] scale_offset
	s_fmamk_f32 s43, s37, 0x3fb8aa3b, s43
	s_rndne_f32 s45, s41
	s_xor_b32 s42, s40, 0x80000000
	s_rndne_f32 s44, s40
	s_fmamk_f32 s37, s37, 0x32a5705f, s43
	s_sub_f32 s41, s41, s45
	s_fmamk_f32 s42, s38, 0x3fb8aa3b, s42
	s_sub_f32 s40, s40, s44
	s_delay_alu instid0(SALU_CYCLE_1) | instskip(NEXT) | instid1(SALU_CYCLE_1)
	s_add_f32 s37, s41, s37
	s_fmamk_f32 s38, s38, 0x32a5705f, s42
	s_cvt_i32_f32 s41, s45
	s_delay_alu instid0(SALU_CYCLE_1) | instskip(NEXT) | instid1(SALU_CYCLE_1)
	v_s_exp_f32 s37, s37
	s_add_f32 s38, s40, s38
	s_cvt_i32_f32 s40, s44
	s_delay_alu instid0(SALU_CYCLE_2) | instskip(NEXT) | instid1(TRANS32_DEP_2)
	v_s_exp_f32 s38, s38
	v_ldexp_f32 v8, s37, s41
	s_wait_xcnt 0x0
	s_delay_alu instid0(TRANS32_DEP_1) | instskip(NEXT) | instid1(VALU_DEP_2)
	v_ldexp_f32 v4, s38, s40
	v_cndmask_b32_e64 v8, 0, v8, s1
	s_delay_alu instid0(VALU_DEP_1) | instskip(NEXT) | instid1(VALU_DEP_1)
	v_cndmask_b32_e64 v9, 0x7f800000, v8, s2
	v_dual_cndmask_b32 v4, 0, v4, s3 :: v_dual_cndmask_b32 v10, 0, v9, s0
	s_delay_alu instid0(VALU_DEP_1) | instskip(NEXT) | instid1(VALU_DEP_1)
	v_cndmask_b32_e64 v4, 0x7f800000, v4, s4
	v_dual_cndmask_b32 v8, 0, v4, s5 :: v_dual_mov_b32 v4, s39
	s_wait_loadcnt 0x0
	s_delay_alu instid0(VALU_DEP_1) | instskip(NEXT) | instid1(VALU_DEP_1)
	v_pk_mul_f32 v[4:5], v[4:5], v[8:9] op_sel_hi:[1,0]
	v_pk_fma_f32 v[4:5], v[0:1], v[10:11], v[4:5] op_sel_hi:[1,0,1]
	s_cbranch_execz .LBB16_19
.LBB16_17:                              ;   in Loop: Header=BB16_9 Depth=1
	s_and_not1_b32 vcc_lo, exec_lo, s29
	s_cbranch_vccnz .LBB16_20
	s_branch .LBB16_23
.LBB16_18:                              ;   in Loop: Header=BB16_9 Depth=1
	s_and_not1_b32 vcc_lo, exec_lo, s0
	s_cbranch_vccnz .LBB16_17
.LBB16_19:                              ;   in Loop: Header=BB16_9 Depth=1
	s_wait_loadcnt 0x0
	v_mov_b64_e32 v[4:5], v[0:1]
	s_add_co_i32 s24, s36, -1
	s_mov_b32 s33, s20
	s_mov_b32 s17, s28
	s_cbranch_execz .LBB16_23
.LBB16_20:                              ;   in Loop: Header=BB16_9 Depth=1
	s_wait_loadcnt 0x0
	s_delay_alu instid0(VALU_DEP_1)
	v_mov_b64_e32 v[0:1], v[4:5]
	s_mov_b32 s20, s33
	s_mov_b32 s36, s24
	;; [unrolled: 1-line block ×3, first 2 shown]
	s_branch .LBB16_9
.LBB16_21:
                                        ; implicit-def: $sgpr20_sgpr21
	s_branch .LBB16_2
.LBB16_22:
                                        ; implicit-def: $sgpr24_sgpr25
	s_load_b96 s[12:14], s[0:1], 0x44
	s_branch .LBB16_5
.LBB16_23:
	s_delay_alu instid0(VALU_DEP_1) | instskip(SKIP_1) | instid1(VALU_DEP_1)
	v_div_scale_f32 v0, null, v4, v4, v5
	s_wait_loadcnt 0x0
	v_rcp_f32_e32 v1, v0
	v_nop
	s_delay_alu instid0(TRANS32_DEP_1) | instskip(NEXT) | instid1(VALU_DEP_1)
	v_fma_f32 v6, -v0, v1, 1.0
	v_fmac_f32_e32 v1, v6, v1
	v_div_scale_f32 v6, vcc_lo, v5, v4, v5
	s_delay_alu instid0(VALU_DEP_1) | instskip(NEXT) | instid1(VALU_DEP_1)
	v_mul_f32_e32 v7, v6, v1
	v_fma_f32 v8, -v0, v7, v6
	s_delay_alu instid0(VALU_DEP_1) | instskip(NEXT) | instid1(VALU_DEP_1)
	v_fmac_f32_e32 v7, v8, v1
	v_fma_f32 v0, -v0, v7, v6
	s_delay_alu instid0(VALU_DEP_1) | instskip(NEXT) | instid1(VALU_DEP_1)
	v_div_fmas_f32 v0, v0, v1, v7
	v_div_fixup_f32 v0, v0, v4, v5
	global_store_b32 v[2:3], v0, off
.LBB16_24:
	s_endpgm
	.section	.rodata,"a",@progbits
	.p2align	6, 0x0
	.amdhsa_kernel _ZL33flash_attn_stream_k_fixup_generalILi128ELi1ELi8EEvPfPK15HIP_vector_typeIfLj2EEiiiiS1_IjLj3EES5_S5_S5_
		.amdhsa_group_segment_fixed_size 0
		.amdhsa_private_segment_fixed_size 0
		.amdhsa_kernarg_size 336
		.amdhsa_user_sgpr_count 2
		.amdhsa_user_sgpr_dispatch_ptr 0
		.amdhsa_user_sgpr_queue_ptr 0
		.amdhsa_user_sgpr_kernarg_segment_ptr 1
		.amdhsa_user_sgpr_dispatch_id 0
		.amdhsa_user_sgpr_kernarg_preload_length 0
		.amdhsa_user_sgpr_kernarg_preload_offset 0
		.amdhsa_user_sgpr_private_segment_size 0
		.amdhsa_wavefront_size32 1
		.amdhsa_uses_dynamic_stack 0
		.amdhsa_enable_private_segment 0
		.amdhsa_system_sgpr_workgroup_id_x 1
		.amdhsa_system_sgpr_workgroup_id_y 1
		.amdhsa_system_sgpr_workgroup_id_z 1
		.amdhsa_system_sgpr_workgroup_info 0
		.amdhsa_system_vgpr_workitem_id 0
		.amdhsa_next_free_vgpr 12
		.amdhsa_next_free_sgpr 46
		.amdhsa_named_barrier_count 0
		.amdhsa_reserve_vcc 1
		.amdhsa_float_round_mode_32 0
		.amdhsa_float_round_mode_16_64 0
		.amdhsa_float_denorm_mode_32 3
		.amdhsa_float_denorm_mode_16_64 3
		.amdhsa_fp16_overflow 0
		.amdhsa_memory_ordered 1
		.amdhsa_forward_progress 1
		.amdhsa_inst_pref_size 26
		.amdhsa_round_robin_scheduling 0
		.amdhsa_exception_fp_ieee_invalid_op 0
		.amdhsa_exception_fp_denorm_src 0
		.amdhsa_exception_fp_ieee_div_zero 0
		.amdhsa_exception_fp_ieee_overflow 0
		.amdhsa_exception_fp_ieee_underflow 0
		.amdhsa_exception_fp_ieee_inexact 0
		.amdhsa_exception_int_div_zero 0
	.end_amdhsa_kernel
	.section	.text._ZL33flash_attn_stream_k_fixup_generalILi128ELi1ELi8EEvPfPK15HIP_vector_typeIfLj2EEiiiiS1_IjLj3EES5_S5_S5_,"axG",@progbits,_ZL33flash_attn_stream_k_fixup_generalILi128ELi1ELi8EEvPfPK15HIP_vector_typeIfLj2EEiiiiS1_IjLj3EES5_S5_S5_,comdat
.Lfunc_end16:
	.size	_ZL33flash_attn_stream_k_fixup_generalILi128ELi1ELi8EEvPfPK15HIP_vector_typeIfLj2EEiiiiS1_IjLj3EES5_S5_S5_, .Lfunc_end16-_ZL33flash_attn_stream_k_fixup_generalILi128ELi1ELi8EEvPfPK15HIP_vector_typeIfLj2EEiiiiS1_IjLj3EES5_S5_S5_
                                        ; -- End function
	.set _ZL33flash_attn_stream_k_fixup_generalILi128ELi1ELi8EEvPfPK15HIP_vector_typeIfLj2EEiiiiS1_IjLj3EES5_S5_S5_.num_vgpr, 12
	.set _ZL33flash_attn_stream_k_fixup_generalILi128ELi1ELi8EEvPfPK15HIP_vector_typeIfLj2EEiiiiS1_IjLj3EES5_S5_S5_.num_agpr, 0
	.set _ZL33flash_attn_stream_k_fixup_generalILi128ELi1ELi8EEvPfPK15HIP_vector_typeIfLj2EEiiiiS1_IjLj3EES5_S5_S5_.numbered_sgpr, 46
	.set _ZL33flash_attn_stream_k_fixup_generalILi128ELi1ELi8EEvPfPK15HIP_vector_typeIfLj2EEiiiiS1_IjLj3EES5_S5_S5_.num_named_barrier, 0
	.set _ZL33flash_attn_stream_k_fixup_generalILi128ELi1ELi8EEvPfPK15HIP_vector_typeIfLj2EEiiiiS1_IjLj3EES5_S5_S5_.private_seg_size, 0
	.set _ZL33flash_attn_stream_k_fixup_generalILi128ELi1ELi8EEvPfPK15HIP_vector_typeIfLj2EEiiiiS1_IjLj3EES5_S5_S5_.uses_vcc, 1
	.set _ZL33flash_attn_stream_k_fixup_generalILi128ELi1ELi8EEvPfPK15HIP_vector_typeIfLj2EEiiiiS1_IjLj3EES5_S5_S5_.uses_flat_scratch, 0
	.set _ZL33flash_attn_stream_k_fixup_generalILi128ELi1ELi8EEvPfPK15HIP_vector_typeIfLj2EEiiiiS1_IjLj3EES5_S5_S5_.has_dyn_sized_stack, 0
	.set _ZL33flash_attn_stream_k_fixup_generalILi128ELi1ELi8EEvPfPK15HIP_vector_typeIfLj2EEiiiiS1_IjLj3EES5_S5_S5_.has_recursion, 0
	.set _ZL33flash_attn_stream_k_fixup_generalILi128ELi1ELi8EEvPfPK15HIP_vector_typeIfLj2EEiiiiS1_IjLj3EES5_S5_S5_.has_indirect_call, 0
	.section	.AMDGPU.csdata,"",@progbits
; Kernel info:
; codeLenInByte = 3328
; TotalNumSgprs: 48
; NumVgprs: 12
; ScratchSize: 0
; MemoryBound: 0
; FloatMode: 240
; IeeeMode: 1
; LDSByteSize: 0 bytes/workgroup (compile time only)
; SGPRBlocks: 0
; VGPRBlocks: 0
; NumSGPRsForWavesPerEU: 48
; NumVGPRsForWavesPerEU: 12
; NamedBarCnt: 0
; Occupancy: 16
; WaveLimiterHint : 0
; COMPUTE_PGM_RSRC2:SCRATCH_EN: 0
; COMPUTE_PGM_RSRC2:USER_SGPR: 2
; COMPUTE_PGM_RSRC2:TRAP_HANDLER: 0
; COMPUTE_PGM_RSRC2:TGID_X_EN: 1
; COMPUTE_PGM_RSRC2:TGID_Y_EN: 1
; COMPUTE_PGM_RSRC2:TGID_Z_EN: 1
; COMPUTE_PGM_RSRC2:TIDIG_COMP_CNT: 0
	.section	.text._ZL15flash_attn_tileILi128ELi128ELi16ELi4ELb0EEvPKcS1_S1_S1_S1_PKiPfP15HIP_vector_typeIfLj2EEffffjfiS5_IjLj3EEiiiiiiiiiiiliiliiiiil,"axG",@progbits,_ZL15flash_attn_tileILi128ELi128ELi16ELi4ELb0EEvPKcS1_S1_S1_S1_PKiPfP15HIP_vector_typeIfLj2EEffffjfiS5_IjLj3EEiiiiiiiiiiiliiliiiiil,comdat
	.globl	_ZL15flash_attn_tileILi128ELi128ELi16ELi4ELb0EEvPKcS1_S1_S1_S1_PKiPfP15HIP_vector_typeIfLj2EEffffjfiS5_IjLj3EEiiiiiiiiiiiliiliiiiil ; -- Begin function _ZL15flash_attn_tileILi128ELi128ELi16ELi4ELb0EEvPKcS1_S1_S1_S1_PKiPfP15HIP_vector_typeIfLj2EEffffjfiS5_IjLj3EEiiiiiiiiiiiliiliiiiil
	.p2align	8
	.type	_ZL15flash_attn_tileILi128ELi128ELi16ELi4ELb0EEvPKcS1_S1_S1_S1_PKiPfP15HIP_vector_typeIfLj2EEffffjfiS5_IjLj3EEiiiiiiiiiiiliiliiiiil,@function
_ZL15flash_attn_tileILi128ELi128ELi16ELi4ELb0EEvPKcS1_S1_S1_S1_PKiPfP15HIP_vector_typeIfLj2EEffffjfiS5_IjLj3EEiiiiiiiiiiiliiliiiiil: ; @_ZL15flash_attn_tileILi128ELi128ELi16ELi4ELb0EEvPKcS1_S1_S1_S1_PKiPfP15HIP_vector_typeIfLj2EEffffjfiS5_IjLj3EEiiiiiiiiiiiliiliiiiil
; %bb.0:
	s_clause 0x1
	s_load_b128 s[28:31], s[0:1], 0x5c
	s_load_b64 s[38:39], s[0:1], 0x80
	s_bfe_u32 s5, ttmp6, 0x40014
	s_lshr_b32 s4, ttmp7, 16
	s_add_co_i32 s5, s5, 1
	s_bfe_u32 s6, ttmp6, 0x40008
	s_mul_i32 s5, s4, s5
	s_getreg_b32 s7, hwreg(HW_REG_IB_STS2, 6, 4)
	s_add_co_i32 s6, s6, s5
	s_load_b512 s[12:27], s[0:1], 0x0
	s_mov_b64 s[40:41], 0
	s_wait_kmcnt 0x0
	s_ashr_i32 s2, s31, 31
	s_delay_alu instid0(SALU_CYCLE_1) | instskip(NEXT) | instid1(SALU_CYCLE_1)
	s_lshr_b32 s2, s2, 30
	s_add_co_i32 s2, s31, s2
	s_delay_alu instid0(SALU_CYCLE_1) | instskip(NEXT) | instid1(SALU_CYCLE_1)
	s_ashr_i32 s2, s2, 2
	s_cvt_f32_u32 s3, s2
	s_sub_co_i32 s8, 0, s2
	s_delay_alu instid0(SALU_CYCLE_2) | instskip(SKIP_1) | instid1(TRANS32_DEP_1)
	v_rcp_iflag_f32_e32 v1, s3
	v_nop
	v_readfirstlane_b32 s3, v1
	s_mul_f32 s3, s3, 0x4f7ffffe
	s_delay_alu instid0(SALU_CYCLE_3) | instskip(NEXT) | instid1(SALU_CYCLE_3)
	s_cvt_u32_f32 s3, s3
	s_mul_i32 s8, s8, s3
	s_delay_alu instid0(SALU_CYCLE_1) | instskip(NEXT) | instid1(SALU_CYCLE_1)
	s_mul_hi_u32 s8, s3, s8
	s_add_co_i32 s3, s3, s8
	s_cmp_eq_u32 s7, 0
	s_cselect_b32 s4, s4, s6
	s_delay_alu instid0(SALU_CYCLE_1) | instskip(NEXT) | instid1(SALU_CYCLE_1)
	s_mul_hi_u32 s3, s4, s3
	s_mul_i32 s5, s3, s2
	s_add_co_i32 s6, s3, 1
	s_sub_co_i32 s5, s4, s5
	s_delay_alu instid0(SALU_CYCLE_1)
	s_sub_co_i32 s8, s5, s2
	s_cmp_ge_u32 s5, s2
	s_cselect_b32 s3, s6, s3
	s_cselect_b32 s5, s8, s5
	s_add_co_i32 s6, s3, 1
	s_cmp_ge_u32 s5, s2
	s_cselect_b32 s36, s6, s3
	s_abs_i32 s2, s39
	s_abs_i32 s8, s31
	s_cvt_f32_u32 s3, s2
	s_sub_co_i32 s5, 0, s2
	s_lshl_b32 s4, s4, 2
	s_mul_i32 s6, s36, s31
	v_rcp_iflag_f32_e32 v1, s3
	s_sub_co_i32 s34, s4, s6
	s_xor_b32 s4, s31, s39
	s_delay_alu instid0(SALU_CYCLE_1) | instskip(SKIP_1) | instid1(TRANS32_DEP_1)
	s_ashr_i32 s4, s4, 31
	v_nop
	v_readfirstlane_b32 s3, v1
	s_mul_f32 s3, s3, 0x4f7ffffe
	s_delay_alu instid0(SALU_CYCLE_3) | instskip(NEXT) | instid1(SALU_CYCLE_3)
	s_cvt_u32_f32 s3, s3
	s_mul_i32 s5, s5, s3
	s_delay_alu instid0(SALU_CYCLE_1) | instskip(NEXT) | instid1(SALU_CYCLE_1)
	s_mul_hi_u32 s5, s3, s5
	s_add_co_i32 s3, s3, s5
	s_delay_alu instid0(SALU_CYCLE_1) | instskip(NEXT) | instid1(SALU_CYCLE_1)
	s_mul_hi_u32 s3, s8, s3
	s_mul_i32 s5, s3, s2
	s_add_co_i32 s6, s3, 1
	s_sub_co_i32 s5, s8, s5
	s_delay_alu instid0(SALU_CYCLE_1)
	s_sub_co_i32 s8, s5, s2
	s_cmp_ge_u32 s5, s2
	s_cselect_b32 s3, s6, s3
	s_cselect_b32 s5, s8, s5
	s_add_co_i32 s6, s3, 1
	s_cmp_ge_u32 s5, s2
	s_load_b64 s[8:9], s[0:1], 0xb8
	s_cselect_b32 s2, s6, s3
	s_mov_b32 s3, 0
	s_xor_b32 s2, s2, s4
	s_delay_alu instid0(SALU_CYCLE_1) | instskip(NEXT) | instid1(SALU_CYCLE_1)
	s_sub_co_i32 s11, s2, s4
	s_abs_i32 s10, s11
	s_cmp_eq_u64 s[18:19], 0
	s_cvt_f32_u32 s2, s10
	s_delay_alu instid0(SALU_CYCLE_3) | instskip(SKIP_1) | instid1(TRANS32_DEP_1)
	v_rcp_iflag_f32_e32 v1, s2
	v_nop
	v_readfirstlane_b32 s2, v1
	s_cbranch_scc1 .LBB17_2
; %bb.1:
	s_wait_kmcnt 0x0
	s_abs_i32 s6, s8
	s_abs_i32 s8, s36
	s_cvt_f32_u32 s4, s6
	s_sub_co_i32 s5, 0, s6
	s_delay_alu instid0(SALU_CYCLE_2) | instskip(SKIP_1) | instid1(TRANS32_DEP_1)
	v_rcp_iflag_f32_e32 v1, s4
	v_nop
	v_readfirstlane_b32 s4, v1
	s_mul_f32 s4, s4, 0x4f7ffffe
	s_delay_alu instid0(SALU_CYCLE_3) | instskip(NEXT) | instid1(SALU_CYCLE_3)
	s_cvt_u32_f32 s4, s4
	s_mul_i32 s5, s5, s4
	s_delay_alu instid0(SALU_CYCLE_1) | instskip(NEXT) | instid1(SALU_CYCLE_1)
	s_mul_hi_u32 s5, s4, s5
	s_add_co_i32 s4, s4, s5
	s_delay_alu instid0(SALU_CYCLE_1) | instskip(SKIP_2) | instid1(SALU_CYCLE_1)
	s_mul_hi_u32 s33, s8, s4
	s_load_b64 s[4:5], s[0:1], 0xc8
	s_mul_i32 s33, s33, s6
	s_sub_co_i32 s8, s8, s33
	s_ashr_i32 s33, s36, 31
	s_sub_co_i32 s35, s8, s6
	s_cmp_ge_u32 s8, s6
	s_cselect_b32 s8, s35, s8
	s_delay_alu instid0(SALU_CYCLE_1) | instskip(SKIP_2) | instid1(SALU_CYCLE_1)
	s_sub_co_i32 s35, s8, s6
	s_cmp_ge_u32 s8, s6
	s_cselect_b32 s6, s35, s8
	s_xor_b32 s6, s6, s33
	s_delay_alu instid0(SALU_CYCLE_1) | instskip(NEXT) | instid1(SALU_CYCLE_1)
	s_sub_co_i32 s40, s6, s33
	s_ashr_i32 s41, s40, 31
	s_wait_kmcnt 0x0
	s_mul_u64 s[4:5], s[4:5], s[40:41]
	s_delay_alu instid0(SALU_CYCLE_1)
	s_add_nc_u64 s[40:41], s[18:19], s[4:5]
.LBB17_2:
	v_bfe_u32 v1, v0, 10, 10
	s_bfe_u32 s4, ttmp6, 0x4000c
	s_and_b32 s5, ttmp6, 15
	s_add_co_i32 s4, s4, 1
	v_and_b32_e32 v79, 0x3ff, v0
	v_lshlrev_b32_e32 v2, 3, v1
	s_mul_i32 s4, ttmp9, s4
	s_load_b32 s33, s[0:1], 0x40
	s_wait_kmcnt 0x0
	s_add_co_i32 s8, s5, s4
	s_cmp_eq_u32 s7, 0
	v_or_b32_e32 v42, 4, v2
	s_cselect_b32 s8, ttmp9, s8
	s_load_b96 s[4:6], s[0:1], 0x70
	s_lshl_b32 s39, s8, 4
	s_delay_alu instid0(VALU_DEP_1) | instskip(SKIP_3) | instid1(VALU_DEP_3)
	v_dual_lshlrev_b32 v77, 1, v1 :: v_dual_lshrrev_b32 v73, 2, v42
	v_or_b32_e32 v43, 5, v2
	v_or_b32_e32 v44, 6, v2
	v_dual_mov_b32 v3, 0 :: v_dual_bitop2_b32 v45, 7, v2 bitop3:0x54
	v_dual_add_nc_u32 v75, s39, v73 :: v_dual_lshrrev_b32 v72, 2, v43
	s_delay_alu instid0(VALU_DEP_2) | instskip(SKIP_1) | instid1(VALU_DEP_3)
	v_dual_lshrrev_b32 v70, 2, v44 :: v_dual_lshrrev_b32 v68, 2, v45
	v_add_nc_u32_e32 v78, s39, v77
	v_mul_hi_u32 v2, v75, s28
	s_delay_alu instid0(VALU_DEP_3) | instskip(NEXT) | instid1(VALU_DEP_4)
	v_dual_add_nc_u32 v74, s39, v72 :: v_dual_add_nc_u32 v71, s39, v70
	v_add_nc_u32_e32 v69, s39, v68
	s_delay_alu instid0(VALU_DEP_4) | instskip(SKIP_1) | instid1(VALU_DEP_4)
	v_mul_hi_u32 v6, v78, s28
	v_lshlrev_b32_e32 v0, 3, v79
	v_mul_hi_u32 v4, v74, s28
	v_mul_hi_u32 v7, v71, s28
	;; [unrolled: 1-line block ×3, first 2 shown]
	s_wait_kmcnt 0x0
	s_mul_i32 s18, s34, s5
	s_ashr_i32 s43, s5, 31
	v_add_nc_u32_e32 v2, v75, v2
	s_mov_b32 s42, s5
	s_ashr_i32 s5, s4, 31
	s_ashr_i32 s19, s18, 31
	v_add_nc_u32_e32 v6, v78, v6
	s_lshr_b64 s[4:5], s[4:5], 2
	v_dual_mov_b32 v5, v3 :: v_dual_add_nc_u32 v4, v74, v4
	v_dual_lshrrev_b32 v2, s29, v2 :: v_dual_add_nc_u32 v7, v71, v7
	s_delay_alu instid0(VALU_DEP_3) | instskip(NEXT) | instid1(VALU_DEP_3)
	v_dual_add_nc_u32 v8, v69, v8 :: v_dual_lshrrev_b32 v6, s29, v6
	v_lshrrev_b32_e32 v4, s29, v4
	s_delay_alu instid0(VALU_DEP_3) | instskip(NEXT) | instid1(VALU_DEP_4)
	v_mul_lo_u32 v2, v2, s30
	v_lshrrev_b32_e32 v7, s29, v7
	s_lshr_b64 s[44:45], s[42:43], 2
	v_mul_lo_u32 v10, v6, s30
	v_mul_lo_u32 v9, v4, s30
	v_lshrrev_b32_e32 v4, s29, v8
	v_mul_lo_u32 v11, v7, s30
	v_mov_b32_e32 v7, v3
	s_delay_alu instid0(VALU_DEP_3) | instskip(SKIP_3) | instid1(VALU_DEP_3)
	v_mul_lo_u32 v12, v4, s30
	v_sub_nc_u32_e32 v4, v75, v2
	v_sub_nc_u32_e32 v2, v78, v10
	;; [unrolled: 1-line block ×3, first 2 shown]
	v_mul_u64_e32 v[8:9], s[4:5], v[4:5]
	v_sub_nc_u32_e32 v4, v71, v11
	v_mov_b32_e32 v11, v3
	s_delay_alu instid0(VALU_DEP_4) | instskip(SKIP_4) | instid1(VALU_DEP_4)
	v_mul_u64_e32 v[6:7], s[4:5], v[6:7]
	v_sub_nc_u32_e32 v10, v69, v12
	v_mul_u64_e32 v[12:13], s[4:5], v[2:3]
	v_mul_u64_e32 v[14:15], s[4:5], v[4:5]
	v_lshlrev_b32_e32 v4, 4, v79
	v_mul_u64_e32 v[10:11], s[4:5], v[10:11]
	s_mul_i32 s4, s36, s6
	s_delay_alu instid0(SALU_CYCLE_1) | instskip(NEXT) | instid1(SALU_CYCLE_1)
	s_ashr_i32 s5, s4, 31
	s_add_nc_u64 s[4:5], s[12:13], s[4:5]
	s_and_b64 s[12:13], s[42:43], -4
	s_add_nc_u64 s[4:5], s[4:5], s[18:19]
	s_lshl_b64 s[18:19], s[44:45], 3
	s_mul_u64 s[42:43], s[44:45], 12
	s_add_nc_u64 s[12:13], s[4:5], s[12:13]
	s_add_nc_u64 s[18:19], s[4:5], s[18:19]
	;; [unrolled: 1-line block ×3, first 2 shown]
	s_cmp_eq_u64 s[22:23], 0
	v_lshl_add_u64 v[8:9], v[8:9], 2, s[4:5]
	v_lshl_add_u64 v[6:7], v[6:7], 2, s[12:13]
	s_delay_alu instid0(VALU_DEP_2) | instskip(SKIP_2) | instid1(VALU_DEP_4)
	v_add_nc_u64_e32 v[8:9], v[8:9], v[4:5]
	v_lshlrev_b64_e32 v[22:23], 2, v[12:13]
	v_lshl_add_u64 v[12:13], v[14:15], 2, s[18:19]
	v_add_nc_u64_e32 v[14:15], v[6:7], v[4:5]
	v_lshl_add_u64 v[16:17], v[10:11], 2, s[42:43]
	s_delay_alu instid0(VALU_DEP_3)
	v_add_nc_u64_e32 v[18:19], v[12:13], v[4:5]
	v_add_nc_u64_e32 v[20:21], s[4:5], v[22:23]
	;; [unrolled: 1-line block ×6, first 2 shown]
	s_clause 0x1
	global_load_b128 v[6:9], v[8:9], off
	global_load_b128 v[10:13], v[14:15], off
	v_add_nc_u64_e32 v[28:29], v[20:21], v[4:5]
	v_add_nc_u64_e32 v[26:27], v[26:27], v[4:5]
	;; [unrolled: 1-line block ×4, first 2 shown]
	s_clause 0x1
	global_load_b128 v[14:17], v[18:19], off
	global_load_b128 v[18:21], v[24:25], off
	v_lshl_add_u32 v5, v42, 8, v0
	s_clause 0x3
	global_load_b128 v[22:25], v[28:29], off
	global_load_b128 v[26:29], v[26:27], off
	;; [unrolled: 1-line block ×4, first 2 shown]
	s_wait_xcnt 0x1
	v_lshl_add_u32 v38, v43, 8, v0
	v_lshl_add_u32 v39, v44, 8, v0
	s_wait_xcnt 0x0
	v_lshl_add_u32 v40, v45, 8, v0
	s_wait_loadcnt 0x7
	v_fma_mixlo_f16 v6, s33, v6, 0
	v_fma_mixlo_f16 v7, s33, v7, 0
	v_lshlrev_b32_e32 v80, 11, v1
	v_fma_mixlo_f16 v8, s33, v8, 0
	v_fma_mixlo_f16 v9, s33, v9, 0
	s_wait_loadcnt 0x6
	v_fma_mixlo_f16 v10, s33, v10, 0
	v_fma_mixlo_f16 v11, s33, v11, 0
	s_wait_loadcnt 0x5
	v_fma_mixlo_f16 v14, s33, v14, 0
	v_fma_mixlo_f16 v15, s33, v15, 0
	v_fma_mixlo_f16 v12, s33, v12, 0
	v_fma_mixlo_f16 v13, s33, v13, 0
	s_wait_loadcnt 0x4
	v_fma_mixlo_f16 v18, s33, v18, 0
	v_fma_mixlo_f16 v19, s33, v19, 0
	v_fma_mixlo_f16 v16, s33, v16, 0
	v_fma_mixlo_f16 v17, s33, v17, 0
	s_wait_loadcnt 0x3
	v_fma_mixlo_f16 v22, s33, v22, 0
	v_fma_mixlo_f16 v23, s33, v23, 0
	s_wait_loadcnt 0x2
	v_fma_mixlo_f16 v26, s33, v26, 0
	v_fma_mixlo_f16 v27, s33, v27, 0
	;; [unrolled: 1-line block ×4, first 2 shown]
	s_wait_loadcnt 0x1
	v_fma_mixlo_f16 v30, s33, v30, 0
	v_fma_mixlo_f16 v31, s33, v31, 0
	s_wait_loadcnt 0x0
	v_fma_mixlo_f16 v34, s33, v34, 0
	v_fma_mixlo_f16 v35, s33, v35, 0
	v_lshlrev_b32_e32 v7, 16, v7
	v_and_b32_e32 v6, 0xffff, v6
	v_dual_add_nc_u32 v3, v0, v80 :: v_dual_lshlrev_b32 v9, 16, v9
	v_and_b32_e32 v8, 0xffff, v8
	v_dual_lshlrev_b32 v11, 16, v11 :: v_dual_lshlrev_b32 v13, 16, v13
	v_and_b32_e32 v10, 0xffff, v10
	v_dual_lshlrev_b32 v15, 16, v15 :: v_dual_lshlrev_b32 v17, 16, v17
	v_and_b32_e32 v14, 0xffff, v14
	v_and_b32_e32 v12, 0xffff, v12
	v_dual_lshlrev_b32 v19, 16, v19 :: v_dual_lshlrev_b32 v21, 16, v21
	v_and_b32_e32 v18, 0xffff, v18
	v_fma_mixlo_f16 v24, s33, v24, 0
	v_fma_mixlo_f16 v25, s33, v25, 0
	;; [unrolled: 1-line block ×4, first 2 shown]
	v_and_b32_e32 v16, 0xffff, v16
	s_delay_alu instid0(VALU_DEP_4) | instskip(SKIP_1) | instid1(VALU_DEP_4)
	v_dual_lshlrev_b32 v23, 16, v23 :: v_dual_lshlrev_b32 v25, 16, v25
	v_and_b32_e32 v22, 0xffff, v22
	v_dual_lshlrev_b32 v27, 16, v27 :: v_dual_lshlrev_b32 v29, 16, v29
	v_and_b32_e32 v26, 0xffff, v26
	v_fma_mixlo_f16 v32, s33, v32, 0
	v_fma_mixlo_f16 v33, s33, v33, 0
	;; [unrolled: 1-line block ×4, first 2 shown]
	v_and_b32_e32 v20, 0xffff, v20
	s_delay_alu instid0(VALU_DEP_4) | instskip(SKIP_1) | instid1(VALU_DEP_4)
	v_dual_lshlrev_b32 v31, 16, v31 :: v_dual_lshlrev_b32 v33, 16, v33
	v_and_b32_e32 v30, 0xffff, v30
	v_dual_lshlrev_b32 v35, 16, v35 :: v_dual_lshlrev_b32 v37, 16, v37
	v_and_b32_e32 v34, 0xffff, v34
	v_or_b32_e32 v6, v7, v6
	v_or3_b32 v7, v9, v8, 0
	v_or_b32_e32 v8, v11, v10
	v_or_b32_e32 v10, v15, v14
	v_or3_b32 v9, v13, v12, 0
	v_or_b32_e32 v12, v19, v18
	v_and_b32_e32 v24, 0xffff, v24
	v_and_b32_e32 v28, 0xffff, v28
	v_or3_b32 v11, v17, v16, 0
	v_or_b32_e32 v14, v23, v22
	v_or_b32_e32 v16, v27, v26
	v_and_b32_e32 v32, 0xffff, v32
	v_and_b32_e32 v36, 0xffff, v36
	v_or3_b32 v13, v21, v20, 0
	v_or_b32_e32 v18, v31, v30
	v_or_b32_e32 v20, v35, v34
	v_or3_b32 v6, 0, 0, v6
	v_or3_b32 v8, 0, 0, v8
	;; [unrolled: 1-line block ×12, first 2 shown]
	ds_store_b64 v5, v[6:7]
	ds_store_b64 v38, v[8:9]
	;; [unrolled: 1-line block ×4, first 2 shown]
	ds_store_2addr_b64 v3, v[14:15], v[16:17] offset1:32
	ds_store_2addr_b64 v3, v[18:19], v[20:21] offset0:64 offset1:96
	s_wait_dscnt 0x0
	s_barrier_signal -1
	s_barrier_wait -1
	s_cbranch_scc1 .LBB17_4
; %bb.3:
	s_load_b32 s4, s[0:1], 0xd0
	s_wait_kmcnt 0x0
	s_mul_i32 s4, s4, s36
	s_delay_alu instid0(SALU_CYCLE_1)
	s_add_co_i32 s4, s4, s8
	s_load_b32 s38, s[22:23], s4 offset:0x0 scale_offset
.LBB17_4:
	s_wait_xcnt 0x0
	s_bfe_u32 s4, ttmp6, 0x40010
	s_and_b32 s5, ttmp7, 0xffff
	s_add_co_i32 s4, s4, 1
	s_bfe_u32 s6, ttmp6, 0x40004
	s_mul_i32 s4, s5, s4
	v_mbcnt_lo_u32_b32 v83, -1, 0
	s_add_co_i32 s6, s6, s4
	s_cmp_eq_u32 s7, 0
	s_mov_b32 s4, 0
	s_cselect_b32 s33, s5, s6
	s_delay_alu instid0(SALU_CYCLE_1)
	s_lshl_b32 s18, s33, 6
	s_wait_kmcnt 0x0
	s_cmp_lt_i32 s18, s38
	s_cbranch_scc1 .LBB17_7
; %bb.5:
	v_mbcnt_lo_u32_b32 v9, -1, 0
	s_delay_alu instid0(VALU_DEP_1)
	v_dual_mov_b32 v8, 32 :: v_dual_bitop2_b32 v86, 16, v9 bitop3:0x14
	v_xor_b32_e32 v85, 8, v9
	v_xor_b32_e32 v84, 4, v9
	;; [unrolled: 1-line block ×3, first 2 shown]
	v_dual_lshlrev_b32 v76, 2, v79 :: v_dual_bitop2_b32 v81, 1, v9 bitop3:0x14
	s_and_not1_b32 vcc_lo, exec_lo, s4
	s_cbranch_vccz .LBB17_8
; %bb.6:
	v_dual_mov_b32 v114, 0 :: v_dual_mov_b32 v41, 0
	v_dual_mov_b32 v7, 0xfeffffff :: v_dual_mov_b32 v6, 0xfeffffff
	;; [unrolled: 1-line block ×16, first 2 shown]
	s_branch .LBB17_11
.LBB17_7:
                                        ; implicit-def: $vgpr9
                                        ; implicit-def: $vgpr8
                                        ; implicit-def: $vgpr86
                                        ; implicit-def: $vgpr85
                                        ; implicit-def: $vgpr84
                                        ; implicit-def: $vgpr82
                                        ; implicit-def: $vgpr81
	v_lshlrev_b32_e32 v76, 2, v79
.LBB17_8:
	v_dual_mov_b32 v49, 0 :: v_dual_lshrrev_b32 v3, 3, v79
	v_add3_u32 v48, s39, v77, 1
	s_mov_b32 s42, s28
	s_mov_b32 s43, s3
	s_clause 0x1
	s_load_b128 s[4:7], s[0:1], 0x98
	s_load_b64 s[12:13], s[0:1], 0x8c
	s_mul_f32 s8, s2, 0x4f7ffffe
	v_mul_u64_e32 v[6:7], s[42:43], v[48:49]
	v_lshl_add_u32 v3, v1, 2, v3
	s_sub_co_i32 s19, 0, s10
	s_cvt_u32_f32 s8, s8
	v_and_b32_e32 v6, 28, v76
	s_abs_i32 s2, s34
	s_mov_b32 s23, s3
	s_mul_i32 s19, s19, s8
	s_ashr_i32 s35, s34, 31
	s_mul_hi_u32 s19, s8, s19
	s_ashr_i32 s11, s11, 31
	s_add_co_i32 s22, s8, s19
	s_ashr_i32 s19, s9, 1
	s_mul_u64 s[8:9], s[2:3], s[22:23]
	s_ashr_i32 s37, s36, 31
	s_mul_i32 s3, s9, s10
	v_mul_lo_u32 v90, v2, s19
	s_sub_co_i32 s8, s2, s3
	s_wait_kmcnt 0x0
	s_ashr_i32 s28, s12, 2
	s_load_b64 s[2:3], s[0:1], 0xa8
	v_mul_lo_u32 v50, s28, v3
	v_lshrrev_b32_e32 v8, 4, v79
	s_ashr_i32 s22, s6, 2
	s_xor_b32 s6, s35, s11
	s_add_co_i32 s11, s9, 1
	s_sub_co_i32 s12, s8, s10
	s_cmp_ge_u32 s8, s10
	s_mul_u64 s[4:5], s[4:5], s[36:37]
	s_cselect_b32 s9, s11, s9
	s_cselect_b32 s8, s12, s8
	s_add_co_i32 s11, s9, 1
	v_dual_ashrrev_i32 v51, 31, v50 :: v_dual_add_nc_u32 v5, v48, v7
	v_lshlrev_b32_e32 v7, 2, v6
	s_cmp_ge_u32 s8, s10
	v_lshl_add_u32 v52, s28, 5, v50
	s_cselect_b32 s8, s11, s9
	v_lshrrev_b32_e32 v5, s29, v5
	v_mad_u32_u24 v3, 0x90, v3, v7
	v_dual_add_nc_u32 v7, v8, v77 :: v_dual_bitop2_b32 v8, 60, v76 bitop3:0x40
	s_xor_b32 s8, s8, s6
	s_delay_alu instid0(VALU_DEP_3) | instskip(SKIP_1) | instid1(VALU_DEP_2)
	v_mul_lo_u32 v5, v5, s30
	s_sub_co_i32 s6, s8, s6
	v_mul_lo_u32 v10, s22, v7
	v_dual_mov_b32 v100, v49 :: v_dual_add_nc_u32 v87, 0x4000, v3
	v_lshlrev_b32_e32 v9, 2, v8
	v_dual_mov_b32 v57, v49 :: v_dual_add_nc_u32 v88, 0x5200, v3
	s_mul_i32 s8, s6, s13
	s_add_nc_u64 s[4:5], s[14:15], s[4:5]
	s_ashr_i32 s9, s8, 31
	v_dual_sub_nc_u32 v3, v48, v5 :: v_dual_ashrrev_i32 v53, 31, v52
	v_ashrrev_i32_e32 v11, 31, v10
	v_lshl_add_u32 v2, s22, 4, v10
	s_add_nc_u64 s[42:43], s[4:5], s[8:9]
	s_delay_alu instid0(VALU_DEP_3)
	v_mul_lo_u32 v91, v3, s19
	s_wait_kmcnt 0x0
	s_mul_u64 s[2:3], s[2:3], s[36:37]
	s_mul_i32 s4, s6, s7
	v_ashrrev_i32_e32 v3, 31, v2
	v_lshl_or_b32 v5, v7, 8, v9
	v_lshl_add_u32 v92, v1, 10, 0x6400
	v_or_b32_e32 v95, 0x4000, v0
	s_add_nc_u64 s[2:3], s[16:17], s[2:3]
	s_ashr_i32 s5, s4, 31
	v_mov_b32_e32 v0, 0xfeffffff
	s_add_nc_u64 s[44:45], s[2:3], s[4:5]
	s_movk_i32 s2, 0x4000
	v_lshlrev_b64_e32 v[54:55], 2, v[10:11]
	v_lshlrev_b64_e32 v[58:59], 2, v[2:3]
	v_mad_u32_u24 v89, 0x90, v79, s2
	v_dual_mov_b32 v102, v49 :: v_dual_add_nc_u32 v93, 0x4000, v5
	v_dual_mov_b32 v101, v49 :: v_dual_add_nc_u32 v94, 0x5000, v5
	v_dual_lshlrev_b32 v48, 2, v6 :: v_dual_bitop2_b32 v86, 16, v83 bitop3:0x14
	v_dual_add_nc_u32 v96, v92, v4 :: v_dual_bitop2_b32 v85, 8, v83 bitop3:0x14
	v_dual_lshlrev_b32 v56, 2, v8 :: v_dual_bitop2_b32 v84, 4, v83 bitop3:0x14
	v_dual_mov_b32 v103, v49 :: v_dual_bitop2_b32 v82, 2, v83 bitop3:0x14
	v_dual_mov_b32 v105, v49 :: v_dual_bitop2_b32 v81, 1, v83 bitop3:0x14
	v_dual_mov_b32 v104, v49 :: v_dual_add_nc_u32 v97, 0x800, v95
	v_dual_mov_b32 v107, v49 :: v_dual_add_nc_u32 v98, 0x1000, v95
	;; [unrolled: 1-line block ×3, first 2 shown]
	v_dual_mov_b32 v109, v49 :: v_dual_mov_b32 v108, v49
	v_dual_mov_b32 v1, 0xfeffffff :: v_dual_mov_b32 v2, 0xfeffffff
	;; [unrolled: 1-line block ×11, first 2 shown]
	v_mov_b32_e32 v114, v49
	s_ashr_i32 s29, s28, 31
	s_ashr_i32 s23, s22, 31
	s_add_nc_u64 s[46:47], s[0:1], 0xd0
.LBB17_9:                               ; =>This Inner Loop Header: Depth=1
	v_cmp_gt_i32_e32 vcc_lo, 32, v86
	v_dual_mov_b32 v116, v0 :: v_dual_mov_b32 v117, v1
	v_dual_add_nc_u32 v0, s18, v79 :: v_dual_mov_b32 v118, v2
	v_mov_b32_e32 v119, v3
	v_cndmask_b32_e32 v1, v83, v86, vcc_lo
	v_cmp_gt_i32_e32 vcc_lo, 32, v85
	s_ashr_i32 s19, s18, 31
	v_dual_mov_b32 v120, v4 :: v_dual_mov_b32 v121, v5
	s_mul_u64 s[2:3], s[18:19], s[28:29]
	v_cndmask_b32_e32 v2, v83, v85, vcc_lo
	v_cmp_gt_i32_e32 vcc_lo, 32, v84
	s_lshl_b64 s[2:3], s[2:3], 2
	s_mul_u64 s[4:5], s[18:19], s[22:23]
	s_add_nc_u64 s[2:3], s[42:43], s[2:3]
	v_dual_add_nc_u32 v8, v0, v90 :: v_dual_add_nc_u32 v9, v0, v91
	v_cndmask_b32_e32 v3, v83, v84, vcc_lo
	v_cmp_gt_i32_e32 vcc_lo, 32, v82
	v_dual_lshlrev_b32 v20, 2, v1 :: v_dual_lshlrev_b32 v19, 2, v2
	v_lshl_add_u64 v[0:1], v[50:51], 2, s[2:3]
	s_lshl_b64 s[4:5], s[4:5], 2
	v_cndmask_b32_e32 v4, v83, v82, vcc_lo
	v_cmp_gt_i32_e32 vcc_lo, 32, v81
	s_add_nc_u64 s[4:5], s[44:45], s[4:5]
	v_dual_mov_b32 v122, v6 :: v_dual_mov_b32 v123, v7
	v_add_nc_u64_e32 v[10:11], s[4:5], v[54:55]
	v_dual_cndmask_b32 v5, v83, v81 :: v_dual_lshlrev_b32 v18, 2, v3
	v_lshlrev_b32_e32 v17, 2, v4
	v_lshl_add_u64 v[2:3], v[52:53], 2, s[2:3]
	v_add_nc_u64_e32 v[12:13], s[4:5], v[58:59]
	s_delay_alu instid0(VALU_DEP_4)
	v_lshlrev_b32_e32 v16, 2, v5
	v_add_nc_u64_e32 v[4:5], v[0:1], v[48:49]
	v_add_nc_u64_e32 v[0:1], v[10:11], v[56:57]
	;; [unrolled: 1-line block ×3, first 2 shown]
	v_dual_mov_b32 v21, 0 :: v_dual_mov_b32 v22, 0
	v_add_nc_u64_e32 v[2:3], v[12:13], v[56:57]
	s_clause 0x1
	global_load_b128 v[10:13], v[4:5], off
	global_load_b128 v[60:63], v[6:7], off
	v_dual_mov_b32 v23, 0 :: v_dual_mov_b32 v24, 0
	v_dual_mov_b32 v25, 0 :: v_dual_mov_b32 v26, 0
	;; [unrolled: 1-line block ×7, first 2 shown]
	s_wait_loadcnt 0x1
	ds_store_b128 v87, v[10:13]
	s_wait_loadcnt 0x0
	ds_store_b128 v88, v[60:63]
	s_wait_dscnt 0x0
	s_barrier_signal -1
	s_barrier_wait -1
	ds_load_b128 v[10:13], v89
	ds_load_b128 v[60:63], v80
	ds_load_b128 v[64:67], v80 offset:256
	ds_load_b128 v[124:127], v80 offset:512
	ds_load_b128 v[128:131], v80 offset:768
	ds_load_b128 v[132:135], v89 offset:4608
	ds_load_b128 v[136:139], v80 offset:1024
	ds_load_b128 v[140:143], v80 offset:1280
	ds_load_b128 v[144:147], v80 offset:1536
	ds_load_b128 v[148:151], v80 offset:1792
	s_wait_dscnt 0x8
	;;#ASMSTART
	v_dot2_f32_f16 v21, v10, v60, v21
	;;#ASMEND
	;;#ASMSTART
	v_dot2_f32_f16 v21, v11, v61, v21
	;;#ASMEND
	;;#ASMSTART
	v_dot2_f32_f16 v21, v12, v62, v21
	;;#ASMEND
	;;#ASMSTART
	v_dot2_f32_f16 v21, v13, v63, v21
	;;#ASMEND
	s_wait_dscnt 0x7
	;;#ASMSTART
	v_dot2_f32_f16 v22, v10, v64, v22
	;;#ASMEND
	;;#ASMSTART
	v_dot2_f32_f16 v22, v11, v65, v22
	;;#ASMEND
	;;#ASMSTART
	v_dot2_f32_f16 v22, v12, v66, v22
	;;#ASMEND
	;;#ASMSTART
	v_dot2_f32_f16 v22, v13, v67, v22
	;;#ASMEND
	;; [unrolled: 13-line block ×8, first 2 shown]
	;;#ASMSTART
	v_dot2_f32_f16 v35, v132, v60, v35
	;;#ASMEND
	;;#ASMSTART
	v_dot2_f32_f16 v35, v133, v61, v35
	;;#ASMEND
	;; [unrolled: 3-line block ×32, first 2 shown]
	ds_load_b128 v[10:13], v89 offset:16
	ds_load_b128 v[60:63], v80 offset:16
	ds_load_b128 v[64:67], v80 offset:272
	ds_load_b128 v[124:127], v80 offset:528
	ds_load_b128 v[128:131], v80 offset:784
	ds_load_b128 v[132:135], v89 offset:4624
	ds_load_b128 v[136:139], v80 offset:1040
	ds_load_b128 v[140:143], v80 offset:1296
	ds_load_b128 v[144:147], v80 offset:1552
	ds_load_b128 v[148:151], v80 offset:1808
	s_wait_dscnt 0x8
	;;#ASMSTART
	v_dot2_f32_f16 v21, v10, v60, v21
	;;#ASMEND
	;;#ASMSTART
	v_dot2_f32_f16 v21, v11, v61, v21
	;;#ASMEND
	;;#ASMSTART
	v_dot2_f32_f16 v21, v12, v62, v21
	;;#ASMEND
	;;#ASMSTART
	v_dot2_f32_f16 v21, v13, v63, v21
	;;#ASMEND
	s_wait_dscnt 0x7
	;;#ASMSTART
	v_dot2_f32_f16 v22, v10, v64, v22
	;;#ASMEND
	;;#ASMSTART
	v_dot2_f32_f16 v22, v11, v65, v22
	;;#ASMEND
	;;#ASMSTART
	v_dot2_f32_f16 v22, v12, v66, v22
	;;#ASMEND
	;;#ASMSTART
	v_dot2_f32_f16 v22, v13, v67, v22
	;;#ASMEND
	s_wait_dscnt 0x6
	;;#ASMSTART
	v_dot2_f32_f16 v23, v10, v124, v23
	;;#ASMEND
	;;#ASMSTART
	v_dot2_f32_f16 v23, v11, v125, v23
	;;#ASMEND
	;;#ASMSTART
	v_dot2_f32_f16 v23, v12, v126, v23
	;;#ASMEND
	;;#ASMSTART
	v_dot2_f32_f16 v23, v13, v127, v23
	;;#ASMEND
	s_wait_dscnt 0x5
	;;#ASMSTART
	v_dot2_f32_f16 v24, v10, v128, v24
	;;#ASMEND
	;;#ASMSTART
	v_dot2_f32_f16 v24, v11, v129, v24
	;;#ASMEND
	;;#ASMSTART
	v_dot2_f32_f16 v24, v12, v130, v24
	;;#ASMEND
	;;#ASMSTART
	v_dot2_f32_f16 v24, v13, v131, v24
	;;#ASMEND
	s_wait_dscnt 0x3
	;;#ASMSTART
	v_dot2_f32_f16 v25, v10, v136, v25
	;;#ASMEND
	;;#ASMSTART
	v_dot2_f32_f16 v25, v11, v137, v25
	;;#ASMEND
	;;#ASMSTART
	v_dot2_f32_f16 v25, v12, v138, v25
	;;#ASMEND
	;;#ASMSTART
	v_dot2_f32_f16 v25, v13, v139, v25
	;;#ASMEND
	s_wait_dscnt 0x2
	;;#ASMSTART
	v_dot2_f32_f16 v26, v10, v140, v26
	;;#ASMEND
	;;#ASMSTART
	v_dot2_f32_f16 v26, v11, v141, v26
	;;#ASMEND
	;;#ASMSTART
	v_dot2_f32_f16 v26, v12, v142, v26
	;;#ASMEND
	;;#ASMSTART
	v_dot2_f32_f16 v26, v13, v143, v26
	;;#ASMEND
	s_wait_dscnt 0x1
	;;#ASMSTART
	v_dot2_f32_f16 v27, v10, v144, v27
	;;#ASMEND
	;;#ASMSTART
	v_dot2_f32_f16 v27, v11, v145, v27
	;;#ASMEND
	;;#ASMSTART
	v_dot2_f32_f16 v27, v12, v146, v27
	;;#ASMEND
	;;#ASMSTART
	v_dot2_f32_f16 v27, v13, v147, v27
	;;#ASMEND
	s_wait_dscnt 0x0
	;;#ASMSTART
	v_dot2_f32_f16 v28, v10, v148, v28
	;;#ASMEND
	;;#ASMSTART
	v_dot2_f32_f16 v28, v11, v149, v28
	;;#ASMEND
	;;#ASMSTART
	v_dot2_f32_f16 v28, v12, v150, v28
	;;#ASMEND
	;;#ASMSTART
	v_dot2_f32_f16 v28, v13, v151, v28
	;;#ASMEND
	;;#ASMSTART
	v_dot2_f32_f16 v35, v132, v60, v35
	;;#ASMEND
	;;#ASMSTART
	v_dot2_f32_f16 v35, v133, v61, v35
	;;#ASMEND
	;; [unrolled: 3-line block ×32, first 2 shown]
	ds_load_b128 v[10:13], v89 offset:32
	ds_load_b128 v[60:63], v80 offset:32
	;; [unrolled: 1-line block ×10, first 2 shown]
	s_wait_dscnt 0x8
	;;#ASMSTART
	v_dot2_f32_f16 v21, v10, v60, v21
	;;#ASMEND
	;;#ASMSTART
	v_dot2_f32_f16 v21, v11, v61, v21
	;;#ASMEND
	;;#ASMSTART
	v_dot2_f32_f16 v21, v12, v62, v21
	;;#ASMEND
	;;#ASMSTART
	v_dot2_f32_f16 v21, v13, v63, v21
	;;#ASMEND
	s_wait_dscnt 0x7
	;;#ASMSTART
	v_dot2_f32_f16 v22, v10, v64, v22
	;;#ASMEND
	;;#ASMSTART
	v_dot2_f32_f16 v22, v11, v65, v22
	;;#ASMEND
	;;#ASMSTART
	v_dot2_f32_f16 v22, v12, v66, v22
	;;#ASMEND
	;;#ASMSTART
	v_dot2_f32_f16 v22, v13, v67, v22
	;;#ASMEND
	;; [unrolled: 13-line block ×8, first 2 shown]
	;;#ASMSTART
	v_dot2_f32_f16 v35, v132, v60, v35
	;;#ASMEND
	;;#ASMSTART
	v_dot2_f32_f16 v35, v133, v61, v35
	;;#ASMEND
	;; [unrolled: 3-line block ×32, first 2 shown]
	ds_load_b128 v[10:13], v89 offset:48
	ds_load_b128 v[60:63], v80 offset:48
	;; [unrolled: 1-line block ×10, first 2 shown]
	s_wait_dscnt 0x8
	;;#ASMSTART
	v_dot2_f32_f16 v21, v10, v60, v21
	;;#ASMEND
	;;#ASMSTART
	v_dot2_f32_f16 v21, v11, v61, v21
	;;#ASMEND
	;;#ASMSTART
	v_dot2_f32_f16 v21, v12, v62, v21
	;;#ASMEND
	;;#ASMSTART
	v_dot2_f32_f16 v21, v13, v63, v21
	;;#ASMEND
	s_wait_dscnt 0x7
	;;#ASMSTART
	v_dot2_f32_f16 v22, v10, v64, v22
	;;#ASMEND
	;;#ASMSTART
	v_dot2_f32_f16 v22, v11, v65, v22
	;;#ASMEND
	;;#ASMSTART
	v_dot2_f32_f16 v22, v12, v66, v22
	;;#ASMEND
	;;#ASMSTART
	v_dot2_f32_f16 v22, v13, v67, v22
	;;#ASMEND
	;; [unrolled: 13-line block ×8, first 2 shown]
	;;#ASMSTART
	v_dot2_f32_f16 v35, v132, v60, v35
	;;#ASMEND
	;;#ASMSTART
	v_dot2_f32_f16 v35, v133, v61, v35
	;;#ASMEND
	;; [unrolled: 3-line block ×32, first 2 shown]
	ds_load_b128 v[10:13], v89 offset:64
	ds_load_b128 v[60:63], v80 offset:64
	;; [unrolled: 1-line block ×10, first 2 shown]
	s_wait_dscnt 0x8
	;;#ASMSTART
	v_dot2_f32_f16 v21, v10, v60, v21
	;;#ASMEND
	;;#ASMSTART
	v_dot2_f32_f16 v21, v11, v61, v21
	;;#ASMEND
	;;#ASMSTART
	v_dot2_f32_f16 v21, v12, v62, v21
	;;#ASMEND
	;;#ASMSTART
	v_dot2_f32_f16 v21, v13, v63, v21
	;;#ASMEND
	s_wait_dscnt 0x7
	;;#ASMSTART
	v_dot2_f32_f16 v22, v10, v64, v22
	;;#ASMEND
	;;#ASMSTART
	v_dot2_f32_f16 v22, v11, v65, v22
	;;#ASMEND
	;;#ASMSTART
	v_dot2_f32_f16 v22, v12, v66, v22
	;;#ASMEND
	;;#ASMSTART
	v_dot2_f32_f16 v22, v13, v67, v22
	;;#ASMEND
	;; [unrolled: 13-line block ×8, first 2 shown]
	;;#ASMSTART
	v_dot2_f32_f16 v35, v132, v60, v35
	;;#ASMEND
	;;#ASMSTART
	v_dot2_f32_f16 v35, v133, v61, v35
	;;#ASMEND
	;;#ASMSTART
	v_dot2_f32_f16 v35, v134, v62, v35
	;;#ASMEND
	;;#ASMSTART
	v_dot2_f32_f16 v35, v135, v63, v35
	;;#ASMEND
	;;#ASMSTART
	v_dot2_f32_f16 v33, v132, v64, v33
	;;#ASMEND
	;;#ASMSTART
	v_dot2_f32_f16 v33, v133, v65, v33
	;;#ASMEND
	;;#ASMSTART
	v_dot2_f32_f16 v33, v134, v66, v33
	;;#ASMEND
	;;#ASMSTART
	v_dot2_f32_f16 v33, v135, v67, v33
	;;#ASMEND
	;;#ASMSTART
	v_dot2_f32_f16 v31, v132, v124, v31
	;;#ASMEND
	;;#ASMSTART
	v_dot2_f32_f16 v31, v133, v125, v31
	;;#ASMEND
	;;#ASMSTART
	v_dot2_f32_f16 v31, v134, v126, v31
	;;#ASMEND
	;;#ASMSTART
	v_dot2_f32_f16 v31, v135, v127, v31
	;;#ASMEND
	;;#ASMSTART
	v_dot2_f32_f16 v29, v132, v128, v29
	;;#ASMEND
	;;#ASMSTART
	v_dot2_f32_f16 v29, v133, v129, v29
	;;#ASMEND
	;;#ASMSTART
	v_dot2_f32_f16 v29, v134, v130, v29
	;;#ASMEND
	;;#ASMSTART
	v_dot2_f32_f16 v29, v135, v131, v29
	;;#ASMEND
	;;#ASMSTART
	v_dot2_f32_f16 v36, v132, v136, v36
	;;#ASMEND
	;;#ASMSTART
	v_dot2_f32_f16 v36, v133, v137, v36
	;;#ASMEND
	;;#ASMSTART
	v_dot2_f32_f16 v36, v134, v138, v36
	;;#ASMEND
	;;#ASMSTART
	v_dot2_f32_f16 v36, v135, v139, v36
	;;#ASMEND
	;;#ASMSTART
	v_dot2_f32_f16 v34, v132, v140, v34
	;;#ASMEND
	;;#ASMSTART
	v_dot2_f32_f16 v34, v133, v141, v34
	;;#ASMEND
	;;#ASMSTART
	v_dot2_f32_f16 v34, v134, v142, v34
	;;#ASMEND
	;;#ASMSTART
	v_dot2_f32_f16 v34, v135, v143, v34
	;;#ASMEND
	;;#ASMSTART
	v_dot2_f32_f16 v32, v132, v144, v32
	;;#ASMEND
	;;#ASMSTART
	v_dot2_f32_f16 v32, v133, v145, v32
	;;#ASMEND
	;;#ASMSTART
	v_dot2_f32_f16 v32, v134, v146, v32
	;;#ASMEND
	;;#ASMSTART
	v_dot2_f32_f16 v32, v135, v147, v32
	;;#ASMEND
	;;#ASMSTART
	v_dot2_f32_f16 v30, v132, v148, v30
	;;#ASMEND
	;;#ASMSTART
	v_dot2_f32_f16 v30, v133, v149, v30
	;;#ASMEND
	;;#ASMSTART
	v_dot2_f32_f16 v30, v134, v150, v30
	;;#ASMEND
	;;#ASMSTART
	v_dot2_f32_f16 v30, v135, v151, v30
	;;#ASMEND
	ds_load_b128 v[10:13], v89 offset:80
	ds_load_b128 v[60:63], v80 offset:80
	;; [unrolled: 1-line block ×10, first 2 shown]
	s_wait_dscnt 0x8
	;;#ASMSTART
	v_dot2_f32_f16 v21, v10, v60, v21
	;;#ASMEND
	;;#ASMSTART
	v_dot2_f32_f16 v21, v11, v61, v21
	;;#ASMEND
	;;#ASMSTART
	v_dot2_f32_f16 v21, v12, v62, v21
	;;#ASMEND
	;;#ASMSTART
	v_dot2_f32_f16 v21, v13, v63, v21
	;;#ASMEND
	s_wait_dscnt 0x7
	;;#ASMSTART
	v_dot2_f32_f16 v22, v10, v64, v22
	;;#ASMEND
	;;#ASMSTART
	v_dot2_f32_f16 v22, v11, v65, v22
	;;#ASMEND
	;;#ASMSTART
	v_dot2_f32_f16 v22, v12, v66, v22
	;;#ASMEND
	;;#ASMSTART
	v_dot2_f32_f16 v22, v13, v67, v22
	;;#ASMEND
	;; [unrolled: 13-line block ×8, first 2 shown]
	;;#ASMSTART
	v_dot2_f32_f16 v35, v132, v60, v35
	;;#ASMEND
	;;#ASMSTART
	v_dot2_f32_f16 v35, v133, v61, v35
	;;#ASMEND
	;; [unrolled: 3-line block ×32, first 2 shown]
	ds_load_b128 v[10:13], v89 offset:96
	ds_load_b128 v[60:63], v80 offset:96
	;; [unrolled: 1-line block ×10, first 2 shown]
	s_wait_dscnt 0x8
	;;#ASMSTART
	v_dot2_f32_f16 v21, v10, v60, v21
	;;#ASMEND
	;;#ASMSTART
	v_dot2_f32_f16 v21, v11, v61, v21
	;;#ASMEND
	;;#ASMSTART
	v_dot2_f32_f16 v21, v12, v62, v21
	;;#ASMEND
	;;#ASMSTART
	v_dot2_f32_f16 v21, v13, v63, v21
	;;#ASMEND
	s_wait_dscnt 0x7
	;;#ASMSTART
	v_dot2_f32_f16 v22, v10, v64, v22
	;;#ASMEND
	;;#ASMSTART
	v_dot2_f32_f16 v22, v11, v65, v22
	;;#ASMEND
	;;#ASMSTART
	v_dot2_f32_f16 v22, v12, v66, v22
	;;#ASMEND
	;;#ASMSTART
	v_dot2_f32_f16 v22, v13, v67, v22
	;;#ASMEND
	;; [unrolled: 13-line block ×8, first 2 shown]
	;;#ASMSTART
	v_dot2_f32_f16 v35, v132, v60, v35
	;;#ASMEND
	;;#ASMSTART
	v_dot2_f32_f16 v35, v133, v61, v35
	;;#ASMEND
	;; [unrolled: 3-line block ×32, first 2 shown]
	ds_load_b128 v[10:13], v89 offset:112
	ds_load_b128 v[60:63], v80 offset:112
	;; [unrolled: 1-line block ×10, first 2 shown]
	s_wait_dscnt 0x8
	;;#ASMSTART
	v_dot2_f32_f16 v21, v10, v60, v21
	;;#ASMEND
	;;#ASMSTART
	v_dot2_f32_f16 v21, v11, v61, v21
	;;#ASMEND
	;;#ASMSTART
	v_dot2_f32_f16 v21, v12, v62, v21
	;;#ASMEND
	;;#ASMSTART
	v_dot2_f32_f16 v21, v13, v63, v21
	;;#ASMEND
	s_wait_dscnt 0x7
	;;#ASMSTART
	v_dot2_f32_f16 v22, v10, v64, v22
	;;#ASMEND
	;;#ASMSTART
	v_dot2_f32_f16 v22, v11, v65, v22
	;;#ASMEND
	;;#ASMSTART
	v_dot2_f32_f16 v22, v12, v66, v22
	;;#ASMEND
	;;#ASMSTART
	v_dot2_f32_f16 v22, v13, v67, v22
	;;#ASMEND
	;; [unrolled: 13-line block ×8, first 2 shown]
	;;#ASMSTART
	v_dot2_f32_f16 v35, v132, v60, v35
	;;#ASMEND
	;;#ASMSTART
	v_dot2_f32_f16 v35, v133, v61, v35
	;;#ASMEND
	;; [unrolled: 3-line block ×32, first 2 shown]
	s_barrier_signal -1
	s_barrier_wait -1
	s_clause 0x1
	global_load_b128 v[10:13], v[4:5], off offset:128
	global_load_b128 v[60:63], v[6:7], off offset:128
	s_wait_loadcnt 0x1
	ds_store_b128 v87, v[10:13]
	s_wait_loadcnt 0x0
	ds_store_b128 v88, v[60:63]
	s_wait_dscnt 0x0
	s_barrier_signal -1
	s_barrier_wait -1
	ds_load_b128 v[4:7], v89
	ds_load_b128 v[10:13], v80 offset:128
	ds_load_b128 v[60:63], v80 offset:384
	;; [unrolled: 1-line block ×9, first 2 shown]
	s_wait_dscnt 0x8
	;;#ASMSTART
	v_dot2_f32_f16 v21, v4, v10, v21
	;;#ASMEND
	;;#ASMSTART
	v_dot2_f32_f16 v21, v5, v11, v21
	;;#ASMEND
	;;#ASMSTART
	v_dot2_f32_f16 v21, v6, v12, v21
	;;#ASMEND
	;;#ASMSTART
	v_dot2_f32_f16 v21, v7, v13, v21
	;;#ASMEND
	s_wait_dscnt 0x7
	;;#ASMSTART
	v_dot2_f32_f16 v22, v4, v60, v22
	;;#ASMEND
	;;#ASMSTART
	v_dot2_f32_f16 v22, v5, v61, v22
	;;#ASMEND
	;;#ASMSTART
	v_dot2_f32_f16 v22, v6, v62, v22
	;;#ASMEND
	;;#ASMSTART
	v_dot2_f32_f16 v22, v7, v63, v22
	;;#ASMEND
	;; [unrolled: 13-line block ×8, first 2 shown]
	;;#ASMSTART
	v_dot2_f32_f16 v35, v128, v10, v35
	;;#ASMEND
	;;#ASMSTART
	v_dot2_f32_f16 v35, v129, v11, v35
	;;#ASMEND
	;; [unrolled: 3-line block ×32, first 2 shown]
	ds_load_b128 v[4:7], v89 offset:16
	ds_load_b128 v[10:13], v80 offset:144
	;; [unrolled: 1-line block ×10, first 2 shown]
	s_wait_dscnt 0x8
	;;#ASMSTART
	v_dot2_f32_f16 v21, v4, v10, v21
	;;#ASMEND
	;;#ASMSTART
	v_dot2_f32_f16 v21, v5, v11, v21
	;;#ASMEND
	;;#ASMSTART
	v_dot2_f32_f16 v21, v6, v12, v21
	;;#ASMEND
	;;#ASMSTART
	v_dot2_f32_f16 v21, v7, v13, v21
	;;#ASMEND
	s_wait_dscnt 0x7
	;;#ASMSTART
	v_dot2_f32_f16 v22, v4, v60, v22
	;;#ASMEND
	;;#ASMSTART
	v_dot2_f32_f16 v22, v5, v61, v22
	;;#ASMEND
	;;#ASMSTART
	v_dot2_f32_f16 v22, v6, v62, v22
	;;#ASMEND
	;;#ASMSTART
	v_dot2_f32_f16 v22, v7, v63, v22
	;;#ASMEND
	;; [unrolled: 13-line block ×8, first 2 shown]
	;;#ASMSTART
	v_dot2_f32_f16 v35, v128, v10, v35
	;;#ASMEND
	;;#ASMSTART
	v_dot2_f32_f16 v35, v129, v11, v35
	;;#ASMEND
	;; [unrolled: 3-line block ×32, first 2 shown]
	ds_load_b128 v[4:7], v89 offset:32
	ds_load_b128 v[10:13], v80 offset:160
	;; [unrolled: 1-line block ×10, first 2 shown]
	s_wait_dscnt 0x8
	;;#ASMSTART
	v_dot2_f32_f16 v21, v4, v10, v21
	;;#ASMEND
	;;#ASMSTART
	v_dot2_f32_f16 v21, v5, v11, v21
	;;#ASMEND
	;;#ASMSTART
	v_dot2_f32_f16 v21, v6, v12, v21
	;;#ASMEND
	;;#ASMSTART
	v_dot2_f32_f16 v21, v7, v13, v21
	;;#ASMEND
	s_wait_dscnt 0x7
	;;#ASMSTART
	v_dot2_f32_f16 v22, v4, v60, v22
	;;#ASMEND
	;;#ASMSTART
	v_dot2_f32_f16 v22, v5, v61, v22
	;;#ASMEND
	;;#ASMSTART
	v_dot2_f32_f16 v22, v6, v62, v22
	;;#ASMEND
	;;#ASMSTART
	v_dot2_f32_f16 v22, v7, v63, v22
	;;#ASMEND
	;; [unrolled: 13-line block ×8, first 2 shown]
	;;#ASMSTART
	v_dot2_f32_f16 v35, v128, v10, v35
	;;#ASMEND
	;;#ASMSTART
	v_dot2_f32_f16 v35, v129, v11, v35
	;;#ASMEND
	;; [unrolled: 3-line block ×32, first 2 shown]
	ds_load_b128 v[4:7], v89 offset:48
	ds_load_b128 v[10:13], v80 offset:176
	;; [unrolled: 1-line block ×10, first 2 shown]
	s_wait_dscnt 0x8
	;;#ASMSTART
	v_dot2_f32_f16 v21, v4, v10, v21
	;;#ASMEND
	;;#ASMSTART
	v_dot2_f32_f16 v21, v5, v11, v21
	;;#ASMEND
	;;#ASMSTART
	v_dot2_f32_f16 v21, v6, v12, v21
	;;#ASMEND
	;;#ASMSTART
	v_dot2_f32_f16 v21, v7, v13, v21
	;;#ASMEND
	s_wait_dscnt 0x7
	;;#ASMSTART
	v_dot2_f32_f16 v22, v4, v60, v22
	;;#ASMEND
	;;#ASMSTART
	v_dot2_f32_f16 v22, v5, v61, v22
	;;#ASMEND
	;;#ASMSTART
	v_dot2_f32_f16 v22, v6, v62, v22
	;;#ASMEND
	;;#ASMSTART
	v_dot2_f32_f16 v22, v7, v63, v22
	;;#ASMEND
	;; [unrolled: 13-line block ×8, first 2 shown]
	;;#ASMSTART
	v_dot2_f32_f16 v35, v128, v10, v35
	;;#ASMEND
	;;#ASMSTART
	v_dot2_f32_f16 v35, v129, v11, v35
	;;#ASMEND
	;; [unrolled: 3-line block ×32, first 2 shown]
	ds_load_b128 v[4:7], v89 offset:64
	ds_load_b128 v[10:13], v80 offset:192
	;; [unrolled: 1-line block ×10, first 2 shown]
	s_wait_dscnt 0x8
	;;#ASMSTART
	v_dot2_f32_f16 v21, v4, v10, v21
	;;#ASMEND
	;;#ASMSTART
	v_dot2_f32_f16 v21, v5, v11, v21
	;;#ASMEND
	;;#ASMSTART
	v_dot2_f32_f16 v21, v6, v12, v21
	;;#ASMEND
	;;#ASMSTART
	v_dot2_f32_f16 v21, v7, v13, v21
	;;#ASMEND
	s_wait_dscnt 0x7
	;;#ASMSTART
	v_dot2_f32_f16 v22, v4, v60, v22
	;;#ASMEND
	;;#ASMSTART
	v_dot2_f32_f16 v22, v5, v61, v22
	;;#ASMEND
	;;#ASMSTART
	v_dot2_f32_f16 v22, v6, v62, v22
	;;#ASMEND
	;;#ASMSTART
	v_dot2_f32_f16 v22, v7, v63, v22
	;;#ASMEND
	;; [unrolled: 13-line block ×8, first 2 shown]
	;;#ASMSTART
	v_dot2_f32_f16 v35, v128, v10, v35
	;;#ASMEND
	;;#ASMSTART
	v_dot2_f32_f16 v35, v129, v11, v35
	;;#ASMEND
	;; [unrolled: 3-line block ×32, first 2 shown]
	ds_load_b128 v[4:7], v89 offset:80
	ds_load_b128 v[10:13], v80 offset:208
	ds_load_b128 v[60:63], v80 offset:464
	ds_load_b128 v[64:67], v80 offset:720
	ds_load_b128 v[124:127], v80 offset:976
	ds_load_b128 v[128:131], v89 offset:4688
	ds_load_b128 v[132:135], v80 offset:1232
	ds_load_b128 v[136:139], v80 offset:1488
	ds_load_b128 v[140:143], v80 offset:1744
	ds_load_b128 v[144:147], v80 offset:2000
	s_wait_dscnt 0x8
	;;#ASMSTART
	v_dot2_f32_f16 v21, v4, v10, v21
	;;#ASMEND
	;;#ASMSTART
	v_dot2_f32_f16 v21, v5, v11, v21
	;;#ASMEND
	;;#ASMSTART
	v_dot2_f32_f16 v21, v6, v12, v21
	;;#ASMEND
	;;#ASMSTART
	v_dot2_f32_f16 v21, v7, v13, v21
	;;#ASMEND
	s_wait_dscnt 0x7
	;;#ASMSTART
	v_dot2_f32_f16 v22, v4, v60, v22
	;;#ASMEND
	;;#ASMSTART
	v_dot2_f32_f16 v22, v5, v61, v22
	;;#ASMEND
	;;#ASMSTART
	v_dot2_f32_f16 v22, v6, v62, v22
	;;#ASMEND
	;;#ASMSTART
	v_dot2_f32_f16 v22, v7, v63, v22
	;;#ASMEND
	;; [unrolled: 13-line block ×8, first 2 shown]
	;;#ASMSTART
	v_dot2_f32_f16 v35, v128, v10, v35
	;;#ASMEND
	;;#ASMSTART
	v_dot2_f32_f16 v35, v129, v11, v35
	;;#ASMEND
	;; [unrolled: 3-line block ×32, first 2 shown]
	ds_load_b128 v[4:7], v89 offset:96
	ds_load_b128 v[10:13], v80 offset:224
	;; [unrolled: 1-line block ×10, first 2 shown]
	s_wait_dscnt 0x8
	;;#ASMSTART
	v_dot2_f32_f16 v21, v4, v10, v21
	;;#ASMEND
	;;#ASMSTART
	v_dot2_f32_f16 v21, v5, v11, v21
	;;#ASMEND
	;;#ASMSTART
	v_dot2_f32_f16 v21, v6, v12, v21
	;;#ASMEND
	;;#ASMSTART
	v_dot2_f32_f16 v21, v7, v13, v21
	;;#ASMEND
	s_wait_dscnt 0x7
	;;#ASMSTART
	v_dot2_f32_f16 v22, v4, v60, v22
	;;#ASMEND
	;;#ASMSTART
	v_dot2_f32_f16 v22, v5, v61, v22
	;;#ASMEND
	;;#ASMSTART
	v_dot2_f32_f16 v22, v6, v62, v22
	;;#ASMEND
	;;#ASMSTART
	v_dot2_f32_f16 v22, v7, v63, v22
	;;#ASMEND
	;; [unrolled: 13-line block ×8, first 2 shown]
	;;#ASMSTART
	v_dot2_f32_f16 v35, v128, v10, v35
	;;#ASMEND
	;;#ASMSTART
	v_dot2_f32_f16 v35, v129, v11, v35
	;;#ASMEND
	;; [unrolled: 3-line block ×32, first 2 shown]
	ds_load_b128 v[4:7], v89 offset:112
	ds_load_b128 v[10:13], v80 offset:240
	;; [unrolled: 1-line block ×10, first 2 shown]
	s_wait_dscnt 0x8
	;;#ASMSTART
	v_dot2_f32_f16 v21, v4, v10, v21
	;;#ASMEND
	;;#ASMSTART
	v_dot2_f32_f16 v21, v5, v11, v21
	;;#ASMEND
	;;#ASMSTART
	v_dot2_f32_f16 v21, v6, v12, v21
	;;#ASMEND
	;;#ASMSTART
	v_dot2_f32_f16 v21, v7, v13, v21
	;;#ASMEND
	s_wait_dscnt 0x7
	;;#ASMSTART
	v_dot2_f32_f16 v22, v4, v60, v22
	;;#ASMEND
	;;#ASMSTART
	v_dot2_f32_f16 v22, v5, v61, v22
	;;#ASMEND
	;;#ASMSTART
	v_dot2_f32_f16 v22, v6, v62, v22
	;;#ASMEND
	;;#ASMSTART
	v_dot2_f32_f16 v22, v7, v63, v22
	;;#ASMEND
	;; [unrolled: 13-line block ×8, first 2 shown]
	;;#ASMSTART
	v_dot2_f32_f16 v35, v128, v10, v35
	;;#ASMEND
	;;#ASMSTART
	v_dot2_f32_f16 v35, v129, v11, v35
	;;#ASMEND
	;; [unrolled: 3-line block ×32, first 2 shown]
	s_clause 0x3
	global_load_u16 v4, v8, s[40:41] scale_offset
	global_load_u16 v5, v8, s[40:41] offset:64 scale_offset
	global_load_u16 v6, v9, s[40:41] scale_offset
	global_load_u16 v7, v9, s[40:41] offset:64 scale_offset
	s_wait_loadcnt 0x0
	s_barrier_signal -1
	s_barrier_wait -1
	s_clause 0x1
	global_load_b128 v[8:11], v[0:1], off
	global_load_b128 v[12:15], v[2:3], off
	s_wait_xcnt 0x1
	v_cvt_f32_f16_e32 v0, v4
	v_cvt_f32_f16_e32 v1, v5
	s_wait_xcnt 0x0
	v_cvt_f32_f16_e32 v2, v6
	v_cvt_f32_f16_e32 v3, v7
	s_delay_alu instid0(VALU_DEP_3)
	v_dual_add_f32 v21, v21, v0 :: v_dual_add_f32 v35, v35, v1
	v_dual_add_f32 v22, v22, v0 :: v_dual_add_f32 v33, v33, v1
	v_add_f32_e32 v23, v23, v0
	v_dual_add_f32 v31, v31, v1 :: v_dual_add_f32 v24, v24, v0
	v_dual_add_f32 v29, v29, v1 :: v_dual_add_f32 v36, v36, v3
	;; [unrolled: 1-line block ×4, first 2 shown]
	s_delay_alu instid0(VALU_DEP_4)
	v_dual_add_f32 v0, 0x40051340, v21 :: v_dual_add_f32 v5, 0x40051340, v31
	v_dual_add_f32 v34, v34, v3 :: v_dual_add_f32 v27, v27, v2
	;; [unrolled: 1-line block ×7, first 2 shown]
	v_max3_num_f32 v0, v116, v0, v1
	v_max3_num_f32 v1, v117, v2, v3
	;; [unrolled: 1-line block ×3, first 2 shown]
	s_delay_alu instid0(VALU_DEP_4)
	v_max3_num_f32 v4, v120, v37, v38
	v_dual_add_f32 v60, 0x40051340, v34 :: v_dual_add_f32 v61, 0x40051340, v27
	ds_bpermute_b32 v37, v20, v0
	v_add_f32_e32 v62, 0x40051340, v32
	v_dual_add_f32 v63, 0x40051340, v28 :: v_dual_add_f32 v64, 0x40051340, v30
	v_max3_num_f32 v3, v119, v6, v7
	v_max3_num_f32 v5, v121, v39, v60
	ds_bpermute_b32 v38, v20, v1
	ds_bpermute_b32 v39, v20, v2
	v_max3_num_f32 v7, v123, v63, v64
	ds_bpermute_b32 v60, v20, v3
	s_wait_dscnt 0x3
	v_max_num_f32_e32 v37, v37, v37
	v_max3_num_f32 v6, v122, v61, v62
	ds_bpermute_b32 v61, v20, v4
	ds_bpermute_b32 v62, v20, v5
	;; [unrolled: 1-line block ×4, first 2 shown]
	s_wait_dscnt 0x5
	v_dual_max_num_f32 v38, v38, v38 :: v_dual_max_num_f32 v39, v39, v39
	v_max_num_f32_e32 v0, v0, v37
	s_wait_dscnt 0x4
	s_delay_alu instid0(VALU_DEP_2) | instskip(NEXT) | instid1(VALU_DEP_3)
	v_dual_max_num_f32 v60, v60, v60 :: v_dual_max_num_f32 v1, v1, v38
	v_max_num_f32_e32 v2, v2, v39
	ds_bpermute_b32 v37, v19, v1
	ds_bpermute_b32 v38, v19, v2
	s_wait_dscnt 0x4
	v_dual_max_num_f32 v61, v61, v61 :: v_dual_max_num_f32 v62, v62, v62
	v_max_num_f32_e32 v3, v3, v60
	s_wait_dscnt 0x2
	v_dual_max_num_f32 v63, v63, v63 :: v_dual_max_num_f32 v20, v20, v20
	s_delay_alu instid0(VALU_DEP_3)
	v_dual_max_num_f32 v4, v4, v61 :: v_dual_max_num_f32 v5, v5, v62
	ds_bpermute_b32 v39, v19, v3
	v_dual_max_num_f32 v6, v6, v63 :: v_dual_max_num_f32 v7, v7, v20
	ds_bpermute_b32 v20, v19, v0
	ds_bpermute_b32 v60, v19, v4
	;; [unrolled: 1-line block ×4, first 2 shown]
	s_wait_dscnt 0x5
	v_dual_max_num_f32 v37, v37, v37 :: v_dual_max_num_f32 v38, v38, v38
	s_delay_alu instid0(VALU_DEP_1)
	v_dual_max_num_f32 v1, v1, v37 :: v_dual_max_num_f32 v2, v2, v38
	ds_bpermute_b32 v37, v18, v2
	s_wait_dscnt 0x4
	v_dual_max_num_f32 v39, v39, v39 :: v_dual_max_num_f32 v20, v20, v20
	ds_bpermute_b32 v19, v19, v7
	s_wait_dscnt 0x3
	v_dual_max_num_f32 v60, v60, v60 :: v_dual_max_num_f32 v61, v61, v61
	s_wait_dscnt 0x2
	v_dual_max_num_f32 v62, v62, v62 :: v_dual_max_num_f32 v0, v0, v20
	ds_bpermute_b32 v20, v18, v1
	v_dual_max_num_f32 v3, v3, v39 :: v_dual_max_num_f32 v4, v4, v60
	v_dual_max_num_f32 v5, v5, v61 :: v_dual_max_num_f32 v6, v6, v62
	ds_bpermute_b32 v38, v18, v3
	ds_bpermute_b32 v39, v18, v4
	;; [unrolled: 1-line block ×4, first 2 shown]
	s_wait_dscnt 0x5
	v_dual_max_num_f32 v37, v37, v37 :: v_dual_max_num_f32 v19, v19, v19
	s_delay_alu instid0(VALU_DEP_1)
	v_dual_max_num_f32 v2, v2, v37 :: v_dual_max_num_f32 v7, v7, v19
	s_wait_dscnt 0x4
	v_max_num_f32_e32 v20, v20, v20
	ds_bpermute_b32 v19, v18, v0
	ds_bpermute_b32 v18, v18, v7
	s_wait_dscnt 0x4
	v_dual_max_num_f32 v38, v38, v38 :: v_dual_max_num_f32 v39, v39, v39
	s_wait_dscnt 0x2
	v_dual_max_num_f32 v60, v60, v60 :: v_dual_max_num_f32 v61, v61, v61
	s_delay_alu instid0(VALU_DEP_2) | instskip(NEXT) | instid1(VALU_DEP_2)
	v_dual_max_num_f32 v1, v1, v20 :: v_dual_max_num_f32 v3, v3, v38
	v_dual_max_num_f32 v4, v4, v39 :: v_dual_max_num_f32 v5, v5, v60
	s_delay_alu instid0(VALU_DEP_3)
	v_max_num_f32_e32 v6, v6, v61
	ds_bpermute_b32 v20, v17, v2
	ds_bpermute_b32 v37, v17, v3
	;; [unrolled: 1-line block ×5, first 2 shown]
	s_wait_dscnt 0x5
	v_dual_max_num_f32 v19, v19, v19 :: v_dual_max_num_f32 v18, v18, v18
	s_delay_alu instid0(VALU_DEP_1)
	v_max_num_f32_e32 v0, v0, v19
	ds_bpermute_b32 v19, v17, v1
	v_max_num_f32_e32 v7, v7, v18
	ds_bpermute_b32 v18, v17, v0
	s_wait_dscnt 0x5
	v_dual_max_num_f32 v20, v20, v20 :: v_dual_max_num_f32 v37, v37, v37
	s_wait_dscnt 0x3
	v_dual_max_num_f32 v38, v38, v38 :: v_dual_max_num_f32 v39, v39, v39
	s_wait_dscnt 0x2
	v_max_num_f32_e32 v60, v60, v60
	v_dual_max_num_f32 v2, v2, v20 :: v_dual_max_num_f32 v3, v3, v37
	s_delay_alu instid0(VALU_DEP_3) | instskip(NEXT) | instid1(VALU_DEP_3)
	v_dual_max_num_f32 v4, v4, v38 :: v_dual_max_num_f32 v5, v5, v39
	v_max_num_f32_e32 v6, v6, v60
	ds_bpermute_b32 v20, v16, v3
	ds_bpermute_b32 v37, v16, v4
	s_wait_dscnt 0x3
	v_max_num_f32_e32 v19, v19, v19
	ds_bpermute_b32 v38, v16, v5
	ds_bpermute_b32 v39, v16, v6
	s_wait_dscnt 0x4
	v_max_num_f32_e32 v18, v18, v18
	ds_bpermute_b32 v17, v17, v7
	v_max_num_f32_e32 v1, v1, v19
	ds_bpermute_b32 v19, v16, v2
	;; [unrolled: 2-line block ×3, first 2 shown]
	s_wait_dscnt 0x5
	v_dual_max_num_f32 v20, v20, v20 :: v_dual_max_num_f32 v37, v37, v37
	s_wait_dscnt 0x3
	v_dual_max_num_f32 v38, v38, v38 :: v_dual_max_num_f32 v39, v39, v39
	s_delay_alu instid0(VALU_DEP_2) | instskip(SKIP_2) | instid1(VALU_DEP_3)
	v_dual_max_num_f32 v3, v3, v20 :: v_dual_max_num_f32 v4, v4, v37
	s_wait_dscnt 0x2
	v_max_num_f32_e32 v17, v17, v17
	v_dual_max_num_f32 v5, v5, v38 :: v_dual_max_num_f32 v6, v6, v39
	s_wait_dscnt 0x1
	v_max_num_f32_e32 v19, v19, v19
	s_delay_alu instid0(VALU_DEP_3)
	v_max_num_f32_e32 v7, v7, v17
	ds_bpermute_b32 v17, v16, v0
	s_wait_dscnt 0x1
	v_max_num_f32_e32 v18, v18, v18
	v_max_num_f32_e32 v2, v2, v19
	v_dual_sub_f32 v26, v26, v5 :: v_dual_sub_f32 v27, v27, v6
	s_delay_alu instid0(VALU_DEP_3) | instskip(NEXT) | instid1(VALU_DEP_3)
	v_max_num_f32_e32 v1, v1, v18
	v_dual_sub_f32 v20, v23, v2 :: v_dual_sub_f32 v23, v29, v3
	v_sub_f32_e32 v29, v34, v5
	s_delay_alu instid0(VALU_DEP_4) | instskip(NEXT) | instid1(VALU_DEP_4)
	v_cmp_ngt_f32_e64 s9, 0xc2ce8ed0, v26
	v_dual_sub_f32 v18, v22, v1 :: v_dual_sub_f32 v19, v33, v1
	v_dual_sub_f32 v22, v24, v3 :: v_dual_sub_f32 v24, v25, v4
	v_sub_f32_e32 v25, v36, v4
	v_dual_mul_f32 v36, 0x3fb8aa3b, v20 :: v_dual_mul_f32 v39, 0x3fb8aa3b, v23
	s_delay_alu instid0(VALU_DEP_3) | instskip(NEXT) | instid1(VALU_DEP_4)
	v_mul_f32_e32 v38, 0x3fb8aa3b, v22
	v_dual_mul_f32 v60, 0x3fb8aa3b, v24 :: v_dual_mul_f32 v63, 0x3fb8aa3b, v29
	s_wait_dscnt 0x0
	v_max_num_f32_e32 v17, v17, v17
	ds_bpermute_b32 v16, v16, v7
	v_rndne_f32_e32 v144, v36
	v_mul_f32_e32 v61, 0x3fb8aa3b, v25
	v_fma_f32 v129, 0x3fb8aa3b, v20, -v36
	v_max_num_f32_e32 v0, v0, v17
	v_fma_f32 v131, 0x3fb8aa3b, v22, -v38
	v_sub_f32_e32 v36, v36, v144
	v_fma_f32 v132, 0x3fb8aa3b, v23, -v39
	v_fma_f32 v133, 0x3fb8aa3b, v24, -v60
	v_sub_f32_e32 v17, v35, v0
	v_mul_f32_e32 v35, 0x3fb8aa3b, v19
	v_fma_f32 v134, 0x3fb8aa3b, v25, -v61
	v_fma_f32 v136, 0x3fb8aa3b, v29, -v63
	v_rndne_f32_e32 v146, v38
	v_mul_f32_e32 v33, 0x3fb8aa3b, v17
	v_fma_f32 v128, 0x3fb8aa3b, v19, -v35
	v_rndne_f32_e32 v143, v35
	v_rndne_f32_e32 v147, v39
	;; [unrolled: 1-line block ×3, first 2 shown]
	v_fma_f32 v125, 0x3fb8aa3b, v17, -v33
	s_wait_dscnt 0x0
	v_max_num_f32_e32 v16, v16, v16
	v_rndne_f32_e32 v141, v33
	v_fmac_f32_e32 v128, 0x32a5705f, v19
	v_rndne_f32_e32 v149, v61
	v_fmac_f32_e32 v125, 0x32a5705f, v17
	v_max_num_f32_e32 v7, v7, v16
	v_dual_sub_f32 v16, v21, v0 :: v_dual_sub_f32 v21, v31, v2
	v_sub_f32_e32 v31, v32, v6
	v_mul_f32_e32 v34, 0x3fb8aa3b, v18
	s_delay_alu instid0(VALU_DEP_4) | instskip(NEXT) | instid1(VALU_DEP_4)
	v_sub_f32_e32 v28, v28, v7
	v_mul_f32_e32 v32, 0x3fb8aa3b, v16
	v_dual_sub_f32 v30, v30, v7 :: v_dual_mul_f32 v37, 0x3fb8aa3b, v21
	s_delay_alu instid0(VALU_DEP_4) | instskip(NEXT) | instid1(VALU_DEP_4)
	v_fma_f32 v127, 0x3fb8aa3b, v18, -v34
	v_dual_mul_f32 v66, 0x3fb8aa3b, v28 :: v_dual_sub_f32 v33, v33, v141
	s_delay_alu instid0(VALU_DEP_4) | instskip(SKIP_3) | instid1(VALU_DEP_4)
	v_fma_f32 v124, 0x3fb8aa3b, v16, -v32
	v_rndne_f32_e32 v142, v34
	v_dual_mul_f32 v62, 0x3fb8aa3b, v26 :: v_dual_mul_f32 v65, 0x3fb8aa3b, v31
	v_dual_mul_f32 v64, 0x3fb8aa3b, v27 :: v_dual_mul_f32 v67, 0x3fb8aa3b, v30
	v_dual_fmac_f32 v124, 0x32a5705f, v16 :: v_dual_fmac_f32 v127, 0x32a5705f, v18
	s_delay_alu instid0(VALU_DEP_4)
	v_dual_sub_f32 v34, v34, v142 :: v_dual_add_f32 v33, v33, v125
	v_rndne_f32_e32 v126, v32
	v_fma_f32 v130, 0x3fb8aa3b, v21, -v37
	v_fma_f32 v135, 0x3fb8aa3b, v26, -v62
	;; [unrolled: 1-line block ×5, first 2 shown]
	v_rndne_f32_e32 v145, v37
	v_rndne_f32_e32 v150, v62
	;; [unrolled: 1-line block ×6, first 2 shown]
	v_fma_f32 v140, 0x3fb8aa3b, v30, -v67
	v_rndne_f32_e32 v155, v67
	v_add_f32_e32 v34, v34, v127
	v_exp_f32_e32 v33, v33
	v_dual_fmac_f32 v129, 0x32a5705f, v20 :: v_dual_fmac_f32 v130, 0x32a5705f, v21
	v_dual_fmac_f32 v131, 0x32a5705f, v22 :: v_dual_fmac_f32 v132, 0x32a5705f, v23
	;; [unrolled: 1-line block ×6, first 2 shown]
	v_dual_sub_f32 v32, v32, v126 :: v_dual_sub_f32 v35, v35, v143
	v_dual_sub_f32 v37, v37, v145 :: v_dual_sub_f32 v38, v38, v146
	;; [unrolled: 1-line block ×6, first 2 shown]
	v_dual_sub_f32 v67, v67, v155 :: v_dual_add_f32 v32, v32, v124
	v_cvt_i32_f32_e32 v141, v141
	v_dual_add_f32 v35, v35, v128 :: v_dual_add_f32 v36, v36, v129
	v_dual_add_f32 v37, v37, v130 :: v_dual_add_f32 v38, v38, v131
	;; [unrolled: 1-line block ×6, first 2 shown]
	v_ldexp_f32 v33, v33, v141
	v_cmp_ngt_f32_e64 s16, 0xc2ce8ed0, v17
	v_add_f32_e32 v67, v67, v140
	v_exp_f32_e32 v32, v32
	v_exp_f32_e32 v34, v34
	;; [unrolled: 1-line block ×14, first 2 shown]
	v_cndmask_b32_e64 v124, 0, v33, s16
	v_exp_f32_e32 v67, v67
	v_cvt_i32_f32_e32 v126, v126
	v_cvt_i32_f32_e32 v142, v142
	;; [unrolled: 1-line block ×15, first 2 shown]
	v_ldexp_f32 v34, v34, v142
	v_cmp_ngt_f32_e32 vcc_lo, 0xc2ce8ed0, v18
	v_ldexp_f32 v35, v35, v143
	v_cmp_ngt_f32_e64 s2, 0xc2ce8ed0, v19
	v_ldexp_f32 v36, v36, v144
	v_cmp_ngt_f32_e64 s3, 0xc2ce8ed0, v20
	;; [unrolled: 2-line block ×7, first 2 shown]
	v_ldexp_f32 v62, v62, v150
	v_ldexp_f32 v63, v63, v151
	v_cmp_ngt_f32_e64 s10, 0xc2ce8ed0, v29
	v_ldexp_f32 v64, v64, v152
	v_cmp_ngt_f32_e64 s11, 0xc2ce8ed0, v27
	;; [unrolled: 2-line block ×6, first 2 shown]
	v_cmp_nlt_f32_e64 s16, 0x42b17218, v17
	v_cndmask_b32_e32 v17, 0, v34, vcc_lo
	v_cmp_nlt_f32_e32 vcc_lo, 0x42b17218, v18
	v_cndmask_b32_e64 v18, 0, v35, s2
	v_cmp_nlt_f32_e64 s2, 0x42b17218, v19
	v_cndmask_b32_e64 v19, 0, v36, s3
	v_cmp_nlt_f32_e64 s3, 0x42b17218, v20
	;; [unrolled: 2-line block ×11, first 2 shown]
	v_dual_cndmask_b32 v31, 0, v32, s15 :: v_dual_cndmask_b32 v63, 0, v66, s13
	v_cmp_nlt_f32_e64 s13, 0x42b17218, v28
	v_cmp_nlt_f32_e64 s15, 0x42b17218, v16
	v_cndmask_b32_e64 v28, 0, v67, s14
	v_cmp_nlt_f32_e64 s14, 0x42b17218, v30
	v_cndmask_b32_e32 v33, 0x7f800000, v17, vcc_lo
	v_cndmask_b32_e64 v36, 0x7f800000, v19, s3
	v_cndmask_b32_e64 v32, 0x7f800000, v31, s15
	;; [unrolled: 1-line block ×15, first 2 shown]
	v_cvt_pk_f16_f32 v19, v62, v63
	v_cvt_pk_f16_f32 v18, v60, v61
	v_cvt_pk_f16_f32 v17, v36, v37
	v_cvt_pk_f16_f32 v16, v32, v33
	v_cvt_pk_f16_f32 v23, v66, v67
	v_cvt_pk_f16_f32 v22, v64, v65
	v_cvt_pk_f16_f32 v21, v38, v39
	v_cvt_pk_f16_f32 v20, v34, v35
	ds_store_b128 v96, v[16:19]
	ds_store_b128 v96, v[20:23] offset:512
	s_wait_loadcnt 0x1
	ds_store_b128 v93, v[8:11]
	s_wait_loadcnt 0x0
	ds_store_b128 v94, v[12:15]
	s_wait_dscnt 0x0
	s_barrier_signal -1
	s_barrier_wait -1
	ds_load_b128 v[12:15], v92
	ds_load_b128 v[8:11], v92 offset:16
	ds_load_b128 v[16:19], v92 offset:32
	;; [unrolled: 1-line block ×7, first 2 shown]
	s_wait_dscnt 0x7
	v_lshrrev_b32_e32 v188, 16, v15
	v_pk_add_f32 v[32:33], v[32:33], v[34:35]
	v_pk_add_f32 v[34:35], v[36:37], v[38:39]
	;; [unrolled: 1-line block ×3, first 2 shown]
	v_sub_f32_e32 v60, v123, v7
	v_pk_add_f32 v[38:39], v[62:63], v[66:67]
	s_wait_dscnt 0x6
	v_dual_lshrrev_b32 v159, 16, v8 :: v_dual_lshrrev_b32 v157, 16, v9
	v_dual_lshrrev_b32 v153, 16, v10 :: v_dual_lshrrev_b32 v147, 16, v11
	v_mul_f32_e32 v61, 0x3fb8aa3b, v60
	v_and_b32_e32 v193, 0xffff, v8
	v_and_b32_e32 v194, 0xffff, v9
	;; [unrolled: 1-line block ×4, first 2 shown]
	v_fma_f32 v62, 0x3fb8aa3b, v60, -v61
	v_rndne_f32_e32 v63, v61
	s_wait_dscnt 0x3
	v_dual_lshrrev_b32 v167, 16, v24 :: v_dual_lshrrev_b32 v164, 16, v25
	v_dual_lshrrev_b32 v162, 16, v26 :: v_dual_lshrrev_b32 v161, 16, v27
	s_delay_alu instid0(VALU_DEP_3)
	v_dual_fmac_f32 v62, 0x32a5705f, v60 :: v_dual_sub_f32 v61, v61, v63
	v_cvt_i32_f32_e32 v63, v63
	v_and_b32_e32 v169, 0xffff, v24
	v_and_b32_e32 v163, 0xffff, v27
	s_wait_dscnt 0x2
	v_dual_lshrrev_b32 v150, 16, v28 :: v_dual_lshrrev_b32 v149, 16, v29
	v_add_f32_e32 v61, v61, v62
	v_sub_f32_e32 v62, v122, v6
	v_cmp_ngt_f32_e32 vcc_lo, 0xc2ce8ed0, v60
	v_and_b32_e32 v166, 0xffff, v28
	s_wait_dscnt 0x1
	v_dual_lshrrev_b32 v140, 16, v124 :: v_dual_lshrrev_b32 v138, 16, v125
	v_exp_f32_e32 v61, v61
	v_cmp_ngt_f32_e64 s2, 0xc2ce8ed0, v62
	v_dual_lshrrev_b32 v27, 16, v126 :: v_dual_lshrrev_b32 v24, 16, v127
	v_and_b32_e32 v142, 0xffff, v124
	v_and_b32_e32 v141, 0xffff, v125
	;; [unrolled: 1-line block ×3, first 2 shown]
	s_delay_alu instid0(TRANS32_DEP_1)
	v_ldexp_f32 v61, v61, v63
	v_mul_f32_e32 v64, 0x3fb8aa3b, v62
	v_and_b32_e32 v28, 0xffff, v127
	ds_load_b128 v[8:11], v92 offset:128
	ds_load_b128 v[124:127], v92 offset:144
	v_and_b32_e32 v192, 0xffff, v15
	v_cndmask_b32_e32 v61, 0, v61, vcc_lo
	v_fma_f32 v65, 0x3fb8aa3b, v62, -v64
	v_rndne_f32_e32 v66, v64
	v_cmp_nlt_f32_e32 vcc_lo, 0x42b17218, v60
	v_dual_lshrrev_b32 v179, 16, v16 :: v_dual_lshrrev_b32 v176, 16, v17
	s_delay_alu instid0(VALU_DEP_4) | instskip(NEXT) | instid1(VALU_DEP_4)
	v_fmac_f32_e32 v65, 0x32a5705f, v62
	v_sub_f32_e32 v64, v64, v66
	v_cvt_i32_f32_e32 v63, v66
	v_dual_cndmask_b32 v61, 0x7f800000, v61 :: v_dual_lshrrev_b32 v174, 16, v18
	s_delay_alu instid0(VALU_DEP_3)
	v_dual_add_f32 v64, v64, v65 :: v_dual_lshrrev_b32 v173, 16, v19
	v_and_b32_e32 v181, 0xffff, v16
	v_and_b32_e32 v180, 0xffff, v17
	;; [unrolled: 1-line block ×3, first 2 shown]
	v_dual_lshrrev_b32 v160, 16, v20 :: v_dual_lshrrev_b32 v158, 16, v21
	v_exp_f32_e32 v64, v64
	v_dual_lshrrev_b32 v154, 16, v22 :: v_dual_lshrrev_b32 v148, 16, v23
	v_and_b32_e32 v172, 0xffff, v21
	v_and_b32_e32 v171, 0xffff, v22
	;; [unrolled: 1-line block ×3, first 2 shown]
	s_wait_dscnt 0x2
	v_dual_lshrrev_b32 v18, 16, v128 :: v_dual_lshrrev_b32 v21, 16, v129
	v_ldexp_f32 v63, v64, v63
	v_dual_lshrrev_b32 v16, 16, v130 :: v_dual_lshrrev_b32 v15, 16, v131
	v_and_b32_e32 v22, 0xffff, v129
	v_and_b32_e32 v23, 0xffff, v130
	s_delay_alu instid0(VALU_DEP_4)
	v_cndmask_b32_e64 v60, 0, v63, s2
	v_cmp_nlt_f32_e64 s2, 0x42b17218, v62
	v_and_b32_e32 v17, 0xffff, v131
	s_wait_dscnt 0x1
	v_dual_lshrrev_b32 v134, 16, v8 :: v_dual_lshrrev_b32 v132, 16, v9
	v_dual_lshrrev_b32 v130, 16, v10 :: v_dual_lshrrev_b32 v129, 16, v11
	v_cndmask_b32_e64 v60, 0x7f800000, v60, s2
	v_and_b32_e32 v136, 0xffff, v8
	v_and_b32_e32 v135, 0xffff, v9
	;; [unrolled: 1-line block ×4, first 2 shown]
	v_pk_fma_f32 v[40:41], v[40:41], v[60:61], v[38:39]
	v_sub_f32_e32 v38, v121, v5
	ds_load_b128 v[182:185], v92 offset:160
	ds_load_b128 v[8:11], v92 offset:176
	v_and_b32_e32 v189, 0xffff, v12
	v_lshrrev_b32_e32 v170, 16, v12
	v_and_b32_e32 v190, 0xffff, v13
	v_mul_f32_e32 v39, 0x3fb8aa3b, v38
	v_cmp_ngt_f32_e32 vcc_lo, 0xc2ce8ed0, v38
	v_dual_lshrrev_b32 v186, 16, v13 :: v_dual_lshrrev_b32 v187, 16, v14
	v_and_b32_e32 v191, 0xffff, v14
	s_delay_alu instid0(VALU_DEP_4) | instskip(SKIP_4) | instid1(VALU_DEP_4)
	v_fma_f32 v62, 0x3fb8aa3b, v38, -v39
	v_rndne_f32_e32 v63, v39
	v_and_b32_e32 v175, 0xffff, v19
	v_and_b32_e32 v178, 0xffff, v20
	;; [unrolled: 1-line block ×3, first 2 shown]
	v_dual_fmac_f32 v62, 0x32a5705f, v38 :: v_dual_sub_f32 v39, v39, v63
	v_cvt_i32_f32_e32 v63, v63
	v_and_b32_e32 v165, 0xffff, v26
	v_dual_lshrrev_b32 v145, 16, v30 :: v_dual_lshrrev_b32 v144, 16, v31
	s_delay_alu instid0(VALU_DEP_4)
	v_dual_add_f32 v39, v39, v62 :: v_dual_sub_f32 v62, v120, v4
	v_mul_u32_u24_e32 v149, 0x10001, v149
	v_and_b32_e32 v146, 0xffff, v31
	v_and_b32_e32 v152, 0xffff, v29
	;; [unrolled: 1-line block ×3, first 2 shown]
	v_mul_f32_e32 v64, 0x3fb8aa3b, v62
	v_exp_f32_e32 v39, v39
	v_cmp_ngt_f32_e64 s2, 0xc2ce8ed0, v62
	v_and_b32_e32 v143, 0xffff, v128
	v_mul_u32_u24_e32 v151, 0x10001, v151
	v_fma_f32 v65, 0x3fb8aa3b, v62, -v64
	v_rndne_f32_e32 v66, v64
	v_mul_u32_u24_e32 v27, 0x10001, v27
	v_ldexp_f32 v39, v39, v63
	v_mul_u32_u24_e32 v28, 0x10001, v28
	v_fmac_f32_e32 v65, 0x32a5705f, v62
	v_sub_f32_e32 v64, v64, v66
	v_cvt_i32_f32_e32 v63, v66
	v_cndmask_b32_e32 v39, 0, v39, vcc_lo
	v_cmp_nlt_f32_e32 vcc_lo, 0x42b17218, v38
	v_mul_u32_u24_e32 v24, 0x10001, v24
	v_add_f32_e32 v64, v64, v65
	v_mul_u32_u24_e32 v16, 0x10001, v16
	v_mul_u32_u24_e32 v18, 0x10001, v18
	v_cndmask_b32_e32 v39, 0x7f800000, v39, vcc_lo
	v_mul_u32_u24_e32 v22, 0x10001, v22
	v_exp_f32_e32 v64, v64
	v_mul_u32_u24_e32 v21, 0x10001, v21
	v_mul_u32_u24_e32 v23, 0x10001, v23
	;; [unrolled: 1-line block ×3, first 2 shown]
	s_wait_dscnt 0x2
	v_dual_lshrrev_b32 v13, 16, v126 :: v_dual_lshrrev_b32 v12, 16, v127
	v_mul_u32_u24_e32 v130, 0x10001, v130
	v_ldexp_f32 v63, v64, v63
	v_and_b32_e32 v137, 0xffff, v124
	v_and_b32_e32 v14, 0xffff, v127
	v_mul_u32_u24_e32 v131, 0x10001, v131
	v_mul_u32_u24_e32 v129, 0x10001, v129
	v_cndmask_b32_e64 v38, 0, v63, s2
	v_cmp_nlt_f32_e64 s2, 0x42b17218, v62
	v_mul_u32_u24_e32 v13, 0x10001, v13
	v_mul_u32_u24_e32 v12, 0x10001, v12
	v_dual_lshrrev_b32 v19, 16, v124 :: v_dual_lshrrev_b32 v20, 16, v125
	s_delay_alu instid0(VALU_DEP_4)
	v_cndmask_b32_e64 v38, 0x7f800000, v38, s2
	v_and_b32_e32 v25, 0xffff, v125
	v_and_b32_e32 v26, 0xffff, v126
	s_wait_dscnt 0x1
	v_dual_lshrrev_b32 v126, 16, v182 :: v_dual_lshrrev_b32 v124, 16, v183
	v_pk_fma_f32 v[42:43], v[42:43], v[38:39], v[36:37]
	v_dual_sub_f32 v36, v119, v3 :: v_dual_lshrrev_b32 v30, 16, v184
	v_lshrrev_b32_e32 v29, 16, v185
	v_and_b32_e32 v128, 0xffff, v182
	v_and_b32_e32 v127, 0xffff, v183
	s_delay_alu instid0(VALU_DEP_4)
	v_mul_f32_e32 v37, 0x3fb8aa3b, v36
	v_cmp_ngt_f32_e32 vcc_lo, 0xc2ce8ed0, v36
	v_and_b32_e32 v125, 0xffff, v184
	v_and_b32_e32 v31, 0xffff, v185
	v_mul_u32_u24_e32 v19, 0x10001, v19
	v_fma_f32 v62, 0x3fb8aa3b, v36, -v37
	v_rndne_f32_e32 v63, v37
	v_mul_u32_u24_e32 v25, 0x10001, v25
	v_mul_u32_u24_e32 v20, 0x10001, v20
	;; [unrolled: 1-line block ×3, first 2 shown]
	s_delay_alu instid0(VALU_DEP_4)
	v_dual_fmac_f32 v62, 0x32a5705f, v36 :: v_dual_sub_f32 v37, v37, v63
	v_cvt_i32_f32_e32 v63, v63
	v_mul_u32_u24_e32 v128, 0x10001, v128
	v_mul_u32_u24_e32 v126, 0x10001, v126
	;; [unrolled: 1-line block ×3, first 2 shown]
	v_add_f32_e32 v37, v37, v62
	s_wait_dscnt 0x0
	v_dual_sub_f32 v62, v118, v2 :: v_dual_lshrrev_b32 v118, 16, v11
	v_mul_u32_u24_e32 v124, 0x10001, v124
	v_mul_u32_u24_e32 v125, 0x10001, v125
	;; [unrolled: 1-line block ×3, first 2 shown]
	s_delay_alu instid0(VALU_DEP_4) | instskip(SKIP_3) | instid1(VALU_DEP_4)
	v_mul_f32_e32 v64, 0x3fb8aa3b, v62
	v_cmp_ngt_f32_e64 s2, 0xc2ce8ed0, v62
	v_mul_u32_u24_e32 v31, 0x10001, v31
	v_mul_u32_u24_e32 v29, 0x10001, v29
	v_fma_f32 v65, 0x3fb8aa3b, v62, -v64
	v_rndne_f32_e32 v66, v64
	s_delay_alu instid0(VALU_DEP_2) | instskip(NEXT) | instid1(VALU_DEP_2)
	v_fmac_f32_e32 v65, 0x32a5705f, v62
	v_sub_f32_e32 v64, v64, v66
	s_delay_alu instid0(VALU_DEP_1) | instskip(SKIP_1) | instid1(VALU_DEP_1)
	v_add_f32_e32 v64, v64, v65
	v_exp_f32_e32 v37, v37
	v_exp_f32_e32 v64, v64
	s_delay_alu instid0(TRANS32_DEP_2) | instskip(SKIP_1) | instid1(VALU_DEP_2)
	v_ldexp_f32 v37, v37, v63
	v_cvt_i32_f32_e32 v63, v66
	v_cndmask_b32_e32 v37, 0, v37, vcc_lo
	s_delay_alu instid0(TRANS32_DEP_1) | instid1(VALU_DEP_2)
	v_ldexp_f32 v63, v64, v63
	v_cmp_nlt_f32_e32 vcc_lo, 0x42b17218, v36
	s_delay_alu instid0(VALU_DEP_2) | instskip(SKIP_2) | instid1(VALU_DEP_2)
	v_cndmask_b32_e64 v36, 0, v63, s2
	v_cmp_nlt_f32_e64 s2, 0x42b17218, v62
	v_cndmask_b32_e32 v37, 0x7f800000, v37, vcc_lo
	v_cndmask_b32_e64 v36, 0x7f800000, v36, s2
	s_delay_alu instid0(VALU_DEP_1) | instskip(SKIP_1) | instid1(VALU_DEP_1)
	v_pk_fma_f32 v[44:45], v[44:45], v[36:37], v[34:35]
	v_sub_f32_e32 v34, v117, v1
	v_mul_f32_e32 v35, 0x3fb8aa3b, v34
	v_cmp_ngt_f32_e32 vcc_lo, 0xc2ce8ed0, v34
	s_delay_alu instid0(VALU_DEP_2) | instskip(SKIP_1) | instid1(VALU_DEP_1)
	v_fma_f32 v62, 0x3fb8aa3b, v34, -v35
	v_rndne_f32_e32 v63, v35
	v_dual_fmac_f32 v62, 0x32a5705f, v34 :: v_dual_sub_f32 v35, v35, v63
	v_cvt_i32_f32_e32 v63, v63
	s_delay_alu instid0(VALU_DEP_2) | instskip(NEXT) | instid1(VALU_DEP_1)
	v_dual_add_f32 v35, v35, v62 :: v_dual_sub_f32 v62, v116, v0
	v_mul_f32_e32 v64, 0x3fb8aa3b, v62
	v_cmp_ngt_f32_e64 s2, 0xc2ce8ed0, v62
	s_delay_alu instid0(VALU_DEP_3) | instskip(NEXT) | instid1(VALU_DEP_2)
	v_exp_f32_e32 v35, v35
	v_fma_f32 v65, 0x3fb8aa3b, v62, -v64
	v_rndne_f32_e32 v66, v64
	s_delay_alu instid0(TRANS32_DEP_1) | instskip(NEXT) | instid1(VALU_DEP_3)
	v_ldexp_f32 v35, v35, v63
	v_fmac_f32_e32 v65, 0x32a5705f, v62
	s_delay_alu instid0(VALU_DEP_3) | instskip(SKIP_1) | instid1(VALU_DEP_4)
	v_sub_f32_e32 v64, v64, v66
	v_cvt_i32_f32_e32 v63, v66
	v_cndmask_b32_e32 v35, 0, v35, vcc_lo
	v_cmp_nlt_f32_e32 vcc_lo, 0x42b17218, v34
	s_delay_alu instid0(VALU_DEP_2) | instskip(NEXT) | instid1(VALU_DEP_1)
	v_dual_add_f32 v64, v64, v65 :: v_dual_cndmask_b32 v35, 0x7f800000, v35
	v_exp_f32_e32 v64, v64
	v_nop
	s_delay_alu instid0(TRANS32_DEP_1) | instskip(NEXT) | instid1(VALU_DEP_1)
	v_ldexp_f32 v63, v64, v63
	v_cndmask_b32_e64 v34, 0, v63, s2
	v_cmp_nlt_f32_e64 s2, 0x42b17218, v62
	s_delay_alu instid0(VALU_DEP_1) | instskip(SKIP_1) | instid1(SALU_CYCLE_1)
	v_cndmask_b32_e64 v34, 0x7f800000, v34, s2
	s_or_b32 s2, s18, 32
	s_ashr_i32 s3, s2, 31
	s_delay_alu instid0(VALU_DEP_1)
	v_pk_fma_f32 v[46:47], v[46:47], v[34:35], v[32:33]
	v_cvt_f16_f32_e32 v32, v34
	v_cvt_f16_f32_e32 v33, v35
	;; [unrolled: 1-line block ×5, first 2 shown]
	v_and_b32_e32 v32, 0xffff, v32
	v_cvt_f16_f32_e32 v37, v39
	v_cvt_f16_f32_e32 v38, v60
	;; [unrolled: 1-line block ×3, first 2 shown]
	s_mul_u64 s[2:3], s[2:3], s[22:23]
	v_mul_u32_u24_e32 v32, 0x10001, v32
	s_lshl_b64 s[2:3], s[2:3], 2
	s_delay_alu instid0(SALU_CYCLE_1) | instskip(NEXT) | instid1(VALU_DEP_1)
	s_add_nc_u64 s[2:3], s[44:45], s[2:3]
	v_pk_mul_f16 v60, v114, v32
	v_pk_mul_f16 v61, v115, v32
	v_and_b32_e32 v32, 0xffff, v33
	s_delay_alu instid0(VALU_DEP_1) | instskip(NEXT) | instid1(VALU_DEP_1)
	v_mul_u32_u24_e32 v32, 0x10001, v32
	v_pk_mul_f16 v62, v112, v32
	v_pk_mul_f16 v63, v113, v32
	v_and_b32_e32 v32, 0xffff, v34
	s_delay_alu instid0(VALU_DEP_1) | instskip(NEXT) | instid1(VALU_DEP_1)
	v_mul_u32_u24_e32 v32, 0x10001, v32
	;; [unrolled: 5-line block ×4, first 2 shown]
	v_pk_mul_f16 v36, v106, v32
	v_pk_mul_f16 v106, v107, v32
	v_and_b32_e32 v32, 0xffff, v37
	v_mul_u32_u24_e32 v107, 0x10001, v193
	s_delay_alu instid0(VALU_DEP_2) | instskip(NEXT) | instid1(VALU_DEP_1)
	v_mul_u32_u24_e32 v32, 0x10001, v32
	v_pk_mul_f16 v37, v104, v32
	v_pk_mul_f16 v104, v105, v32
	v_and_b32_e32 v32, 0xffff, v38
	v_mul_u32_u24_e32 v105, 0x10001, v192
	s_delay_alu instid0(VALU_DEP_2) | instskip(NEXT) | instid1(VALU_DEP_1)
	v_mul_u32_u24_e32 v32, 0x10001, v32
	v_pk_mul_f16 v38, v102, v32
	v_pk_mul_f16 v102, v103, v32
	v_and_b32_e32 v32, 0xffff, v39
	s_delay_alu instid0(VALU_DEP_1) | instskip(NEXT) | instid1(VALU_DEP_1)
	v_mul_u32_u24_e32 v32, 0x10001, v32
	v_pk_mul_f16 v39, v100, v32
	v_pk_mul_f16 v100, v101, v32
	ds_load_2addr_b64 v[32:35], v95 offset1:32
	v_mul_u32_u24_e32 v101, 0x10001, v189
	s_wait_dscnt 0x0
	s_delay_alu instid0(VALU_DEP_1)
	v_pk_fma_f16 v60, v32, v101, v60
	v_pk_fma_f16 v61, v33, v101, v61
	v_mul_u32_u24_e32 v101, 0x10001, v170
	v_pk_fma_f16 v102, v33, v105, v102
	v_pk_fma_f16 v109, v32, v105, v38
	;; [unrolled: 1-line block ×6, first 2 shown]
	v_mul_u32_u24_e32 v101, 0x10001, v190
	v_mul_u32_u24_e32 v60, 0x10001, v159
	;; [unrolled: 1-line block ×3, first 2 shown]
	v_and_b32_e32 v159, 0xffff, v9
	v_and_b32_e32 v170, 0xffff, v8
	v_pk_fma_f16 v64, v32, v101, v64
	v_pk_fma_f16 v65, v33, v101, v65
	v_mul_u32_u24_e32 v101, 0x10001, v186
	v_pk_fma_f16 v110, v34, v60, v62
	v_pk_fma_f16 v111, v35, v60, v63
	;; [unrolled: 1-line block ×6, first 2 shown]
	v_mul_u32_u24_e32 v101, 0x10001, v191
	ds_load_b128 v[60:63], v92 offset:208
	v_pk_fma_f16 v103, v32, v101, v36
	v_pk_fma_f16 v101, v33, v101, v106
	v_mul_u32_u24_e32 v36, 0x10001, v187
	v_mul_u32_u24_e32 v106, 0x10001, v188
	s_delay_alu instid0(VALU_DEP_2) | instskip(NEXT) | instid1(VALU_DEP_2)
	v_pk_fma_f16 v104, v33, v36, v104
	v_pk_fma_f16 v33, v33, v106, v100
	v_mul_u32_u24_e32 v100, 0x10001, v157
	v_pk_fma_f16 v108, v32, v36, v37
	v_pk_fma_f16 v32, v32, v106, v39
	ds_load_b128 v[36:39], v92 offset:192
	v_mul_u32_u24_e32 v106, 0x10001, v195
	v_pk_fma_f16 v66, v34, v100, v66
	v_pk_fma_f16 v67, v35, v100, v67
	v_mul_u32_u24_e32 v100, 0x10001, v153
	v_lshrrev_b32_e32 v153, 16, v8
	v_pk_fma_f16 v113, v34, v106, v103
	v_pk_fma_f16 v101, v35, v106, v101
	v_lshrrev_b32_e32 v121, 16, v10
	v_pk_fma_f16 v108, v34, v100, v108
	v_pk_fma_f16 v104, v35, v100, v104
	v_mul_u32_u24_e32 v100, 0x10001, v155
	v_lshrrev_b32_e32 v155, 16, v9
	v_mul_u32_u24_e32 v9, 0x10001, v181
	v_and_b32_e32 v157, 0xffff, v10
	s_wait_dscnt 0x1
	v_dual_lshrrev_b32 v122, 16, v62 :: v_dual_lshrrev_b32 v119, 16, v63
	v_pk_fma_f16 v114, v34, v100, v109
	v_pk_fma_f16 v102, v35, v100, v102
	v_mul_u32_u24_e32 v100, 0x10001, v147
	s_wait_dscnt 0x0
	v_lshrrev_b32_e32 v109, 16, v36
	v_and_b32_e32 v115, 0xffff, v36
	v_mul_u32_u24_e32 v36, 0x10001, v179
	v_and_b32_e32 v147, 0xffff, v11
	v_pk_fma_f16 v116, v34, v100, v32
	v_pk_fma_f16 v117, v35, v100, v33
	ds_load_2addr_b64 v[32:35], v95 offset0:64 offset1:96
	v_dual_lshrrev_b32 v103, 16, v37 :: v_dual_lshrrev_b32 v8, 16, v39
	v_lshrrev_b32_e32 v10, 16, v38
	v_and_b32_e32 v112, 0xffff, v37
	v_and_b32_e32 v106, 0xffff, v38
	;; [unrolled: 1-line block ×3, first 2 shown]
	v_mul_u32_u24_e32 v37, 0x10001, v175
	v_mul_u32_u24_e32 v38, 0x10001, v173
	v_mul_u32_u24_e32 v39, 0x10001, v178
	v_mul_u32_u24_e32 v115, 0x10001, v115
	v_mul_u32_u24_e32 v109, 0x10001, v109
	v_mul_u32_u24_e32 v112, 0x10001, v112
	v_mul_u32_u24_e32 v103, 0x10001, v103
	v_mul_u32_u24_e32 v106, 0x10001, v106
	v_mul_u32_u24_e32 v10, 0x10001, v10
	v_mul_u32_u24_e32 v100, 0x10001, v100
	v_mul_u32_u24_e32 v8, 0x10001, v8
	s_wait_dscnt 0x0
	v_pk_fma_f16 v11, v32, v9, v105
	v_pk_fma_f16 v9, v33, v9, v107
	;; [unrolled: 1-line block ×4, first 2 shown]
	v_mul_u32_u24_e32 v36, 0x10001, v180
	v_pk_fma_f16 v102, v33, v37, v102
	v_pk_fma_f16 v111, v32, v37, v114
	;; [unrolled: 1-line block ×3, first 2 shown]
	v_mul_u32_u24_e32 v11, 0x10001, v172
	v_pk_fma_f16 v64, v32, v36, v64
	v_pk_fma_f16 v65, v33, v36, v65
	v_mul_u32_u24_e32 v36, 0x10001, v176
	s_delay_alu instid0(VALU_DEP_3) | instskip(NEXT) | instid1(VALU_DEP_3)
	v_pk_fma_f16 v120, v34, v11, v64
	v_pk_fma_f16 v173, v35, v11, v65
	s_delay_alu instid0(VALU_DEP_3) | instskip(SKIP_2) | instid1(VALU_DEP_1)
	v_pk_fma_f16 v66, v32, v36, v66
	v_pk_fma_f16 v67, v33, v36, v67
	v_mul_u32_u24_e32 v36, 0x10001, v177
	v_pk_fma_f16 v110, v32, v36, v113
	v_pk_fma_f16 v101, v33, v36, v101
	v_mul_u32_u24_e32 v36, 0x10001, v174
	v_mul_u32_u24_e32 v113, 0x10001, v158
	v_and_b32_e32 v158, 0xffff, v62
	s_delay_alu instid0(VALU_DEP_3)
	v_pk_fma_f16 v104, v33, v36, v104
	v_pk_fma_f16 v33, v33, v38, v117
	;; [unrolled: 1-line block ×3, first 2 shown]
	v_mul_u32_u24_e32 v9, 0x10001, v160
	v_pk_fma_f16 v108, v32, v36, v108
	v_pk_fma_f16 v32, v32, v38, v116
	ds_load_b128 v[36:39], v92 offset:224
	v_mul_u32_u24_e32 v116, 0x10001, v171
	v_pk_fma_f16 v105, v34, v9, v105
	v_pk_fma_f16 v172, v35, v9, v107
	v_mul_u32_u24_e32 v9, 0x10001, v154
	v_pk_fma_f16 v123, v34, v113, v66
	v_pk_fma_f16 v174, v35, v113, v67
	;; [unrolled: 1-line block ×6, first 2 shown]
	v_mul_u32_u24_e32 v9, 0x10001, v156
	ds_load_b128 v[64:67], v92 offset:240
	v_dual_lshrrev_b32 v154, 16, v60 :: v_dual_lshrrev_b32 v156, 16, v61
	v_and_b32_e32 v171, 0xffff, v60
	v_pk_fma_f16 v111, v34, v9, v111
	v_pk_fma_f16 v102, v35, v9, v102
	v_mul_u32_u24_e32 v9, 0x10001, v148
	v_and_b32_e32 v160, 0xffff, v61
	s_wait_dscnt 0x1
	v_lshrrev_b32_e32 v11, 16, v38
	v_and_b32_e32 v107, 0xffff, v38
	v_mul_u32_u24_e32 v38, 0x10001, v167
	v_pk_fma_f16 v178, v34, v9, v32
	v_pk_fma_f16 v179, v35, v9, v33
	ds_load_2addr_b64 v[32:35], v95 offset0:128 offset1:160
	v_and_b32_e32 v148, 0xffff, v63
	v_dual_lshrrev_b32 v110, 16, v36 :: v_dual_lshrrev_b32 v104, 16, v37
	v_and_b32_e32 v116, 0xffff, v36
	v_mul_u32_u24_e32 v36, 0x10001, v169
	v_and_b32_e32 v113, 0xffff, v37
	v_lshrrev_b32_e32 v9, 16, v39
	v_and_b32_e32 v101, 0xffff, v39
	v_mul_u32_u24_e32 v39, 0x10001, v163
	v_mul_u32_u24_e32 v104, 0x10001, v104
	;; [unrolled: 1-line block ×9, first 2 shown]
	s_wait_dscnt 0x0
	v_pk_fma_f16 v60, v32, v38, v105
	v_pk_fma_f16 v61, v33, v38, v172
	v_mul_u32_u24_e32 v38, 0x10001, v168
	v_pk_fma_f16 v37, v32, v36, v114
	v_pk_fma_f16 v36, v33, v36, v117
	;; [unrolled: 1-line block ×6, first 2 shown]
	v_mul_u32_u24_e32 v38, 0x10001, v164
	s_delay_alu instid0(VALU_DEP_1)
	v_pk_fma_f16 v105, v32, v38, v123
	v_pk_fma_f16 v114, v33, v38, v174
	v_mul_u32_u24_e32 v38, 0x10001, v165
	v_mul_u32_u24_e32 v123, 0x10001, v161
	v_mul_u32_u24_e32 v161, 0x10001, v166
	v_pk_fma_f16 v165, v34, v149, v105
	v_mul_u32_u24_e32 v105, 0x10001, v145
	v_pk_fma_f16 v117, v32, v38, v175
	v_pk_fma_f16 v120, v33, v38, v176
	v_mul_u32_u24_e32 v38, 0x10001, v162
	v_pk_fma_f16 v163, v34, v161, v37
	v_pk_fma_f16 v161, v35, v161, v36
	;; [unrolled: 1-line block ×8, first 2 shown]
	ds_load_b128 v[36:39], v92 offset:256
	v_pk_fma_f16 v173, v34, v105, v108
	v_pk_fma_f16 v162, v35, v105, v162
	v_mul_u32_u24_e32 v105, 0x10001, v146
	v_mul_u32_u24_e32 v123, 0x10001, v150
	;; [unrolled: 1-line block ×3, first 2 shown]
	v_pk_fma_f16 v172, v35, v151, v120
	v_lshrrev_b32_e32 v120, 16, v67
	v_pk_fma_f16 v175, v35, v105, v102
	v_mul_u32_u24_e32 v102, 0x10001, v144
	v_pk_fma_f16 v152, v34, v123, v60
	v_pk_fma_f16 v164, v34, v150, v62
	;; [unrolled: 1-line block ×7, first 2 shown]
	ds_load_2addr_b64 v[32:35], v95 offset0:192 offset1:224
	ds_load_b128 v[60:63], v92 offset:272
	v_lshrrev_b32_e32 v123, 16, v66
	v_and_b32_e32 v144, 0xffff, v67
	s_wait_dscnt 0x2
	v_lshrrev_b32_e32 v67, 16, v38
	v_and_b32_e32 v108, 0xffff, v38
	v_mul_u32_u24_e32 v38, 0x10001, v140
	v_dual_lshrrev_b32 v145, 16, v64 :: v_dual_lshrrev_b32 v146, 16, v65
	v_and_b32_e32 v151, 0xffff, v64
	v_and_b32_e32 v150, 0xffff, v65
	v_dual_lshrrev_b32 v111, 16, v36 :: v_dual_lshrrev_b32 v105, 16, v37
	v_and_b32_e32 v117, 0xffff, v36
	v_mul_u32_u24_e32 v36, 0x10001, v142
	v_and_b32_e32 v114, 0xffff, v37
	v_and_b32_e32 v149, 0xffff, v66
	v_lshrrev_b32_e32 v66, 16, v39
	v_and_b32_e32 v102, 0xffff, v39
	v_mul_u32_u24_e32 v151, 0x10001, v151
	s_wait_dscnt 0x1
	v_pk_fma_f16 v64, v32, v38, v152
	v_pk_fma_f16 v65, v33, v38, v166
	v_mul_u32_u24_e32 v38, 0x10001, v141
	v_pk_fma_f16 v37, v32, v36, v163
	v_pk_fma_f16 v36, v33, v36, v161
	;; [unrolled: 1-line block ×6, first 2 shown]
	v_mul_u32_u24_e32 v38, 0x10001, v138
	v_pk_fma_f16 v64, v34, v18, v64
	v_pk_fma_f16 v65, v35, v18, v65
	v_mul_u32_u24_e32 v117, 0x10001, v117
	v_mul_u32_u24_e32 v111, 0x10001, v111
	v_pk_fma_f16 v138, v32, v38, v165
	v_pk_fma_f16 v142, v33, v38, v168
	v_mul_u32_u24_e32 v38, 0x10001, v139
	v_pk_fma_f16 v168, v34, v22, v140
	s_wait_dscnt 0x0
	v_and_b32_e32 v140, 0xffff, v62
	v_mul_u32_u24_e32 v114, 0x10001, v114
	v_pk_fma_f16 v142, v35, v21, v142
	v_pk_fma_f16 v139, v32, v38, v169
	;; [unrolled: 1-line block ×3, first 2 shown]
	v_mul_u32_u24_e32 v38, 0x10001, v143
	v_pk_fma_f16 v143, v32, v27, v173
	v_pk_fma_f16 v27, v33, v27, v162
	;; [unrolled: 1-line block ×6, first 2 shown]
	ds_load_b128 v[36:39], v92 offset:288
	ds_load_b128 v[162:165], v92 offset:304
	v_pk_fma_f16 v174, v34, v16, v143
	v_pk_fma_f16 v175, v35, v16, v27
	v_mul_u32_u24_e32 v16, 0x10001, v17
	v_pk_fma_f16 v169, v34, v21, v138
	v_pk_fma_f16 v172, v35, v22, v141
	v_pk_fma_f16 v173, v34, v23, v139
	v_pk_fma_f16 v152, v35, v23, v152
	v_pk_fma_f16 v161, v34, v16, v161
	v_pk_fma_f16 v176, v35, v16, v28
	v_pk_fma_f16 v177, v34, v15, v32
	v_pk_fma_f16 v15, v35, v15, v24
	v_dual_lshrrev_b32 v138, 16, v60 :: v_dual_lshrrev_b32 v139, 16, v61
	v_and_b32_e32 v143, 0xffff, v60
	v_mul_u32_u24_e32 v60, 0x10001, v134
	v_and_b32_e32 v141, 0xffff, v61
	v_dual_lshrrev_b32 v32, 16, v62 :: v_dual_lshrrev_b32 v28, 16, v63
	s_wait_dscnt 0x1
	v_dual_lshrrev_b32 v23, 16, v36 :: v_dual_lshrrev_b32 v21, 16, v37
	v_and_b32_e32 v27, 0xffff, v36
	v_and_b32_e32 v24, 0xffff, v37
	ds_load_2addr_b64 v[34:37], v97 offset1:32
	v_dual_lshrrev_b32 v17, 16, v38 :: v_dual_lshrrev_b32 v16, 16, v39
	v_and_b32_e32 v22, 0xffff, v38
	v_mul_u32_u24_e32 v38, 0x10001, v136
	v_mul_u32_u24_e32 v62, 0x10001, v135
	v_and_b32_e32 v33, 0xffff, v63
	v_and_b32_e32 v18, 0xffff, v39
	v_mul_u32_u24_e32 v105, 0x10001, v105
	v_mul_u32_u24_e32 v108, 0x10001, v108
	;; [unrolled: 1-line block ×12, first 2 shown]
	s_wait_dscnt 0x0
	v_pk_fma_f16 v61, v34, v60, v64
	v_mul_u32_u24_e32 v64, 0x10001, v132
	v_mul_u32_u24_e32 v132, 0x10001, v133
	v_pk_fma_f16 v60, v35, v60, v65
	v_pk_fma_f16 v39, v34, v38, v166
	v_pk_fma_f16 v38, v35, v38, v167
	v_pk_fma_f16 v65, v34, v64, v169
	v_pk_fma_f16 v64, v35, v64, v142
	v_pk_fma_f16 v135, v35, v132, v152
	v_pk_fma_f16 v142, v34, v130, v174
	v_pk_fma_f16 v152, v35, v130, v175
	v_pk_fma_f16 v63, v34, v62, v168
	v_pk_fma_f16 v134, v34, v132, v173
	v_mul_u32_u24_e32 v132, 0x10001, v137
	v_pk_fma_f16 v161, v34, v131, v161
	v_pk_fma_f16 v166, v35, v131, v176
	;; [unrolled: 1-line block ×6, first 2 shown]
	v_mul_u32_u24_e32 v13, 0x10001, v14
	v_pk_fma_f16 v129, v36, v132, v39
	v_pk_fma_f16 v167, v37, v132, v38
	ds_load_b128 v[130:133], v92 offset:320
	v_pk_fma_f16 v178, v36, v12, v34
	v_pk_fma_f16 v161, v36, v13, v161
	;; [unrolled: 1-line block ×4, first 2 shown]
	ds_load_2addr_b64 v[12:15], v97 offset0:64 offset1:96
	v_pk_fma_f16 v62, v35, v62, v172
	v_pk_fma_f16 v168, v36, v19, v61
	;; [unrolled: 1-line block ×9, first 2 shown]
	ds_load_b128 v[134:137], v92 offset:336
	v_dual_lshrrev_b32 v61, 16, v162 :: v_dual_lshrrev_b32 v62, 16, v163
	v_and_b32_e32 v65, 0xffff, v162
	v_mul_u32_u24_e32 v162, 0x10001, v170
	s_wait_dscnt 0x2
	v_dual_lshrrev_b32 v34, 16, v130 :: v_dual_lshrrev_b32 v26, 16, v131
	v_dual_lshrrev_b32 v20, 16, v132 :: v_dual_lshrrev_b32 v19, 16, v133
	v_and_b32_e32 v38, 0xffff, v130
	v_and_b32_e32 v36, 0xffff, v131
	;; [unrolled: 1-line block ×4, first 2 shown]
	s_wait_dscnt 0x1
	v_pk_fma_f16 v129, v12, v128, v129
	v_pk_fma_f16 v128, v13, v128, v167
	;; [unrolled: 1-line block ×16, first 2 shown]
	v_mul_u32_u24_e32 v29, 0x10001, v153
	v_pk_fma_f16 v161, v14, v162, v129
	v_mul_u32_u24_e32 v129, 0x10001, v155
	v_pk_fma_f16 v170, v15, v162, v128
	;; [unrolled: 2-line block ×3, first 2 shown]
	v_pk_fma_f16 v172, v15, v29, v126
	v_mul_u32_u24_e32 v29, 0x10001, v121
	v_mul_u32_u24_e32 v153, 0x10001, v157
	v_pk_fma_f16 v157, v14, v128, v131
	v_pk_fma_f16 v159, v14, v129, v132
	v_pk_fma_f16 v173, v15, v128, v127
	v_pk_fma_f16 v142, v14, v29, v142
	v_pk_fma_f16 v176, v15, v29, v30
	v_mul_u32_u24_e32 v29, 0x10001, v147
	v_pk_fma_f16 v174, v15, v129, v124
	v_pk_fma_f16 v175, v14, v153, v133
	;; [unrolled: 1-line block ×3, first 2 shown]
	v_dual_lshrrev_b32 v39, 16, v164 :: v_dual_lshrrev_b32 v37, 16, v165
	v_pk_fma_f16 v147, v14, v29, v152
	v_pk_fma_f16 v152, v15, v29, v31
	v_mul_u32_u24_e32 v29, 0x10001, v118
	v_and_b32_e32 v64, 0xffff, v163
	v_and_b32_e32 v63, 0xffff, v164
	;; [unrolled: 1-line block ×3, first 2 shown]
	ds_load_b128 v[162:165], v92 offset:352
	ds_load_b128 v[166:169], v92 offset:368
	v_pk_fma_f16 v177, v14, v29, v12
	v_pk_fma_f16 v178, v15, v29, v13
	ds_load_2addr_b64 v[12:15], v97 offset0:128 offset1:160
	s_wait_dscnt 0x3
	v_dual_lshrrev_b32 v130, 16, v134 :: v_dual_lshrrev_b32 v131, 16, v135
	v_dual_lshrrev_b32 v128, 16, v136 :: v_dual_lshrrev_b32 v126, 16, v137
	v_and_b32_e32 v133, 0xffff, v135
	v_and_b32_e32 v132, 0xffff, v136
	;; [unrolled: 1-line block ×3, first 2 shown]
	v_mul_u32_u24_e32 v28, 0x10001, v28
	v_mul_u32_u24_e32 v16, 0x10001, v16
	;; [unrolled: 1-line block ×3, first 2 shown]
	v_and_b32_e32 v134, 0xffff, v134
	v_mul_u32_u24_e32 v26, 0x10001, v26
	v_mul_u32_u24_e32 v20, 0x10001, v20
	;; [unrolled: 1-line block ×4, first 2 shown]
	s_wait_dscnt 0x2
	v_dual_lshrrev_b32 v121, 16, v162 :: v_dual_lshrrev_b32 v118, 16, v163
	v_dual_lshrrev_b32 v30, 16, v164 :: v_dual_lshrrev_b32 v29, 16, v165
	s_wait_dscnt 0x0
	v_pk_fma_f16 v135, v12, v115, v161
	v_pk_fma_f16 v115, v13, v115, v170
	;; [unrolled: 1-line block ×16, first 2 shown]
	v_mul_u32_u24_e32 v13, 0x10001, v154
	v_mul_u32_u24_e32 v153, 0x10001, v171
	;; [unrolled: 1-line block ×3, first 2 shown]
	v_and_b32_e32 v127, 0xffff, v162
	v_and_b32_e32 v125, 0xffff, v163
	v_pk_fma_f16 v158, v14, v13, v136
	v_pk_fma_f16 v171, v15, v13, v109
	v_mul_u32_u24_e32 v13, 0x10001, v122
	v_pk_fma_f16 v159, v14, v153, v135
	v_pk_fma_f16 v161, v15, v153, v115
	v_mul_u32_u24_e32 v115, 0x10001, v160
	v_mul_u32_u24_e32 v135, 0x10001, v156
	v_pk_fma_f16 v176, v14, v13, v142
	v_pk_fma_f16 v10, v15, v13, v10
	v_mul_u32_u24_e32 v13, 0x10001, v148
	v_and_b32_e32 v124, 0xffff, v164
	v_and_b32_e32 v31, 0xffff, v165
	ds_load_b128 v[162:165], v92 offset:384
	v_pk_fma_f16 v160, v14, v115, v137
	v_pk_fma_f16 v177, v14, v13, v147
	;; [unrolled: 1-line block ×3, first 2 shown]
	v_mul_u32_u24_e32 v13, 0x10001, v119
	v_pk_fma_f16 v170, v14, v135, v155
	v_pk_fma_f16 v172, v15, v115, v112
	;; [unrolled: 1-line block ×7, first 2 shown]
	ds_load_2addr_b64 v[12:15], v97 offset0:192 offset1:224
	ds_load_b128 v[154:157], v92 offset:400
	v_dual_lshrrev_b32 v152, 16, v166 :: v_dual_lshrrev_b32 v142, 16, v167
	v_and_b32_e32 v153, 0xffff, v166
	v_and_b32_e32 v148, 0xffff, v167
	v_dual_lshrrev_b32 v137, 16, v168 :: v_dual_lshrrev_b32 v135, 16, v169
	s_wait_dscnt 0x2
	v_dual_lshrrev_b32 v103, 16, v164 :: v_dual_lshrrev_b32 v100, 16, v165
	v_and_b32_e32 v115, 0xffff, v164
	v_and_b32_e32 v112, 0xffff, v165
	;; [unrolled: 1-line block ×4, first 2 shown]
	v_dual_lshrrev_b32 v109, 16, v162 :: v_dual_lshrrev_b32 v106, 16, v163
	v_and_b32_e32 v122, 0xffff, v162
	v_and_b32_e32 v119, 0xffff, v163
	v_mul_u32_u24_e32 v126, 0x10001, v126
	v_mul_u32_u24_e32 v29, 0x10001, v29
	s_wait_dscnt 0x1
	v_pk_fma_f16 v164, v12, v104, v170
	v_pk_fma_f16 v104, v13, v104, v173
	;; [unrolled: 1-line block ×6, first 2 shown]
	v_mul_u32_u24_e32 v10, 0x10001, v146
	v_mul_u32_u24_e32 v11, 0x10001, v149
	v_pk_fma_f16 v159, v12, v116, v159
	v_pk_fma_f16 v116, v13, v116, v161
	;; [unrolled: 1-line block ×10, first 2 shown]
	v_mul_u32_u24_e32 v8, 0x10001, v145
	v_mul_u32_u24_e32 v9, 0x10001, v150
	v_pk_fma_f16 v174, v15, v10, v104
	v_pk_fma_f16 v175, v15, v11, v107
	v_mul_u32_u24_e32 v101, 0x10001, v123
	v_mul_u32_u24_e32 v104, 0x10001, v144
	;; [unrolled: 1-line block ×3, first 2 shown]
	v_pk_fma_f16 v170, v14, v151, v159
	v_pk_fma_f16 v171, v15, v151, v116
	ds_load_b128 v[158:161], v92 offset:416
	v_pk_fma_f16 v162, v14, v8, v162
	v_pk_fma_f16 v163, v14, v9, v163
	v_pk_fma_f16 v164, v14, v10, v164
	v_pk_fma_f16 v172, v15, v8, v110
	v_pk_fma_f16 v173, v15, v9, v113
	v_pk_fma_f16 v165, v14, v11, v165
	v_pk_fma_f16 v166, v14, v101, v166
	v_pk_fma_f16 v167, v15, v101, v167
	v_pk_fma_f16 v168, v14, v104, v168
	v_pk_fma_f16 v169, v15, v104, v169
	v_pk_fma_f16 v176, v14, v107, v12
	v_pk_fma_f16 v177, v15, v107, v13
	ds_load_2addr_b64 v[12:15], v98 offset1:32
	ds_load_b128 v[8:11], v92 offset:432
	s_wait_dscnt 0x3
	v_dual_lshrrev_b32 v113, 16, v156 :: v_dual_lshrrev_b32 v107, 16, v157
	v_and_b32_e32 v146, 0xffff, v156
	v_dual_lshrrev_b32 v101, 16, v154 :: v_dual_lshrrev_b32 v104, 16, v155
	s_wait_dscnt 0x2
	v_dual_lshrrev_b32 v116, 16, v160 :: v_dual_lshrrev_b32 v110, 16, v161
	v_and_b32_e32 v149, 0xffff, v160
	v_and_b32_e32 v145, 0xffff, v161
	;; [unrolled: 1-line block ×4, first 2 shown]
	v_dual_lshrrev_b32 v123, 16, v158 :: v_dual_lshrrev_b32 v120, 16, v159
	v_and_b32_e32 v155, 0xffff, v158
	v_and_b32_e32 v151, 0xffff, v159
	v_mul_u32_u24_e32 v136, 0x10001, v136
	v_mul_u32_u24_e32 v135, 0x10001, v135
	v_and_b32_e32 v154, 0xffff, v154
	s_wait_dscnt 0x1
	v_pk_fma_f16 v156, v12, v117, v170
	v_pk_fma_f16 v117, v13, v117, v171
	;; [unrolled: 1-line block ×24, first 2 shown]
	s_wait_dscnt 0x0
	v_lshrrev_b32_e32 v164, 16, v8
	v_pk_fma_f16 v67, v14, v33, v165
	v_pk_fma_f16 v33, v15, v33, v102
	v_dual_lshrrev_b32 v102, 16, v9 :: v_dual_lshrrev_b32 v165, 16, v10
	v_lshrrev_b32_e32 v166, 16, v11
	v_and_b32_e32 v167, 0xffff, v8
	v_and_b32_e32 v168, 0xffff, v9
	;; [unrolled: 1-line block ×4, first 2 shown]
	ds_load_2addr_b64 v[8:11], v98 offset0:64 offset1:96
	v_pk_fma_f16 v14, v14, v28, v12
	v_mul_u32_u24_e32 v12, 0x10001, v27
	v_pk_fma_f16 v111, v15, v138, v111
	v_pk_fma_f16 v114, v15, v141, v114
	;; [unrolled: 1-line block ×5, first 2 shown]
	ds_load_b128 v[156:159], v92 offset:448
	ds_load_b128 v[138:141], v92 offset:464
	v_mul_u32_u24_e32 v13, 0x10001, v18
	v_mul_u32_u24_e32 v122, 0x10001, v122
	;; [unrolled: 1-line block ×10, first 2 shown]
	s_wait_dscnt 0x2
	v_pk_fma_f16 v27, v8, v12, v66
	v_pk_fma_f16 v28, v9, v12, v117
	v_mul_u32_u24_e32 v12, 0x10001, v23
	v_pk_fma_f16 v33, v9, v13, v33
	v_pk_fma_f16 v117, v8, v16, v14
	;; [unrolled: 1-line block ×6, first 2 shown]
	v_mul_u32_u24_e32 v12, 0x10001, v24
	s_wait_dscnt 0x1
	v_dual_lshrrev_b32 v171, 16, v156 :: v_dual_lshrrev_b32 v172, 16, v157
	v_and_b32_e32 v175, 0xffff, v156
	v_and_b32_e32 v176, 0xffff, v157
	v_pk_fma_f16 v24, v8, v12, v160
	v_pk_fma_f16 v114, v9, v12, v114
	v_mul_u32_u24_e32 v12, 0x10001, v21
	v_pk_fma_f16 v28, v11, v65, v28
	s_wait_dscnt 0x0
	v_lshrrev_b32_e32 v65, 16, v138
	v_mul_u32_u24_e32 v104, 0x10001, v104
	v_mul_u32_u24_e32 v113, 0x10001, v113
	v_pk_fma_f16 v21, v8, v12, v161
	v_pk_fma_f16 v105, v9, v12, v105
	v_mul_u32_u24_e32 v12, 0x10001, v22
	v_mul_u32_u24_e32 v144, 0x10001, v144
	;; [unrolled: 1-line block ×5, first 2 shown]
	v_pk_fma_f16 v22, v8, v12, v162
	v_pk_fma_f16 v108, v9, v12, v108
	v_mul_u32_u24_e32 v12, 0x10001, v17
	v_mul_u32_u24_e32 v116, 0x10001, v116
	;; [unrolled: 1-line block ×4, first 2 shown]
	v_dual_lshrrev_b32 v173, 16, v158 :: v_dual_lshrrev_b32 v174, 16, v159
	v_pk_fma_f16 v17, v8, v12, v163
	v_pk_fma_f16 v18, v9, v12, v32
	;; [unrolled: 1-line block ×3, first 2 shown]
	v_add_nc_u64_e32 v[12:13], s[2:3], v[54:55]
	v_add_nc_u64_e32 v[8:9], s[2:3], v[58:59]
	v_and_b32_e32 v158, 0xffff, v158
	v_and_b32_e32 v159, 0xffff, v159
	v_mul_u32_u24_e32 v102, 0x10001, v102
	v_mul_u32_u24_e32 v160, 0x10001, v176
	v_mul_u32_u24_e32 v161, 0x10001, v172
	v_add_nc_u64_e32 v[66:67], v[12:13], v[56:57]
	v_add_nc_u64_e32 v[156:157], v[8:9], v[56:57]
	v_mul_u32_u24_e32 v8, 0x10001, v61
	v_mul_u32_u24_e32 v12, 0x10001, v62
	;; [unrolled: 1-line block ×5, first 2 shown]
	v_pk_fma_f16 v23, v10, v8, v23
	v_pk_fma_f16 v21, v10, v12, v21
	;; [unrolled: 1-line block ×6, first 2 shown]
	ds_load_2addr_b64 v[12:15], v98 offset0:128 offset1:160
	v_mul_u32_u24_e32 v8, 0x10001, v39
	v_pk_fma_f16 v24, v10, v9, v24
	v_pk_fma_f16 v62, v11, v9, v114
	v_dual_lshrrev_b32 v108, 16, v140 :: v_dual_lshrrev_b32 v111, 16, v141
	s_delay_alu instid0(VALU_DEP_4)
	v_pk_fma_f16 v17, v10, v8, v17
	v_pk_fma_f16 v18, v11, v8, v18
	v_mul_u32_u24_e32 v8, 0x10001, v60
	v_and_b32_e32 v114, 0xffff, v138
	v_and_b32_e32 v138, 0xffff, v140
	v_lshrrev_b32_e32 v105, 16, v139
	v_mul_u32_u24_e32 v162, 0x10001, v173
	v_pk_fma_f16 v39, v10, v8, v32
	v_pk_fma_f16 v60, v11, v8, v33
	v_mul_u32_u24_e32 v8, 0x10001, v37
	v_mul_u32_u24_e32 v32, 0x10001, v34
	;; [unrolled: 1-line block ×5, first 2 shown]
	v_pk_fma_f16 v37, v10, v8, v117
	v_pk_fma_f16 v16, v11, v8, v16
	v_mul_u32_u24_e32 v8, 0x10001, v38
	s_wait_dscnt 0x0
	v_pk_fma_f16 v23, v12, v32, v23
	v_pk_fma_f16 v36, v13, v32, v61
	;; [unrolled: 1-line block ×10, first 2 shown]
	v_mul_u32_u24_e32 v62, 0x10001, v134
	v_pk_fma_f16 v63, v12, v20, v17
	v_pk_fma_f16 v64, v13, v20, v18
	;; [unrolled: 1-line block ×6, first 2 shown]
	ds_load_b128 v[16:19], v92 offset:480
	ds_load_2addr_b64 v[8:11], v98 offset0:192 offset1:224
	v_pk_fma_f16 v27, v14, v62, v27
	v_pk_fma_f16 v28, v15, v62, v28
	v_mul_u32_u24_e32 v60, 0x10001, v131
	v_mul_u32_u24_e32 v62, 0x10001, v132
	;; [unrolled: 1-line block ×4, first 2 shown]
	v_and_b32_e32 v117, 0xffff, v139
	v_pk_fma_f16 v131, v14, v60, v21
	v_pk_fma_f16 v26, v15, v60, v26
	;; [unrolled: 1-line block ×3, first 2 shown]
	v_mul_u32_u24_e32 v61, 0x10001, v128
	v_pk_fma_f16 v24, v14, v37, v24
	v_pk_fma_f16 v37, v15, v37, v38
	;; [unrolled: 1-line block ×6, first 2 shown]
	v_mul_u32_u24_e32 v64, 0x10001, v129
	v_pk_fma_f16 v36, v15, v20, v36
	ds_load_b128 v[20:23], v92 offset:496
	s_wait_dscnt 0x2
	v_lshrrev_b32_e32 v63, 16, v16
	v_pk_fma_f16 v128, v14, v126, v12
	v_pk_fma_f16 v39, v14, v64, v39
	;; [unrolled: 1-line block ×3, first 2 shown]
	v_dual_lshrrev_b32 v64, 16, v17 :: v_dual_lshrrev_b32 v129, 16, v18
	v_lshrrev_b32_e32 v132, 16, v19
	v_and_b32_e32 v134, 0xffff, v17
	v_and_b32_e32 v140, 0xffff, v18
	v_mul_u32_u24_e32 v12, 0x10001, v127
	v_mul_u32_u24_e32 v17, 0x10001, v125
	v_mul_u32_u24_e32 v18, 0x10001, v118
	v_and_b32_e32 v139, 0xffff, v141
	v_pk_fma_f16 v126, v15, v126, v13
	v_and_b32_e32 v133, 0xffff, v16
	v_and_b32_e32 v141, 0xffff, v19
	s_wait_dscnt 0x1
	v_pk_fma_f16 v28, v9, v12, v28
	v_mul_u32_u24_e32 v16, 0x10001, v121
	v_mul_u32_u24_e32 v19, 0x10001, v124
	v_pk_fma_f16 v121, v8, v17, v24
	v_pk_fma_f16 v125, v9, v18, v26
	v_mul_u32_u24_e32 v24, 0x10001, v30
	v_mul_u32_u24_e32 v26, 0x10001, v31
	;; [unrolled: 1-line block ×3, first 2 shown]
	v_pk_fma_f16 v27, v8, v12, v27
	v_pk_fma_f16 v118, v8, v16, v130
	;; [unrolled: 1-line block ×14, first 2 shown]
	v_mul_u32_u24_e32 v28, 0x10001, v152
	v_mul_u32_u24_e32 v29, 0x10001, v148
	ds_load_2addr_b64 v[32:35], v99 offset1:32
	ds_load_2addr_b64 v[12:15], v99 offset0:64 offset1:96
	ds_load_2addr_b64 v[16:19], v99 offset0:128 offset1:160
	v_pk_fma_f16 v131, v11, v28, v36
	v_pk_fma_f16 v143, v11, v29, v37
	v_mul_u32_u24_e32 v36, 0x10001, v142
	v_mul_u32_u24_e32 v37, 0x10001, v147
	v_pk_fma_f16 v126, v10, v30, v27
	ds_load_2addr_b64 v[24:27], v99 offset0:192 offset1:224
	s_wait_dscnt 0x0
	s_barrier_signal -1
	s_barrier_wait -1
	v_pk_fma_f16 v118, v10, v28, v118
	v_pk_fma_f16 v121, v10, v29, v121
	global_load_b128 v[28:31], v[66:67], off
	s_wait_xcnt 0x0
	v_pk_fma_f16 v66, v10, v36, v124
	v_pk_fma_f16 v67, v11, v36, v125
	;; [unrolled: 1-line block ×4, first 2 shown]
	global_load_b128 v[36:39], v[156:157], off
	v_mul_u32_u24_e32 v125, 0x10001, v137
	v_pk_fma_f16 v127, v10, v136, v127
	v_pk_fma_f16 v130, v11, v136, v130
	;; [unrolled: 1-line block ×6, first 2 shown]
	v_mul_u32_u24_e32 v135, 0x10001, v154
	v_mul_u32_u24_e32 v137, 0x10001, v150
	;; [unrolled: 1-line block ×3, first 2 shown]
	v_pk_fma_f16 v126, v32, v122, v126
	v_pk_fma_f16 v122, v33, v122, v128
	;; [unrolled: 1-line block ×16, first 2 shown]
	v_mul_u32_u24_e32 v146, 0x10001, v155
	v_mul_u32_u24_e32 v147, 0x10001, v151
	;; [unrolled: 1-line block ×3, first 2 shown]
	v_pk_fma_f16 v32, v34, v135, v126
	v_pk_fma_f16 v33, v35, v135, v122
	;; [unrolled: 1-line block ×16, first 2 shown]
	v_mul_u32_u24_e32 v149, 0x10001, v167
	v_mul_u32_u24_e32 v150, 0x10001, v164
	;; [unrolled: 1-line block ×7, first 2 shown]
	v_pk_fma_f16 v32, v12, v146, v32
	v_pk_fma_f16 v33, v13, v146, v33
	;; [unrolled: 1-line block ×16, first 2 shown]
	s_wait_xcnt 0x0
	v_mul_u32_u24_e32 v156, 0x10001, v175
	v_mul_u32_u24_e32 v157, 0x10001, v171
	;; [unrolled: 1-line block ×3, first 2 shown]
	v_pk_fma_f16 v12, v14, v149, v32
	v_pk_fma_f16 v13, v15, v149, v33
	;; [unrolled: 1-line block ×16, first 2 shown]
	v_mul_u32_u24_e32 v114, 0x10001, v114
	v_mul_u32_u24_e32 v65, 0x10001, v65
	;; [unrolled: 1-line block ×8, first 2 shown]
	v_pk_fma_f16 v12, v16, v156, v12
	v_pk_fma_f16 v13, v17, v156, v13
	;; [unrolled: 1-line block ×16, first 2 shown]
	v_dual_lshrrev_b32 v125, 16, v20 :: v_dual_lshrrev_b32 v136, 16, v21
	v_dual_lshrrev_b32 v10, 16, v22 :: v_dual_lshrrev_b32 v11, 16, v23
	v_and_b32_e32 v20, 0xffff, v20
	v_and_b32_e32 v21, 0xffff, v21
	;; [unrolled: 1-line block ×4, first 2 shown]
	v_mul_u32_u24_e32 v133, 0x10001, v133
	v_mul_u32_u24_e32 v63, 0x10001, v63
	;; [unrolled: 1-line block ×8, first 2 shown]
	v_pk_fma_f16 v12, v18, v114, v12
	v_pk_fma_f16 v13, v19, v114, v13
	;; [unrolled: 1-line block ×16, first 2 shown]
	v_mul_u32_u24_e32 v20, 0x10001, v20
	v_mul_u32_u24_e32 v125, 0x10001, v125
	;; [unrolled: 1-line block ×8, first 2 shown]
	v_pk_fma_f16 v12, v24, v133, v12
	v_pk_fma_f16 v13, v25, v133, v13
	;; [unrolled: 1-line block ×32, first 2 shown]
	s_wait_loadcnt 0x1
	ds_store_b128 v93, v[28:31]
	s_wait_loadcnt 0x0
	ds_store_b128 v94, v[36:39]
	s_wait_dscnt 0x0
	s_barrier_signal -1
	s_barrier_wait -1
	ds_load_b128 v[12:15], v92 offset:512
	ds_load_b128 v[8:11], v92 offset:528
	;; [unrolled: 1-line block ×13, first 2 shown]
	s_wait_dscnt 0xc
	v_dual_lshrrev_b32 v114, 16, v12 :: v_dual_lshrrev_b32 v115, 16, v13
	v_and_b32_e32 v123, 0xffff, v13
	s_wait_dscnt 0xb
	v_dual_lshrrev_b32 v129, 16, v10 :: v_dual_lshrrev_b32 v130, 16, v11
	v_and_b32_e32 v139, 0xffff, v11
	s_wait_dscnt 0xa
	v_dual_lshrrev_b32 v140, 16, v16 :: v_dual_lshrrev_b32 v144, 16, v17
	v_dual_lshrrev_b32 v145, 16, v18 :: v_dual_lshrrev_b32 v168, 16, v19
	v_and_b32_e32 v169, 0xffff, v17
	v_and_b32_e32 v171, 0xffff, v19
	s_wait_dscnt 0x9
	v_dual_lshrrev_b32 v174, 16, v22 :: v_dual_lshrrev_b32 v175, 16, v23
	v_and_b32_e32 v178, 0xffff, v23
	s_wait_dscnt 0x8
	v_dual_lshrrev_b32 v179, 16, v24 :: v_dual_lshrrev_b32 v180, 16, v25
	;; [unrolled: 3-line block ×3, first 2 shown]
	v_and_b32_e32 v190, 0xffff, v30
	v_and_b32_e32 v23, 0xffff, v31
	s_wait_dscnt 0x5
	v_dual_lshrrev_b32 v116, 16, v36 :: v_dual_lshrrev_b32 v30, 16, v37
	v_and_b32_e32 v121, 0xffff, v37
	s_wait_dscnt 0x4
	v_dual_lshrrev_b32 v137, 16, v132 :: v_dual_lshrrev_b32 v122, 16, v133
	;; [unrolled: 3-line block ×3, first 2 shown]
	v_dual_lshrrev_b32 v19, 16, v154 :: v_dual_lshrrev_b32 v13, 16, v155
	v_and_b32_e32 v132, 0xffff, v152
	v_and_b32_e32 v101, 0xffff, v153
	;; [unrolled: 1-line block ×4, first 2 shown]
	ds_load_2addr_b64 v[152:155], v95 offset1:32
	v_and_b32_e32 v120, 0xffff, v12
	v_and_b32_e32 v124, 0xffff, v14
	;; [unrolled: 1-line block ×4, first 2 shown]
	v_dual_lshrrev_b32 v131, 16, v34 :: v_dual_lshrrev_b32 v126, 16, v35
	v_and_b32_e32 v146, 0xffff, v34
	v_dual_lshrrev_b32 v18, 16, v38 :: v_dual_lshrrev_b32 v12, 16, v39
	v_and_b32_e32 v24, 0xffff, v39
	v_mul_u32_u24_e32 v34, 0x10001, v123
	v_mul_u32_u24_e32 v39, 0x10001, v115
	v_dual_lshrrev_b32 v118, 16, v14 :: v_dual_lshrrev_b32 v119, 16, v15
	v_dual_lshrrev_b32 v125, 16, v8 :: v_dual_lshrrev_b32 v128, 16, v9
	v_and_b32_e32 v9, 0xffff, v9
	v_and_b32_e32 v136, 0xffff, v35
	;; [unrolled: 1-line block ×3, first 2 shown]
	s_wait_dscnt 0x0
	v_pk_fma_f16 v35, v152, v34, v104
	v_pk_fma_f16 v104, v152, v39, v105
	v_mul_u32_u24_e32 v105, 0x10001, v124
	v_pk_fma_f16 v34, v153, v34, v106
	v_mul_u32_u24_e32 v9, 0x10001, v9
	v_and_b32_e32 v138, 0xffff, v8
	v_dual_lshrrev_b32 v172, 16, v20 :: v_dual_lshrrev_b32 v173, 16, v21
	v_pk_fma_f16 v100, v152, v105, v100
	v_pk_fma_f16 v103, v153, v105, v103
	v_mul_u32_u24_e32 v105, 0x10001, v118
	v_and_b32_e32 v177, 0xffff, v21
	v_mul_u32_u24_e32 v21, 0x10001, v120
	v_mul_u32_u24_e32 v15, 0x10001, v15
	v_pk_fma_f16 v35, v154, v9, v35
	v_pk_fma_f16 v61, v152, v105, v61
	;; [unrolled: 1-line block ×4, first 2 shown]
	v_mul_u32_u24_e32 v9, 0x10001, v129
	v_and_b32_e32 v10, 0xffff, v10
	v_dual_lshrrev_b32 v181, 16, v26 :: v_dual_lshrrev_b32 v182, 16, v27
	v_and_b32_e32 v186, 0xffff, v27
	v_dual_lshrrev_b32 v187, 16, v28 :: v_dual_lshrrev_b32 v188, 16, v29
	v_and_b32_e32 v189, 0xffff, v28
	v_pk_fma_f16 v27, v152, v21, v110
	v_pk_fma_f16 v21, v153, v21, v111
	v_mul_u32_u24_e32 v28, 0x10001, v114
	v_pk_fma_f16 v39, v153, v39, v108
	v_mul_u32_u24_e32 v106, 0x10001, v119
	v_mul_u32_u24_e32 v108, 0x10001, v138
	v_pk_fma_f16 v60, v152, v15, v60
	v_pk_fma_f16 v15, v153, v15, v65
	;; [unrolled: 1-line block ×4, first 2 shown]
	v_mul_u32_u24_e32 v9, 0x10001, v139
	v_dual_lshrrev_b32 v149, 16, v32 :: v_dual_lshrrev_b32 v141, 16, v33
	v_and_b32_e32 v150, 0xffff, v33
	v_pk_fma_f16 v33, v152, v28, v109
	v_pk_fma_f16 v28, v153, v28, v113
	;; [unrolled: 1-line block ×6, first 2 shown]
	v_mul_u32_u24_e32 v21, 0x10001, v125
	v_mul_u32_u24_e32 v27, 0x10001, v128
	;; [unrolled: 1-line block ×3, first 2 shown]
	v_pk_fma_f16 v60, v154, v9, v60
	v_pk_fma_f16 v110, v155, v9, v15
	v_mul_u32_u24_e32 v9, 0x10001, v130
	v_pk_fma_f16 v106, v154, v21, v33
	v_pk_fma_f16 v104, v154, v27, v104
	;; [unrolled: 1-line block ×8, first 2 shown]
	ds_load_2addr_b64 v[152:155], v95 offset0:64 offset1:96
	v_and_b32_e32 v16, 0xffff, v16
	v_and_b32_e32 v176, 0xffff, v20
	;; [unrolled: 1-line block ×5, first 2 shown]
	v_mul_u32_u24_e32 v16, 0x10001, v16
	v_and_b32_e32 v148, 0xffff, v36
	v_and_b32_e32 v36, 0xffff, v38
	v_dual_lshrrev_b32 v38, 16, v156 :: v_dual_lshrrev_b32 v26, 16, v157
	v_dual_lshrrev_b32 v14, 16, v158 :: v_dual_lshrrev_b32 v8, 16, v159
	v_and_b32_e32 v102, 0xffff, v156
	v_and_b32_e32 v64, 0xffff, v157
	;; [unrolled: 1-line block ×4, first 2 shown]
	ds_load_b128 v[156:159], v92 offset:704
	v_mul_u32_u24_e32 v22, 0x10001, v22
	v_dual_lshrrev_b32 v112, 16, v134 :: v_dual_lshrrev_b32 v107, 16, v135
	s_wait_dscnt 0x1
	v_pk_fma_f16 v66, v152, v16, v66
	v_pk_fma_f16 v16, v153, v16, v105
	v_mul_u32_u24_e32 v105, 0x10001, v140
	v_and_b32_e32 v117, 0xffff, v135
	v_mul_u32_u24_e32 v114, 0x10001, v171
	v_mul_u32_u24_e32 v115, 0x10001, v168
	;; [unrolled: 1-line block ×3, first 2 shown]
	v_pk_fma_f16 v106, v152, v105, v106
	v_pk_fma_f16 v28, v153, v105, v28
	v_mul_u32_u24_e32 v105, 0x10001, v169
	v_pk_fma_f16 v60, v152, v114, v60
	v_pk_fma_f16 v62, v152, v115, v62
	v_and_b32_e32 v142, 0xffff, v133
	v_dual_lshrrev_b32 v123, 16, v160 :: v_dual_lshrrev_b32 v128, 16, v161
	v_pk_fma_f16 v35, v152, v105, v35
	v_pk_fma_f16 v34, v153, v105, v34
	v_mul_u32_u24_e32 v105, 0x10001, v144
	s_wait_dscnt 0x0
	v_dual_lshrrev_b32 v39, 16, v156 :: v_dual_lshrrev_b32 v27, 16, v157
	v_dual_lshrrev_b32 v15, 16, v158 :: v_dual_lshrrev_b32 v9, 16, v159
	s_delay_alu instid0(VALU_DEP_3)
	v_pk_fma_f16 v104, v152, v105, v104
	v_pk_fma_f16 v105, v153, v105, v109
	v_mul_u32_u24_e32 v109, 0x10001, v170
	v_and_b32_e32 v103, 0xffff, v156
	v_and_b32_e32 v65, 0xffff, v157
	;; [unrolled: 1-line block ×4, first 2 shown]
	v_pk_fma_f16 v100, v152, v109, v100
	v_pk_fma_f16 v10, v153, v109, v10
	v_mul_u32_u24_e32 v109, 0x10001, v145
	ds_load_b128 v[156:159], v92 offset:736
	v_dual_lshrrev_b32 v113, 16, v162 :: v_dual_lshrrev_b32 v108, 16, v163
	v_pk_fma_f16 v135, v155, v22, v10
	v_pk_fma_f16 v61, v152, v109, v61
	;; [unrolled: 1-line block ×3, first 2 shown]
	v_mul_u32_u24_e32 v10, 0x10001, v174
	v_pk_fma_f16 v109, v153, v114, v110
	v_pk_fma_f16 v110, v153, v115, v111
	;; [unrolled: 1-line block ×6, first 2 shown]
	v_mul_u32_u24_e32 v10, 0x10001, v178
	v_mul_u32_u24_e32 v16, 0x10001, v172
	;; [unrolled: 1-line block ×4, first 2 shown]
	v_pk_fma_f16 v100, v154, v22, v100
	v_pk_fma_f16 v140, v154, v10, v60
	;; [unrolled: 1-line block ×3, first 2 shown]
	v_mul_u32_u24_e32 v10, 0x10001, v175
	v_pk_fma_f16 v106, v154, v16, v106
	v_pk_fma_f16 v35, v154, v66, v35
	;; [unrolled: 1-line block ×8, first 2 shown]
	ds_load_2addr_b64 v[152:155], v95 offset0:128 offset1:160
	v_and_b32_e32 v143, 0xffff, v160
	v_and_b32_e32 v138, 0xffff, v161
	;; [unrolled: 1-line block ×4, first 2 shown]
	ds_load_b128 v[160:163], v92 offset:752
	s_wait_dscnt 0x2
	v_dual_lshrrev_b32 v60, 16, v156 :: v_dual_lshrrev_b32 v28, 16, v157
	v_and_b32_e32 v104, 0xffff, v156
	v_mul_u32_u24_e32 v156, 0x10001, v183
	v_and_b32_e32 v29, 0xffff, v29
	v_dual_lshrrev_b32 v16, 16, v158 :: v_dual_lshrrev_b32 v10, 16, v159
	v_and_b32_e32 v66, 0xffff, v157
	v_and_b32_e32 v34, 0xffff, v158
	;; [unrolled: 1-line block ×3, first 2 shown]
	v_mul_u32_u24_e32 v157, 0x10001, v186
	v_mul_u32_u24_e32 v158, 0x10001, v182
	;; [unrolled: 1-line block ×4, first 2 shown]
	s_wait_dscnt 0x1
	v_pk_fma_f16 v111, v152, v156, v111
	v_pk_fma_f16 v115, v153, v156, v115
	v_mul_u32_u24_e32 v156, 0x10001, v179
	v_pk_fma_f16 v140, v152, v157, v140
	v_pk_fma_f16 v145, v153, v157, v145
	;; [unrolled: 1-line block ×6, first 2 shown]
	v_mul_u32_u24_e32 v156, 0x10001, v184
	v_pk_fma_f16 v168, v155, v159, v115
	v_mul_u32_u24_e32 v115, 0x10001, v187
	v_mul_u32_u24_e32 v29, 0x10001, v29
	;; [unrolled: 1-line block ×3, first 2 shown]
	v_pk_fma_f16 v35, v152, v156, v35
	v_pk_fma_f16 v130, v153, v156, v130
	v_mul_u32_u24_e32 v156, 0x10001, v180
	v_pk_fma_f16 v111, v154, v159, v111
	v_pk_fma_f16 v106, v154, v115, v106
	;; [unrolled: 1-line block ×6, first 2 shown]
	v_mul_u32_u24_e32 v156, 0x10001, v185
	v_pk_fma_f16 v172, v155, v29, v130
	v_pk_fma_f16 v62, v154, v11, v62
	;; [unrolled: 1-line block ×3, first 2 shown]
	v_mul_u32_u24_e32 v151, 0x10001, v151
	v_pk_fma_f16 v100, v152, v156, v100
	v_pk_fma_f16 v135, v153, v156, v135
	v_mul_u32_u24_e32 v156, 0x10001, v181
	v_mul_u32_u24_e32 v149, 0x10001, v149
	v_and_b32_e32 v127, 0xffff, v134
	v_dual_lshrrev_b32 v124, 16, v164 :: v_dual_lshrrev_b32 v129, 16, v165
	s_delay_alu instid0(VALU_DEP_4)
	v_pk_fma_f16 v61, v152, v156, v61
	v_pk_fma_f16 v67, v153, v156, v67
	v_mul_u32_u24_e32 v152, 0x10001, v188
	v_mul_u32_u24_e32 v153, 0x10001, v190
	ds_load_b128 v[156:159], v92 offset:768
	v_pk_fma_f16 v175, v154, v17, v61
	v_pk_fma_f16 v176, v155, v17, v67
	v_mul_u32_u24_e32 v17, 0x10001, v23
	v_pk_fma_f16 v170, v154, v152, v120
	v_pk_fma_f16 v173, v155, v152, v105
	;; [unrolled: 1-line block ×6, first 2 shown]
	ds_load_2addr_b64 v[152:155], v95 offset0:192 offset1:224
	v_dual_lshrrev_b32 v114, 16, v166 :: v_dual_lshrrev_b32 v109, 16, v167
	v_and_b32_e32 v144, 0xffff, v164
	v_and_b32_e32 v139, 0xffff, v165
	;; [unrolled: 1-line block ×4, first 2 shown]
	ds_load_b128 v[164:167], v92 offset:784
	v_mul_u32_u24_e32 v141, 0x10001, v141
	v_mul_u32_u24_e32 v146, 0x10001, v146
	s_wait_dscnt 0x2
	v_dual_lshrrev_b32 v61, 16, v156 :: v_dual_lshrrev_b32 v29, 16, v157
	v_and_b32_e32 v105, 0xffff, v156
	v_mul_u32_u24_e32 v131, 0x10001, v131
	v_mul_u32_u24_e32 v136, 0x10001, v136
	;; [unrolled: 1-line block ×4, first 2 shown]
	v_dual_lshrrev_b32 v125, 16, v160 :: v_dual_lshrrev_b32 v130, 16, v161
	v_dual_lshrrev_b32 v115, 16, v162 :: v_dual_lshrrev_b32 v110, 16, v163
	s_wait_dscnt 0x1
	v_pk_fma_f16 v111, v152, v151, v111
	v_pk_fma_f16 v151, v153, v151, v168
	;; [unrolled: 1-line block ×4, first 2 shown]
	v_mul_u32_u24_e32 v149, 0x10001, v150
	v_and_b32_e32 v145, 0xffff, v160
	v_and_b32_e32 v140, 0xffff, v161
	;; [unrolled: 1-line block ×3, first 2 shown]
	v_dual_lshrrev_b32 v17, 16, v158 :: v_dual_lshrrev_b32 v11, 16, v159
	v_and_b32_e32 v67, 0xffff, v157
	v_and_b32_e32 v35, 0xffff, v158
	;; [unrolled: 1-line block ×3, first 2 shown]
	v_pk_fma_f16 v157, v152, v149, v169
	v_pk_fma_f16 v158, v153, v149, v172
	;; [unrolled: 1-line block ×14, first 2 shown]
	ds_load_b128 v[148:151], v92 offset:800
	v_mul_u32_u24_e32 v18, 0x10001, v18
	v_mul_u32_u24_e32 v111, 0x10001, v116
	;; [unrolled: 1-line block ×5, first 2 shown]
	v_pk_fma_f16 v160, v154, v18, v160
	v_pk_fma_f16 v175, v155, v18, v131
	v_mul_u32_u24_e32 v18, 0x10001, v24
	v_mul_u32_u24_e32 v12, 0x10001, v12
	v_and_b32_e32 v120, 0xffff, v163
	v_pk_fma_f16 v163, v154, v111, v106
	v_pk_fma_f16 v168, v154, v116, v157
	;; [unrolled: 1-line block ×8, first 2 shown]
	ds_load_b128 v[156:159], v92 offset:816
	v_pk_fma_f16 v161, v154, v18, v161
	v_pk_fma_f16 v176, v155, v18, v136
	;; [unrolled: 1-line block ×4, first 2 shown]
	s_wait_dscnt 0x1
	v_dual_lshrrev_b32 v62, 16, v148 :: v_dual_lshrrev_b32 v30, 16, v149
	v_dual_lshrrev_b32 v18, 16, v150 :: v_dual_lshrrev_b32 v12, 16, v151
	v_and_b32_e32 v106, 0xffff, v148
	v_and_b32_e32 v100, 0xffff, v149
	;; [unrolled: 1-line block ×4, first 2 shown]
	ds_load_2addr_b64 v[148:151], v97 offset1:32
	v_mul_u32_u24_e32 v112, 0x10001, v112
	v_dual_lshrrev_b32 v116, 16, v166 :: v_dual_lshrrev_b32 v111, 16, v167
	v_and_b32_e32 v136, 0xffff, v166
	v_mul_u32_u24_e32 v147, 0x10001, v147
	v_mul_u32_u24_e32 v137, 0x10001, v137
	;; [unrolled: 1-line block ×8, first 2 shown]
	v_dual_lshrrev_b32 v126, 16, v164 :: v_dual_lshrrev_b32 v131, 16, v165
	v_and_b32_e32 v146, 0xffff, v164
	v_and_b32_e32 v141, 0xffff, v165
	;; [unrolled: 1-line block ×3, first 2 shown]
	v_mul_u32_u24_e32 v132, 0x10001, v132
	v_mul_u32_u24_e32 v37, 0x10001, v37
	s_wait_dscnt 0x0
	v_pk_fma_f16 v166, v148, v112, v160
	v_pk_fma_f16 v112, v149, v112, v175
	;; [unrolled: 1-line block ×16, first 2 shown]
	v_mul_u32_u24_e32 v101, 0x10001, v101
	v_mul_u32_u24_e32 v31, 0x10001, v31
	v_mul_u32_u24_e32 v63, 0x10001, v63
	v_pk_fma_f16 v166, v150, v19, v166
	v_pk_fma_f16 v176, v151, v19, v112
	v_mul_u32_u24_e32 v19, 0x10001, v25
	v_mul_u32_u24_e32 v13, 0x10001, v13
	v_pk_fma_f16 v168, v150, v132, v153
	v_pk_fma_f16 v169, v151, v132, v147
	;; [unrolled: 1-line block ×14, first 2 shown]
	ds_load_2addr_b64 v[148:151], v97 offset0:64 offset1:96
	ds_load_b128 v[152:155], v92 offset:832
	ds_load_b128 v[160:163], v92 offset:848
	v_mul_u32_u24_e32 v26, 0x10001, v26
	v_dual_lshrrev_b32 v117, 16, v158 :: v_dual_lshrrev_b32 v112, 16, v159
	v_and_b32_e32 v137, 0xffff, v158
	v_mul_u32_u24_e32 v64, 0x10001, v64
	v_mul_u32_u24_e32 v14, 0x10001, v14
	;; [unrolled: 1-line block ×3, first 2 shown]
	v_dual_lshrrev_b32 v127, 16, v156 :: v_dual_lshrrev_b32 v132, 16, v157
	v_and_b32_e32 v142, 0xffff, v157
	v_mul_u32_u24_e32 v102, 0x10001, v102
	v_mul_u32_u24_e32 v32, 0x10001, v32
	;; [unrolled: 1-line block ×3, first 2 shown]
	v_and_b32_e32 v122, 0xffff, v159
	v_mul_u32_u24_e32 v38, 0x10001, v38
	v_mul_u32_u24_e32 v8, 0x10001, v8
	;; [unrolled: 1-line block ×3, first 2 shown]
	s_wait_dscnt 0x2
	v_pk_fma_f16 v158, v148, v26, v164
	v_pk_fma_f16 v26, v149, v26, v174
	;; [unrolled: 1-line block ×7, first 2 shown]
	v_mul_u32_u24_e32 v26, 0x10001, v113
	s_wait_dscnt 0x1
	v_dual_lshrrev_b32 v63, 16, v152 :: v_dual_lshrrev_b32 v31, 16, v153
	v_and_b32_e32 v107, 0xffff, v152
	v_pk_fma_f16 v152, v148, v102, v168
	v_pk_fma_f16 v102, v149, v102, v169
	;; [unrolled: 1-line block ×6, first 2 shown]
	v_mul_u32_u24_e32 v14, 0x10001, v118
	v_and_b32_e32 v147, 0xffff, v156
	v_pk_fma_f16 v156, v148, v38, v170
	v_pk_fma_f16 v38, v149, v38, v172
	v_pk_fma_f16 v32, v149, v32, v175
	v_pk_fma_f16 v148, v148, v8, v178
	v_pk_fma_f16 v8, v149, v8, v179
	v_pk_fma_f16 v167, v151, v143, v102
	v_mul_u32_u24_e32 v102, 0x10001, v123
	v_mul_u32_u24_e32 v123, 0x10001, v138
	;; [unrolled: 1-line block ×3, first 2 shown]
	v_pk_fma_f16 v165, v150, v14, v165
	v_pk_fma_f16 v177, v151, v14, v20
	v_mul_u32_u24_e32 v14, 0x10001, v108
	v_dual_lshrrev_b32 v19, 16, v154 :: v_dual_lshrrev_b32 v13, 16, v155
	v_and_b32_e32 v101, 0xffff, v153
	v_and_b32_e32 v37, 0xffff, v154
	;; [unrolled: 1-line block ×3, first 2 shown]
	v_pk_fma_f16 v166, v150, v143, v152
	ds_load_b128 v[152:155], v92 offset:864
	v_pk_fma_f16 v168, v150, v102, v156
	v_pk_fma_f16 v169, v150, v123, v157
	;; [unrolled: 1-line block ×10, first 2 shown]
	ds_load_2addr_b64 v[148:151], v97 offset0:128 offset1:160
	v_mul_u32_u24_e32 v103, 0x10001, v103
	v_mul_u32_u24_e32 v39, 0x10001, v39
	;; [unrolled: 1-line block ×8, first 2 shown]
	ds_load_b128 v[156:159], v92 offset:880
	s_wait_dscnt 0x3
	v_dual_lshrrev_b32 v123, 16, v160 :: v_dual_lshrrev_b32 v128, 16, v161
	v_dual_lshrrev_b32 v118, 16, v162 :: v_dual_lshrrev_b32 v108, 16, v163
	v_and_b32_e32 v143, 0xffff, v160
	v_and_b32_e32 v138, 0xffff, v161
	;; [unrolled: 1-line block ×4, first 2 shown]
	s_wait_dscnt 0x2
	v_dual_lshrrev_b32 v32, 16, v152 :: v_dual_lshrrev_b32 v26, 16, v153
	v_and_b32_e32 v102, 0xffff, v152
	s_wait_dscnt 0x1
	v_pk_fma_f16 v152, v148, v103, v166
	v_pk_fma_f16 v103, v149, v103, v167
	;; [unrolled: 1-line block ×16, first 2 shown]
	v_mul_u32_u24_e32 v9, 0x10001, v124
	v_mul_u32_u24_e32 v144, 0x10001, v144
	;; [unrolled: 1-line block ×4, first 2 shown]
	v_dual_lshrrev_b32 v14, 16, v154 :: v_dual_lshrrev_b32 v8, 16, v155
	v_pk_fma_f16 v168, v150, v9, v160
	v_pk_fma_f16 v171, v151, v9, v39
	v_mul_u32_u24_e32 v9, 0x10001, v114
	v_pk_fma_f16 v167, v151, v144, v103
	v_mul_u32_u24_e32 v103, 0x10001, v139
	v_and_b32_e32 v64, 0xffff, v153
	v_and_b32_e32 v38, 0xffff, v154
	v_pk_fma_f16 v176, v151, v9, v15
	v_mul_u32_u24_e32 v15, 0x10001, v119
	v_and_b32_e32 v20, 0xffff, v155
	v_pk_fma_f16 v166, v150, v144, v152
	ds_load_b128 v[152:155], v92 offset:896
	v_pk_fma_f16 v169, v150, v103, v161
	v_pk_fma_f16 v177, v151, v15, v21
	v_mul_u32_u24_e32 v21, 0x10001, v109
	v_pk_fma_f16 v170, v150, v124, v162
	v_pk_fma_f16 v172, v151, v103, v65
	v_pk_fma_f16 v173, v151, v124, v27
	v_pk_fma_f16 v174, v150, v129, v163
	v_pk_fma_f16 v175, v151, v129, v33
	v_pk_fma_f16 v164, v150, v9, v164
	v_pk_fma_f16 v165, v150, v15, v165
	v_pk_fma_f16 v178, v150, v21, v148
	v_pk_fma_f16 v179, v151, v21, v149
	ds_load_2addr_b64 v[148:151], v97 offset0:192 offset1:224
	v_mul_u32_u24_e32 v104, 0x10001, v104
	v_mul_u32_u24_e32 v60, 0x10001, v60
	;; [unrolled: 1-line block ×8, first 2 shown]
	ds_load_b128 v[160:163], v92 offset:912
	s_wait_dscnt 0x3
	v_dual_lshrrev_b32 v9, 16, v156 :: v_dual_lshrrev_b32 v15, 16, v157
	v_dual_lshrrev_b32 v33, 16, v158 :: v_dual_lshrrev_b32 v21, 16, v159
	v_and_b32_e32 v144, 0xffff, v156
	v_and_b32_e32 v129, 0xffff, v157
	;; [unrolled: 1-line block ×4, first 2 shown]
	s_wait_dscnt 0x2
	v_dual_lshrrev_b32 v103, 16, v152 :: v_dual_lshrrev_b32 v65, 16, v153
	v_and_b32_e32 v139, 0xffff, v152
	s_wait_dscnt 0x1
	v_pk_fma_f16 v152, v148, v104, v166
	v_pk_fma_f16 v104, v149, v104, v167
	v_pk_fma_f16 v156, v148, v60, v168
	v_pk_fma_f16 v60, v149, v60, v171
	v_pk_fma_f16 v157, v148, v66, v169
	v_pk_fma_f16 v66, v149, v66, v172
	v_pk_fma_f16 v158, v148, v28, v170
	v_pk_fma_f16 v28, v149, v28, v173
	v_pk_fma_f16 v159, v148, v34, v174
	v_pk_fma_f16 v34, v149, v34, v175
	v_pk_fma_f16 v164, v148, v16, v164
	v_pk_fma_f16 v16, v149, v16, v176
	v_pk_fma_f16 v165, v148, v22, v165
	v_pk_fma_f16 v22, v149, v22, v177
	v_pk_fma_f16 v148, v148, v10, v178
	v_pk_fma_f16 v149, v149, v10, v179
	v_mul_u32_u24_e32 v10, 0x10001, v125
	v_mul_u32_u24_e32 v145, 0x10001, v145
	;; [unrolled: 1-line block ×4, first 2 shown]
	v_dual_lshrrev_b32 v39, 16, v154 :: v_dual_lshrrev_b32 v27, 16, v155
	v_pk_fma_f16 v168, v150, v10, v156
	v_pk_fma_f16 v171, v151, v10, v60
	v_mul_u32_u24_e32 v10, 0x10001, v115
	v_pk_fma_f16 v167, v151, v145, v104
	v_mul_u32_u24_e32 v104, 0x10001, v140
	v_and_b32_e32 v134, 0xffff, v153
	v_and_b32_e32 v124, 0xffff, v154
	v_pk_fma_f16 v176, v151, v10, v16
	v_mul_u32_u24_e32 v16, 0x10001, v120
	v_and_b32_e32 v114, 0xffff, v155
	v_pk_fma_f16 v166, v150, v145, v152
	ds_load_b128 v[152:155], v92 offset:928
	v_pk_fma_f16 v169, v150, v104, v157
	v_pk_fma_f16 v177, v151, v16, v22
	v_mul_u32_u24_e32 v22, 0x10001, v110
	v_pk_fma_f16 v170, v150, v125, v158
	v_pk_fma_f16 v172, v151, v104, v66
	;; [unrolled: 1-line block ×9, first 2 shown]
	ds_load_2addr_b64 v[148:151], v98 offset1:32
	v_mul_u32_u24_e32 v105, 0x10001, v105
	v_mul_u32_u24_e32 v61, 0x10001, v61
	;; [unrolled: 1-line block ×8, first 2 shown]
	ds_load_b128 v[156:159], v92 offset:944
	s_wait_dscnt 0x3
	v_dual_lshrrev_b32 v10, 16, v160 :: v_dual_lshrrev_b32 v16, 16, v161
	v_dual_lshrrev_b32 v34, 16, v162 :: v_dual_lshrrev_b32 v22, 16, v163
	v_and_b32_e32 v140, 0xffff, v160
	v_and_b32_e32 v130, 0xffff, v161
	;; [unrolled: 1-line block ×4, first 2 shown]
	s_wait_dscnt 0x2
	v_dual_lshrrev_b32 v104, 16, v152 :: v_dual_lshrrev_b32 v66, 16, v153
	v_and_b32_e32 v145, 0xffff, v152
	s_wait_dscnt 0x1
	v_pk_fma_f16 v152, v148, v105, v166
	v_pk_fma_f16 v105, v149, v105, v167
	;; [unrolled: 1-line block ×10, first 2 shown]
	v_mul_u32_u24_e32 v146, 0x10001, v146
	v_pk_fma_f16 v164, v148, v17, v164
	v_pk_fma_f16 v17, v149, v17, v176
	v_pk_fma_f16 v165, v148, v23, v165
	v_pk_fma_f16 v23, v149, v23, v177
	v_pk_fma_f16 v148, v148, v11, v178
	v_pk_fma_f16 v11, v149, v11, v179
	v_mul_u32_u24_e32 v126, 0x10001, v126
	v_mul_u32_u24_e32 v141, 0x10001, v141
	;; [unrolled: 1-line block ×7, first 2 shown]
	v_dual_lshrrev_b32 v60, 16, v154 :: v_dual_lshrrev_b32 v28, 16, v155
	v_and_b32_e32 v135, 0xffff, v153
	v_and_b32_e32 v125, 0xffff, v154
	;; [unrolled: 1-line block ×3, first 2 shown]
	v_pk_fma_f16 v166, v150, v146, v152
	v_pk_fma_f16 v105, v151, v146, v105
	ds_load_b128 v[152:155], v92 offset:960
	v_pk_fma_f16 v146, v150, v126, v160
	v_pk_fma_f16 v167, v150, v141, v161
	;; [unrolled: 1-line block ×14, first 2 shown]
	ds_load_2addr_b64 v[148:151], v98 offset0:64 offset1:96
	v_mul_u32_u24_e32 v106, 0x10001, v106
	v_mul_u32_u24_e32 v62, 0x10001, v62
	ds_load_b128 v[160:163], v92 offset:976
	v_mul_u32_u24_e32 v30, 0x10001, v30
	s_wait_dscnt 0x2
	v_dual_lshrrev_b32 v172, 16, v152 :: v_dual_lshrrev_b32 v173, 16, v153
	v_and_b32_e32 v176, 0xffff, v152
	v_mul_u32_u24_e32 v18, 0x10001, v18
	v_mul_u32_u24_e32 v24, 0x10001, v24
	;; [unrolled: 1-line block ×3, first 2 shown]
	v_dual_lshrrev_b32 v174, 16, v154 :: v_dual_lshrrev_b32 v175, 16, v155
	v_and_b32_e32 v177, 0xffff, v153
	v_and_b32_e32 v178, 0xffff, v154
	;; [unrolled: 1-line block ×3, first 2 shown]
	v_mul_u32_u24_e32 v63, 0x10001, v63
	v_mul_u32_u24_e32 v31, 0x10001, v31
	;; [unrolled: 1-line block ×4, first 2 shown]
	s_wait_dscnt 0x1
	v_pk_fma_f16 v152, v148, v106, v166
	v_pk_fma_f16 v105, v149, v106, v105
	v_pk_fma_f16 v106, v148, v62, v146
	v_pk_fma_f16 v61, v149, v62, v61
	v_mul_u32_u24_e32 v62, 0x10001, v100
	v_pk_fma_f16 v29, v149, v30, v29
	v_pk_fma_f16 v17, v149, v18, v17
	;; [unrolled: 1-line block ×7, first 2 shown]
	v_mul_u32_u24_e32 v30, 0x10001, v36
	v_mul_u32_u24_e32 v107, 0x10001, v107
	v_dual_lshrrev_b32 v116, 16, v156 :: v_dual_lshrrev_b32 v121, 16, v157
	v_dual_lshrrev_b32 v111, 16, v158 :: v_dual_lshrrev_b32 v164, 16, v159
	s_delay_alu instid0(VALU_DEP_4)
	v_pk_fma_f16 v36, v148, v30, v126
	v_pk_fma_f16 v30, v149, v30, v35
	v_mul_u32_u24_e32 v35, 0x10001, v147
	v_pk_fma_f16 v126, v148, v18, v131
	v_pk_fma_f16 v18, v148, v24, v136
	;; [unrolled: 1-line block ×3, first 2 shown]
	ds_load_b128 v[146:149], v92 offset:992
	v_pk_fma_f16 v12, v150, v35, v152
	v_pk_fma_f16 v35, v151, v35, v105
	v_mul_u32_u24_e32 v105, 0x10001, v127
	v_mul_u32_u24_e32 v127, 0x10001, v142
	;; [unrolled: 1-line block ×4, first 2 shown]
	ds_load_b128 v[152:155], v92 offset:1008
	v_pk_fma_f16 v106, v150, v105, v106
	v_pk_fma_f16 v61, v151, v105, v61
	;; [unrolled: 1-line block ×8, first 2 shown]
	v_mul_u32_u24_e32 v105, 0x10001, v117
	v_and_b32_e32 v165, 0xffff, v156
	v_and_b32_e32 v169, 0xffff, v157
	;; [unrolled: 1-line block ×3, first 2 shown]
	s_wait_dscnt 0x1
	v_dual_lshrrev_b32 v137, 16, v146 :: v_dual_lshrrev_b32 v141, 16, v147
	v_dual_lshrrev_b32 v142, 16, v148 :: v_dual_lshrrev_b32 v166, 16, v149
	v_and_b32_e32 v167, 0xffff, v146
	v_and_b32_e32 v168, 0xffff, v147
	;; [unrolled: 1-line block ×4, first 2 shown]
	ds_load_2addr_b64 v[146:149], v98 offset0:128 offset1:160
	v_and_b32_e32 v171, 0xffff, v159
	v_pk_fma_f16 v117, v150, v105, v126
	v_pk_fma_f16 v17, v151, v105, v17
	;; [unrolled: 1-line block ×5, first 2 shown]
	v_mul_u32_u24_e32 v19, 0x10001, v19
	v_mul_u32_u24_e32 v25, 0x10001, v25
	;; [unrolled: 1-line block ×3, first 2 shown]
	ds_load_2addr_b64 v[156:159], v98 offset0:192 offset1:224
	v_pk_fma_f16 v18, v150, v122, v18
	v_dual_lshrrev_b32 v105, 16, v160 :: v_dual_lshrrev_b32 v122, 16, v161
	v_dual_lshrrev_b32 v112, 16, v162 :: v_dual_lshrrev_b32 v126, 16, v163
	v_and_b32_e32 v127, 0xffff, v160
	v_and_b32_e32 v131, 0xffff, v161
	;; [unrolled: 1-line block ×4, first 2 shown]
	s_wait_dscnt 0x1
	v_pk_fma_f16 v106, v146, v63, v106
	v_pk_fma_f16 v61, v147, v63, v61
	v_mul_u32_u24_e32 v63, 0x10001, v101
	v_pk_fma_f16 v29, v147, v31, v29
	v_pk_fma_f16 v12, v146, v107, v12
	;; [unrolled: 1-line block ×7, first 2 shown]
	v_mul_u32_u24_e32 v31, 0x10001, v37
	v_pk_fma_f16 v37, v146, v19, v117
	v_pk_fma_f16 v19, v147, v25, v23
	;; [unrolled: 1-line block ×6, first 2 shown]
	v_mul_u32_u24_e32 v31, 0x10001, v143
	v_mul_u32_u24_e32 v24, 0x10001, v123
	v_pk_fma_f16 v18, v146, v25, v18
	v_mul_u32_u24_e32 v25, 0x10001, v138
	ds_load_2addr_b64 v[160:163], v99 offset1:32
	v_pk_fma_f16 v12, v148, v31, v12
	v_pk_fma_f16 v13, v149, v31, v35
	v_mul_u32_u24_e32 v31, 0x10001, v128
	v_mul_u32_u24_e32 v35, 0x10001, v133
	v_pk_fma_f16 v67, v148, v24, v106
	v_pk_fma_f16 v24, v149, v24, v61
	v_mul_u32_u24_e32 v61, 0x10001, v108
	v_pk_fma_f16 v63, v148, v31, v63
	v_pk_fma_f16 v29, v149, v31, v29
	;; [unrolled: 1-line block ×4, first 2 shown]
	v_mul_u32_u24_e32 v35, 0x10001, v118
	v_mul_u32_u24_e32 v102, 0x10001, v102
	;; [unrolled: 1-line block ×4, first 2 shown]
	v_pk_fma_f16 v100, v148, v25, v100
	v_pk_fma_f16 v36, v148, v35, v37
	v_mul_u32_u24_e32 v37, 0x10001, v113
	v_pk_fma_f16 v25, v149, v25, v62
	v_pk_fma_f16 v17, v149, v35, v17
	;; [unrolled: 1-line block ×6, first 2 shown]
	s_wait_dscnt 0x1
	v_pk_fma_f16 v12, v156, v102, v12
	v_pk_fma_f16 v13, v157, v102, v13
	v_mul_u32_u24_e32 v32, 0x10001, v32
	v_mul_u32_u24_e32 v64, 0x10001, v64
	v_pk_fma_f16 v63, v156, v26, v63
	v_pk_fma_f16 v26, v157, v26, v29
	;; [unrolled: 1-line block ×3, first 2 shown]
	v_mul_u32_u24_e32 v14, 0x10001, v14
	v_mul_u32_u24_e32 v20, 0x10001, v20
	;; [unrolled: 1-line block ×4, first 2 shown]
	ds_load_2addr_b64 v[146:149], v99 offset0:64 offset1:96
	v_pk_fma_f16 v67, v156, v32, v67
	v_pk_fma_f16 v24, v157, v32, v24
	;; [unrolled: 1-line block ×13, first 2 shown]
	v_mul_u32_u24_e32 v9, 0x10001, v9
	v_mul_u32_u24_e32 v13, 0x10001, v129
	;; [unrolled: 1-line block ×15, first 2 shown]
	v_pk_fma_f16 v67, v158, v9, v67
	v_pk_fma_f16 v32, v158, v13, v32
	;; [unrolled: 1-line block ×14, first 2 shown]
	v_dual_lshrrev_b32 v35, 16, v152 :: v_dual_lshrrev_b32 v37, 16, v153
	v_and_b32_e32 v101, 0xffff, v152
	v_and_b32_e32 v106, 0xffff, v153
	ds_load_2addr_b64 v[150:153], v99 offset0:128 offset1:160
	v_mul_u32_u24_e32 v103, 0x10001, v140
	v_mul_u32_u24_e32 v10, 0x10001, v10
	;; [unrolled: 1-line block ×8, first 2 shown]
	s_wait_dscnt 0x2
	v_pk_fma_f16 v11, v160, v33, v11
	v_pk_fma_f16 v12, v161, v33, v12
	;; [unrolled: 1-line block ×16, first 2 shown]
	v_mul_u32_u24_e32 v114, 0x10001, v145
	v_mul_u32_u24_e32 v104, 0x10001, v104
	;; [unrolled: 1-line block ×8, first 2 shown]
	v_pk_fma_f16 v11, v162, v103, v11
	v_pk_fma_f16 v12, v163, v103, v12
	;; [unrolled: 1-line block ×16, first 2 shown]
	v_dual_lshrrev_b32 v61, 16, v154 :: v_dual_lshrrev_b32 v62, 16, v155
	v_and_b32_e32 v107, 0xffff, v154
	v_and_b32_e32 v108, 0xffff, v155
	ds_load_2addr_b64 v[154:157], v99 offset0:192 offset1:224
	v_mul_u32_u24_e32 v119, 0x10001, v165
	v_mul_u32_u24_e32 v116, 0x10001, v116
	;; [unrolled: 1-line block ×8, first 2 shown]
	s_wait_dscnt 0x2
	v_pk_fma_f16 v11, v146, v114, v11
	v_pk_fma_f16 v12, v147, v114, v12
	;; [unrolled: 1-line block ×16, first 2 shown]
	s_wait_dscnt 0x0
	s_barrier_signal -1
	s_barrier_wait -1
	s_load_b32 s2, s[46:47], 0x4
	v_mul_u32_u24_e32 v128, 0x10001, v176
	v_mul_u32_u24_e32 v129, 0x10001, v172
	v_mul_u32_u24_e32 v130, 0x10001, v177
	v_mul_u32_u24_e32 v133, 0x10001, v173
	v_mul_u32_u24_e32 v134, 0x10001, v178
	v_mul_u32_u24_e32 v135, 0x10001, v174
	v_mul_u32_u24_e32 v138, 0x10001, v179
	v_mul_u32_u24_e32 v139, 0x10001, v175
	v_pk_fma_f16 v11, v148, v119, v11
	v_pk_fma_f16 v12, v149, v119, v12
	v_pk_fma_f16 v21, v148, v116, v21
	v_pk_fma_f16 v22, v148, v120, v22
	v_pk_fma_f16 v23, v148, v121, v23
	v_pk_fma_f16 v15, v148, v123, v15
	v_pk_fma_f16 v9, v149, v116, v9
	v_pk_fma_f16 v10, v149, v120, v10
	v_pk_fma_f16 v13, v149, v121, v13
	v_pk_fma_f16 v16, v149, v123, v16
	v_pk_fma_f16 v20, v148, v111, v20
	v_pk_fma_f16 v17, v148, v124, v17
	v_pk_fma_f16 v19, v148, v125, v19
	v_pk_fma_f16 v14, v149, v111, v14
	v_pk_fma_f16 v18, v149, v124, v18
	v_pk_fma_f16 v8, v149, v125, v8
	v_mul_u32_u24_e32 v127, 0x10001, v127
	v_mul_u32_u24_e32 v105, 0x10001, v105
	v_mul_u32_u24_e32 v131, 0x10001, v131
	v_mul_u32_u24_e32 v122, 0x10001, v122
	v_mul_u32_u24_e32 v132, 0x10001, v132
	v_mul_u32_u24_e32 v112, 0x10001, v112
	v_mul_u32_u24_e32 v136, 0x10001, v136
	v_mul_u32_u24_e32 v126, 0x10001, v126
	v_pk_fma_f16 v11, v150, v128, v11
	v_pk_fma_f16 v12, v151, v128, v12
	v_pk_fma_f16 v21, v150, v129, v21
	v_pk_fma_f16 v9, v151, v129, v9
	v_pk_fma_f16 v22, v150, v130, v22
	v_pk_fma_f16 v10, v151, v130, v10
	v_pk_fma_f16 v23, v150, v133, v23
	v_pk_fma_f16 v13, v151, v133, v13
	v_pk_fma_f16 v15, v150, v134, v15
	v_pk_fma_f16 v16, v151, v134, v16
	v_pk_fma_f16 v20, v150, v135, v20
	v_pk_fma_f16 v14, v151, v135, v14
	v_pk_fma_f16 v17, v150, v138, v17
	v_pk_fma_f16 v18, v151, v138, v18
	v_pk_fma_f16 v19, v150, v139, v19
	v_pk_fma_f16 v8, v151, v139, v8
	;; [unrolled: 24-line block ×4, first 2 shown]
	s_wait_kmcnt 0x0
	s_lshl_b32 s2, s2, 6
	v_pk_fma_f16 v114, v156, v101, v11
	v_pk_fma_f16 v115, v157, v101, v12
	v_pk_fma_f16 v112, v156, v35, v21
	v_pk_fma_f16 v110, v156, v165, v22
	v_pk_fma_f16 v108, v156, v37, v23
	v_pk_fma_f16 v106, v156, v107, v15
	v_pk_fma_f16 v104, v156, v61, v20
	v_pk_fma_f16 v102, v156, v166, v17
	v_pk_fma_f16 v100, v156, v62, v19
	v_pk_fma_f16 v113, v157, v35, v9
	v_pk_fma_f16 v111, v157, v165, v10
	v_pk_fma_f16 v109, v157, v37, v13
	v_pk_fma_f16 v107, v157, v107, v16
	v_pk_fma_f16 v105, v157, v61, v14
	v_pk_fma_f16 v103, v157, v166, v18
	v_pk_fma_f16 v101, v157, v62, v8
	s_add_co_i32 s18, s2, s18
	s_delay_alu instid0(SALU_CYCLE_1)
	s_cmp_ge_i32 s18, s38
	s_cbranch_scc0 .LBB17_9
; %bb.10:
	v_dual_mov_b32 v8, 32 :: v_dual_mov_b32 v9, v83
.LBB17_11:
	s_delay_alu instid0(VALU_DEP_1)
	v_cmp_lt_i32_e32 vcc_lo, v86, v8
	s_cmp_lg_u64 s[20:21], 0
	s_cselect_b32 s2, -1, 0
	s_cmp_eq_u32 s33, 0
	v_cndmask_b32_e32 v10, v9, v86, vcc_lo
	v_cmp_lt_i32_e32 vcc_lo, v85, v8
	s_cselect_b32 s3, -1, 0
	s_delay_alu instid0(SALU_CYCLE_1) | instskip(SKIP_3) | instid1(VALU_DEP_3)
	s_and_b32 s2, s3, s2
	v_cndmask_b32_e32 v18, v9, v85, vcc_lo
	v_cmp_lt_i32_e32 vcc_lo, v84, v8
	v_lshlrev_b32_e32 v17, 2, v10
	v_dual_cndmask_b32 v26, v9, v84 :: v_dual_lshlrev_b32 v25, 2, v18
	ds_bpermute_b32 v10, v17, v46
	ds_bpermute_b32 v11, v17, v47
	;; [unrolled: 1-line block ×8, first 2 shown]
	v_lshlrev_b32_e32 v26, 2, v26
	v_cmp_lt_i32_e32 vcc_lo, v82, v8
	s_wait_dscnt 0x6
	v_pk_add_f32 v[10:11], v[46:47], v[10:11]
	s_wait_dscnt 0x4
	v_pk_add_f32 v[12:13], v[44:45], v[12:13]
	;; [unrolled: 2-line block ×3, first 2 shown]
	ds_bpermute_b32 v18, v25, v10
	s_wait_dscnt 0x1
	v_pk_add_f32 v[16:17], v[40:41], v[16:17]
	ds_bpermute_b32 v19, v25, v11
	ds_bpermute_b32 v20, v25, v12
	;; [unrolled: 1-line block ×7, first 2 shown]
	s_wait_dscnt 0x6
	v_pk_add_f32 v[10:11], v[10:11], v[18:19]
	s_wait_dscnt 0x4
	v_pk_add_f32 v[12:13], v[12:13], v[20:21]
	;; [unrolled: 2-line block ×3, first 2 shown]
	ds_bpermute_b32 v18, v26, v10
	s_wait_dscnt 0x1
	v_pk_add_f32 v[16:17], v[16:17], v[24:25]
	ds_bpermute_b32 v19, v26, v11
	ds_bpermute_b32 v20, v26, v12
	;; [unrolled: 1-line block ×7, first 2 shown]
	v_cndmask_b32_e32 v26, v9, v82, vcc_lo
	v_cmp_lt_i32_e32 vcc_lo, v81, v8
	s_delay_alu instid0(VALU_DEP_2)
	v_dual_lshlrev_b32 v26, 2, v26 :: v_dual_cndmask_b32 v8, v9, v81, vcc_lo
	s_and_b32 vcc_lo, exec_lo, s2
	s_wait_dscnt 0x6
	v_pk_add_f32 v[10:11], v[10:11], v[18:19]
	s_wait_dscnt 0x4
	v_pk_add_f32 v[12:13], v[12:13], v[20:21]
	;; [unrolled: 2-line block ×3, first 2 shown]
	ds_bpermute_b32 v18, v26, v10
	s_wait_dscnt 0x1
	v_pk_add_f32 v[16:17], v[16:17], v[24:25]
	ds_bpermute_b32 v19, v26, v11
	ds_bpermute_b32 v20, v26, v12
	;; [unrolled: 1-line block ×7, first 2 shown]
	v_lshlrev_b32_e32 v26, 2, v8
	s_wait_dscnt 0x6
	v_pk_add_f32 v[8:9], v[10:11], v[18:19]
	s_wait_dscnt 0x4
	v_pk_add_f32 v[10:11], v[12:13], v[20:21]
	;; [unrolled: 2-line block ×3, first 2 shown]
	ds_bpermute_b32 v12, v26, v8
	s_wait_dscnt 0x1
	v_pk_add_f32 v[16:17], v[16:17], v[24:25]
	ds_bpermute_b32 v13, v26, v9
	ds_bpermute_b32 v20, v26, v10
	;; [unrolled: 1-line block ×7, first 2 shown]
	s_wait_dscnt 0x6
	v_pk_add_f32 v[14:15], v[8:9], v[12:13]
	s_wait_dscnt 0x4
	v_pk_add_f32 v[12:13], v[10:11], v[20:21]
	;; [unrolled: 2-line block ×4, first 2 shown]
	s_cbranch_vccz .LBB17_13
; %bb.12:
	s_ashr_i32 s35, s34, 31
	v_dual_mov_b32 v16, 0 :: v_dual_max_num_f32 v17, v1, v1
	s_lshl_b64 s[2:3], s[34:35], 2
	v_dual_max_num_f32 v19, v3, v3 :: v_dual_max_num_f32 v20, v4, v4
	s_add_nc_u64 s[2:3], s[20:21], s[2:3]
	v_max_num_f32_e32 v18, v2, v2
	global_load_b128 v[24:27], v16, s[2:3]
	s_wait_xcnt 0x0
	v_dual_max_num_f32 v16, v0, v0 :: v_dual_max_num_f32 v21, v5, v5
	s_wait_loadcnt 0x0
	v_dual_max_num_f32 v22, v6, v6 :: v_dual_max_num_f32 v23, v24, v24
	v_dual_max_num_f32 v28, v25, v25 :: v_dual_max_num_f32 v29, v26, v26
	v_max_num_f32_e32 v30, v27, v27
	v_max_num_f32_e32 v31, v7, v7
	s_delay_alu instid0(VALU_DEP_3) | instskip(NEXT) | instid1(VALU_DEP_3)
	v_dual_max_num_f32 v16, v16, v23 :: v_dual_max_num_f32 v17, v17, v28
	v_dual_max_num_f32 v18, v18, v29 :: v_dual_max_num_f32 v19, v19, v30
	s_delay_alu instid0(VALU_DEP_3) | instskip(NEXT) | instid1(VALU_DEP_3)
	v_dual_max_num_f32 v20, v20, v23 :: v_dual_max_num_f32 v23, v31, v30
	v_sub_f32_e32 v0, v0, v16
	v_dual_max_num_f32 v21, v21, v28 :: v_dual_max_num_f32 v22, v22, v29
	v_dual_sub_f32 v28, v24, v16 :: v_dual_sub_f32 v1, v1, v17
	v_dual_sub_f32 v29, v25, v17 :: v_dual_sub_f32 v30, v2, v18
	s_delay_alu instid0(VALU_DEP_4)
	v_dual_sub_f32 v41, v27, v23 :: v_dual_mul_f32 v2, 0x3fb8aa3b, v0
	v_dual_sub_f32 v31, v26, v18 :: v_dual_sub_f32 v32, v3, v19
	v_dual_sub_f32 v35, v24, v20 :: v_dual_sub_f32 v36, v5, v21
	v_mul_f32_e32 v3, 0x3fb8aa3b, v28
	v_mul_f32_e32 v5, 0x3fb8aa3b, v29
	v_fma_f32 v48, 0x3fb8aa3b, v0, -v2
	v_rndne_f32_e32 v49, v2
	v_dual_sub_f32 v33, v27, v19 :: v_dual_sub_f32 v34, v4, v20
	v_dual_sub_f32 v37, v25, v21 :: v_dual_sub_f32 v38, v6, v22
	;; [unrolled: 1-line block ×3, first 2 shown]
	v_mul_f32_e32 v4, 0x3fb8aa3b, v1
	v_dual_mul_f32 v6, 0x3fb8aa3b, v30 :: v_dual_mul_f32 v7, 0x3fb8aa3b, v31
	v_mul_f32_e32 v24, 0x3fb8aa3b, v32
	v_fma_f32 v50, 0x3fb8aa3b, v28, -v3
	v_rndne_f32_e32 v51, v3
	v_rndne_f32_e32 v55, v5
	v_fmac_f32_e32 v48, 0x32a5705f, v0
	v_sub_f32_e32 v2, v2, v49
	v_dual_mul_f32 v25, 0x3fb8aa3b, v33 :: v_dual_mul_f32 v26, 0x3fb8aa3b, v34
	v_dual_mul_f32 v27, 0x3fb8aa3b, v35 :: v_dual_mul_f32 v42, 0x3fb8aa3b, v36
	v_fma_f32 v52, 0x3fb8aa3b, v1, -v4
	v_rndne_f32_e32 v53, v4
	v_fma_f32 v54, 0x3fb8aa3b, v29, -v5
	v_fma_f32 v58, 0x3fb8aa3b, v31, -v7
	v_rndne_f32_e32 v59, v7
	v_dual_fmac_f32 v50, 0x32a5705f, v28 :: v_dual_sub_f32 v3, v3, v51
	v_sub_f32_e32 v5, v5, v55
	v_dual_mul_f32 v47, 0x3fb8aa3b, v41 :: v_dual_add_f32 v2, v2, v48
	v_dual_mul_f32 v43, 0x3fb8aa3b, v37 :: v_dual_mul_f32 v44, 0x3fb8aa3b, v38
	v_dual_mul_f32 v45, 0x3fb8aa3b, v39 :: v_dual_mul_f32 v46, 0x3fb8aa3b, v40
	v_fma_f32 v56, 0x3fb8aa3b, v30, -v6
	v_rndne_f32_e32 v57, v6
	v_fma_f32 v62, 0x3fb8aa3b, v33, -v25
	v_rndne_f32_e32 v63, v25
	v_rndne_f32_e32 v65, v26
	;; [unrolled: 1-line block ×3, first 2 shown]
	v_fmac_f32_e32 v52, 0x32a5705f, v1
	v_dual_sub_f32 v4, v4, v53 :: v_dual_sub_f32 v7, v7, v59
	v_dual_fmac_f32 v58, 0x32a5705f, v31 :: v_dual_add_f32 v3, v3, v50
	v_exp_f32_e32 v2, v2
	v_fma_f32 v60, 0x3fb8aa3b, v32, -v24
	v_rndne_f32_e32 v61, v24
	v_fma_f32 v66, 0x3fb8aa3b, v35, -v27
	v_fma_f32 v80, 0x3fb8aa3b, v36, -v42
	v_rndne_f32_e32 v81, v42
	v_rndne_f32_e32 v83, v43
	;; [unrolled: 1-line block ×4, first 2 shown]
	v_cvt_i32_f32_e32 v49, v49
	v_fmac_f32_e32 v54, 0x32a5705f, v29
	v_fmac_f32_e32 v56, 0x32a5705f, v30
	v_sub_f32_e32 v6, v6, v57
	v_dual_fmac_f32 v62, 0x32a5705f, v33 :: v_dual_add_f32 v7, v7, v58
	v_sub_f32_e32 v25, v25, v63
	v_fma_f32 v64, 0x3fb8aa3b, v34, -v26
	v_dual_sub_f32 v27, v27, v67 :: v_dual_sub_f32 v26, v26, v65
	v_add_f32_e32 v4, v4, v52
	v_exp_f32_e32 v3, v3
	v_fma_f32 v82, 0x3fb8aa3b, v37, -v43
	v_fma_f32 v86, 0x3fb8aa3b, v39, -v45
	;; [unrolled: 1-line block ×3, first 2 shown]
	v_cvt_i32_f32_e32 v51, v51
	v_dual_fmac_f32 v66, 0x32a5705f, v35 :: v_dual_add_f32 v25, v25, v62
	v_dual_fmac_f32 v80, 0x32a5705f, v36 :: v_dual_sub_f32 v43, v43, v83
	v_dual_fmac_f32 v60, 0x32a5705f, v32 :: v_dual_add_f32 v5, v5, v54
	v_sub_f32_e32 v45, v45, v87
	v_dual_sub_f32 v47, v47, v91 :: v_dual_sub_f32 v24, v24, v61
	v_add_f32_e32 v6, v6, v56
	v_sub_f32_e32 v42, v42, v81
	v_ldexp_f32 v2, v2, v49
	v_cmp_ngt_f32_e32 vcc_lo, 0xc2ce8ed0, v0
	v_exp_f32_e32 v4, v4
	v_cvt_i32_f32_e32 v53, v53
	v_dual_add_f32 v24, v24, v60 :: v_dual_add_f32 v27, v27, v66
	v_dual_add_f32 v42, v42, v80 :: v_dual_cndmask_b32 v2, 0, v2, vcc_lo
	v_ldexp_f32 v3, v3, v51
	v_cmp_ngt_f32_e32 vcc_lo, 0xc2ce8ed0, v28
	v_exp_f32_e32 v5, v5
	v_exp_f32_e32 v6, v6
	v_cvt_i32_f32_e32 v55, v55
	v_cvt_i32_f32_e32 v57, v57
	v_dual_fmac_f32 v64, 0x32a5705f, v34 :: v_dual_cndmask_b32 v3, 0, v3
	v_ldexp_f32 v4, v4, v53
	v_cmp_ngt_f32_e32 vcc_lo, 0xc2ce8ed0, v1
	v_fma_f32 v84, 0x3fb8aa3b, v38, -v44
	v_ldexp_f32 v5, v5, v55
	v_ldexp_f32 v6, v6, v57
	v_rndne_f32_e32 v85, v44
	v_cndmask_b32_e32 v4, 0, v4, vcc_lo
	v_cmp_ngt_f32_e32 vcc_lo, 0xc2ce8ed0, v29
	v_exp_f32_e32 v7, v7
	v_cvt_i32_f32_e32 v59, v59
	v_fmac_f32_e32 v84, 0x32a5705f, v38
	v_dual_sub_f32 v44, v44, v85 :: v_dual_add_f32 v26, v26, v64
	v_cndmask_b32_e32 v5, 0, v5, vcc_lo
	v_cmp_ngt_f32_e32 vcc_lo, 0xc2ce8ed0, v30
	v_exp_f32_e32 v24, v24
	v_cvt_i32_f32_e32 v61, v61
	v_ldexp_f32 v7, v7, v59
	v_exp_f32_e32 v25, v25
	v_cndmask_b32_e32 v6, 0, v6, vcc_lo
	v_cmp_ngt_f32_e32 vcc_lo, 0xc2ce8ed0, v31
	v_exp_f32_e32 v26, v26
	v_fma_f32 v88, 0x3fb8aa3b, v40, -v46
	v_rndne_f32_e32 v89, v46
	v_cvt_i32_f32_e32 v63, v63
	v_cvt_i32_f32_e32 v65, v65
	v_dual_fmac_f32 v90, 0x32a5705f, v41 :: v_dual_cndmask_b32 v7, 0, v7
	v_ldexp_f32 v24, v24, v61
	v_cmp_ngt_f32_e32 vcc_lo, 0xc2ce8ed0, v32
	s_delay_alu instid0(VALU_DEP_3)
	v_dual_fmac_f32 v88, 0x32a5705f, v40 :: v_dual_add_f32 v47, v47, v90
	v_dual_sub_f32 v46, v46, v89 :: v_dual_add_f32 v44, v44, v84
	v_ldexp_f32 v25, v25, v63
	v_ldexp_f32 v26, v26, v65
	v_cndmask_b32_e32 v24, 0, v24, vcc_lo
	v_cmp_ngt_f32_e32 vcc_lo, 0xc2ce8ed0, v33
	v_fmac_f32_e32 v86, 0x32a5705f, v39
	v_fmac_f32_e32 v82, 0x32a5705f, v37
	v_exp_f32_e32 v27, v27
	v_cvt_i32_f32_e32 v67, v67
	v_dual_add_f32 v46, v46, v88 :: v_dual_cndmask_b32 v25, 0, v25
	v_cmp_ngt_f32_e32 vcc_lo, 0xc2ce8ed0, v34
	v_add_f32_e32 v45, v45, v86
	v_add_f32_e32 v43, v43, v82
	v_exp_f32_e32 v42, v42
	v_cvt_i32_f32_e32 v81, v81
	v_ldexp_f32 v27, v27, v67
	v_cndmask_b32_e32 v26, 0, v26, vcc_lo
	v_cmp_ngt_f32_e32 vcc_lo, 0xc2ce8ed0, v35
	v_exp_f32_e32 v43, v43
	v_cvt_i32_f32_e32 v83, v83
	v_ldexp_f32 v42, v42, v81
	v_exp_f32_e32 v44, v44
	v_cndmask_b32_e32 v27, 0, v27, vcc_lo
	v_cmp_ngt_f32_e32 vcc_lo, 0xc2ce8ed0, v36
	v_cvt_i32_f32_e32 v85, v85
	v_ldexp_f32 v43, v43, v83
	v_exp_f32_e32 v45, v45
	v_cvt_i32_f32_e32 v87, v87
	v_cndmask_b32_e32 v42, 0, v42, vcc_lo
	v_cmp_ngt_f32_e32 vcc_lo, 0xc2ce8ed0, v37
	v_ldexp_f32 v44, v44, v85
	v_exp_f32_e32 v46, v46
	v_cvt_i32_f32_e32 v89, v89
	v_ldexp_f32 v45, v45, v87
	v_cndmask_b32_e32 v43, 0, v43, vcc_lo
	v_cmp_ngt_f32_e32 vcc_lo, 0xc2ce8ed0, v38
	v_exp_f32_e32 v47, v47
	v_cvt_i32_f32_e32 v91, v91
	v_ldexp_f32 v46, v46, v89
	v_cndmask_b32_e32 v44, 0, v44, vcc_lo
	v_cmp_ngt_f32_e32 vcc_lo, 0xc2ce8ed0, v39
	s_delay_alu instid0(TRANS32_DEP_1) | instid1(VALU_DEP_4)
	v_ldexp_f32 v47, v47, v91
	v_cndmask_b32_e32 v45, 0, v45, vcc_lo
	v_cmp_ngt_f32_e32 vcc_lo, 0xc2ce8ed0, v40
	v_cndmask_b32_e32 v46, 0, v46, vcc_lo
	v_cmp_ngt_f32_e32 vcc_lo, 0xc2ce8ed0, v41
	v_cndmask_b32_e32 v47, 0, v47, vcc_lo
	v_cmp_nlt_f32_e32 vcc_lo, 0x42b17218, v0
	v_cndmask_b32_e32 v0, 0x7f800000, v2, vcc_lo
	v_cmp_nlt_f32_e32 vcc_lo, 0x42b17218, v28
	;; [unrolled: 2-line block ×5, first 2 shown]
	s_delay_alu instid0(VALU_DEP_2)
	v_pk_fma_f32 v[14:15], v[14:15], v[0:1], v[2:3]
	v_cndmask_b32_e32 v4, 0x7f800000, v6, vcc_lo
	v_cmp_nlt_f32_e32 vcc_lo, 0x42b17218, v31
	v_cndmask_b32_e32 v6, 0x7f800000, v7, vcc_lo
	v_cmp_nlt_f32_e32 vcc_lo, 0x42b17218, v32
	v_cvt_f16_f32_e32 v32, v0
	v_cndmask_b32_e32 v5, 0x7f800000, v24, vcc_lo
	v_cmp_nlt_f32_e32 vcc_lo, 0x42b17218, v33
	v_cvt_f16_f32_e32 v33, v1
	s_delay_alu instid0(VALU_DEP_4)
	v_and_b32_e32 v0, 0xffff, v32
	v_cndmask_b32_e32 v7, 0x7f800000, v25, vcc_lo
	v_cmp_nlt_f32_e32 vcc_lo, 0x42b17218, v34
	v_cvt_f16_f32_e32 v34, v4
	v_and_b32_e32 v1, 0xffff, v33
	v_mul_u32_u24_e32 v0, 0x10001, v0
	v_pk_fma_f32 v[12:13], v[12:13], v[4:5], v[6:7]
	v_cndmask_b32_e32 v24, 0x7f800000, v26, vcc_lo
	v_cmp_nlt_f32_e32 vcc_lo, 0x42b17218, v35
	v_cvt_f16_f32_e32 v35, v5
	v_and_b32_e32 v2, 0xffff, v34
	v_mul_u32_u24_e32 v1, 0x10001, v1
	v_pk_mul_f16 v114, v114, v0
	v_cndmask_b32_e32 v26, 0x7f800000, v27, vcc_lo
	v_cmp_nlt_f32_e32 vcc_lo, 0x42b17218, v36
	v_cvt_f16_f32_e32 v36, v24
	v_and_b32_e32 v3, 0xffff, v35
	v_mul_u32_u24_e32 v2, 0x10001, v2
	v_pk_mul_f16 v115, v115, v0
	v_cndmask_b32_e32 v25, 0x7f800000, v42, vcc_lo
	v_cmp_nlt_f32_e32 vcc_lo, 0x42b17218, v37
	v_and_b32_e32 v4, 0xffff, v36
	v_mul_u32_u24_e32 v3, 0x10001, v3
	v_pk_mul_f16 v112, v112, v1
	v_cvt_f16_f32_e32 v37, v25
	v_cndmask_b32_e32 v27, 0x7f800000, v43, vcc_lo
	v_cmp_nlt_f32_e32 vcc_lo, 0x42b17218, v38
	v_mul_u32_u24_e32 v4, 0x10001, v4
	v_pk_mul_f16 v113, v113, v1
	v_and_b32_e32 v5, 0xffff, v37
	v_pk_mul_f16 v110, v110, v2
	v_cndmask_b32_e32 v28, 0x7f800000, v44, vcc_lo
	v_cmp_nlt_f32_e32 vcc_lo, 0x42b17218, v39
	v_pk_mul_f16 v111, v111, v2
	v_mul_u32_u24_e32 v5, 0x10001, v5
	v_pk_mul_f16 v108, v108, v3
	v_cvt_f16_f32_e32 v38, v28
	v_cndmask_b32_e32 v30, 0x7f800000, v45, vcc_lo
	v_cmp_nlt_f32_e32 vcc_lo, 0x42b17218, v40
	v_pk_mul_f16 v109, v109, v3
	v_pk_mul_f16 v106, v106, v4
	v_and_b32_e32 v6, 0xffff, v38
	v_pk_mul_f16 v107, v107, v4
	v_cndmask_b32_e32 v29, 0x7f800000, v46, vcc_lo
	v_cmp_nlt_f32_e32 vcc_lo, 0x42b17218, v41
	v_pk_mul_f16 v104, v104, v5
	v_mul_u32_u24_e32 v6, 0x10001, v6
	v_pk_mul_f16 v105, v105, v5
	v_cvt_f16_f32_e32 v39, v29
	v_cndmask_b32_e32 v31, 0x7f800000, v47, vcc_lo
	v_pk_fma_f32 v[10:11], v[10:11], v[24:25], v[26:27]
	v_pk_mul_f16 v102, v102, v6
	v_pk_mul_f16 v103, v103, v6
	v_and_b32_e32 v7, 0xffff, v39
	v_pk_fma_f32 v[8:9], v[8:9], v[28:29], v[30:31]
	s_delay_alu instid0(VALU_DEP_2) | instskip(NEXT) | instid1(VALU_DEP_1)
	v_mul_u32_u24_e32 v7, 0x10001, v7
	v_pk_mul_f16 v100, v100, v7
	v_pk_mul_f16 v101, v101, v7
	v_mov_b64_e32 v[0:1], v[16:17]
	v_mov_b64_e32 v[2:3], v[18:19]
	;; [unrolled: 1-line block ×4, first 2 shown]
.LBB17_13:
	s_mov_b32 s2, exec_lo
	v_cmpx_gt_i32_e64 s30, v78
	s_cbranch_execz .LBB17_50
; %bb.14:
	s_load_b32 s0, s[0:1], 0xd4
	v_mov_b32_e32 v16, 1.0
	s_wait_kmcnt 0x0
	s_cmp_lg_u32 s0, 1
	s_cselect_b32 s2, -1, 0
	s_cmp_eq_u32 s0, 1
	s_cselect_b32 s3, -1, 0
	s_and_b32 vcc_lo, exec_lo, s2
	s_cbranch_vccnz .LBB17_16
; %bb.15:
	v_div_scale_f32 v16, null, v14, v14, 1.0
	s_delay_alu instid0(VALU_DEP_1) | instskip(SKIP_1) | instid1(TRANS32_DEP_1)
	v_rcp_f32_e32 v17, v16
	v_nop
	v_fma_f32 v18, -v16, v17, 1.0
	s_delay_alu instid0(VALU_DEP_1) | instskip(SKIP_1) | instid1(VALU_DEP_1)
	v_fmac_f32_e32 v17, v18, v17
	v_div_scale_f32 v18, vcc_lo, 1.0, v14, 1.0
	v_mul_f32_e32 v19, v18, v17
	s_delay_alu instid0(VALU_DEP_1) | instskip(NEXT) | instid1(VALU_DEP_1)
	v_fma_f32 v20, -v16, v19, v18
	v_fmac_f32_e32 v19, v20, v17
	s_delay_alu instid0(VALU_DEP_1) | instskip(NEXT) | instid1(VALU_DEP_1)
	v_fma_f32 v16, -v16, v19, v18
	v_div_fmas_f32 v16, v16, v17, v19
	s_delay_alu instid0(VALU_DEP_1)
	v_div_fixup_f32 v16, v16, v14, 1.0
.LBB17_16:
	s_mul_i32 s1, s36, s30
	v_lshrrev_b32_e32 v25, 16, v115
	s_add_co_i32 s1, s1, s39
	v_cvt_f32_f16_e32 v20, v114
	v_dual_add_nc_u32 v17, s1, v77 :: v_dual_lshrrev_b32 v19, 16, v114
	v_cvt_f32_f16_e32 v24, v115
	v_cvt_f32_f16_e32 v25, v25
	v_cmp_eq_u32_e32 vcc_lo, 0, v79
	s_delay_alu instid0(VALU_DEP_4) | instskip(SKIP_3) | instid1(VALU_DEP_3)
	v_mul_lo_u32 v17, v17, s31
	v_cvt_f32_f16_e32 v21, v19
	v_mov_b32_e32 v23, 0
	s_and_b32 s2, vcc_lo, s2
	v_add_nc_u32_e32 v18, s34, v17
	s_delay_alu instid0(VALU_DEP_3) | instskip(NEXT) | instid1(VALU_DEP_2)
	v_pk_mul_f32 v[20:21], v[16:17], v[20:21] op_sel_hi:[0,1]
	v_mad_u32 v18, s0, v18, s33
	s_delay_alu instid0(VALU_DEP_1) | instskip(NEXT) | instid1(VALU_DEP_1)
	v_lshl_add_u32 v22, v18, 7, v76
	v_lshl_add_u64 v[26:27], v[22:23], 2, s[24:25]
	v_pk_mul_f32 v[22:23], v[16:17], v[24:25] op_sel_hi:[0,1]
	global_store_b128 v[26:27], v[20:23], off
	s_wait_xcnt 0x0
	s_and_saveexec_b32 s4, s2
	s_cbranch_execz .LBB17_18
; %bb.17:
	v_dual_mov_b32 v20, v0 :: v_dual_mov_b32 v21, v14
	global_store_b64 v18, v[20:21], s[26:27] scale_offset
.LBB17_18:
	s_wait_xcnt 0x0
	s_or_b32 exec_lo, exec_lo, s4
	v_cndmask_b32_e64 v16, 0, 1, s3
	v_mov_b32_e32 v0, 1.0
	s_and_not1_b32 vcc_lo, exec_lo, s3
	s_cbranch_vccnz .LBB17_20
; %bb.19:
	v_div_scale_f32 v0, null, v15, v15, 1.0
	s_delay_alu instid0(VALU_DEP_1) | instskip(SKIP_1) | instid1(TRANS32_DEP_1)
	v_rcp_f32_e32 v14, v0
	v_nop
	v_fma_f32 v18, -v0, v14, 1.0
	s_delay_alu instid0(VALU_DEP_1) | instskip(SKIP_1) | instid1(VALU_DEP_1)
	v_fmac_f32_e32 v14, v18, v14
	v_div_scale_f32 v18, vcc_lo, 1.0, v15, 1.0
	v_mul_f32_e32 v19, v18, v14
	s_delay_alu instid0(VALU_DEP_1) | instskip(NEXT) | instid1(VALU_DEP_1)
	v_fma_f32 v20, -v0, v19, v18
	v_fmac_f32_e32 v19, v20, v14
	s_delay_alu instid0(VALU_DEP_1) | instskip(NEXT) | instid1(VALU_DEP_1)
	v_fma_f32 v0, -v0, v19, v18
	v_div_fmas_f32 v0, v0, v14, v19
	s_delay_alu instid0(VALU_DEP_1)
	v_div_fixup_f32 v0, v0, v15, 1.0
.LBB17_20:
	s_add_co_i32 s5, s34, 1
	v_cvt_f32_f16_e32 v20, v112
	v_dual_mov_b32 v23, 0 :: v_dual_add_nc_u32 v14, s5, v17
	v_cvt_f32_f16_e32 v24, v113
	v_lshrrev_b32_e32 v19, 16, v113
	s_delay_alu instid0(VALU_DEP_3) | instskip(SKIP_1) | instid1(VALU_DEP_3)
	v_mad_u32 v18, s0, v14, s33
	v_lshrrev_b32_e32 v14, 16, v112
	v_cvt_f32_f16_e32 v25, v19
	s_delay_alu instid0(VALU_DEP_2) | instskip(NEXT) | instid1(VALU_DEP_1)
	v_cvt_f32_f16_e32 v21, v14
	v_pk_mul_f32 v[20:21], v[0:1], v[20:21] op_sel_hi:[0,1]
	v_lshl_add_u32 v22, v18, 7, v76
	s_delay_alu instid0(VALU_DEP_1)
	v_lshl_add_u64 v[26:27], v[22:23], 2, s[24:25]
	v_pk_mul_f32 v[22:23], v[0:1], v[24:25] op_sel_hi:[0,1]
	global_store_b128 v[26:27], v[20:23], off
	s_wait_xcnt 0x0
	s_and_saveexec_b32 s3, s2
	s_cbranch_execz .LBB17_22
; %bb.21:
	v_mov_b32_e32 v14, v1
	global_store_b64 v18, v[14:15], s[26:27] scale_offset
.LBB17_22:
	s_wait_xcnt 0x0
	s_or_b32 exec_lo, exec_lo, s3
	v_cmp_ne_u32_e32 vcc_lo, 1, v16
	v_mov_b32_e32 v0, 1.0
	s_cbranch_vccnz .LBB17_24
; %bb.23:
	v_div_scale_f32 v0, null, v12, v12, 1.0
	s_delay_alu instid0(VALU_DEP_1) | instskip(SKIP_1) | instid1(TRANS32_DEP_1)
	v_rcp_f32_e32 v1, v0
	v_nop
	v_fma_f32 v14, -v0, v1, 1.0
	s_delay_alu instid0(VALU_DEP_1) | instskip(SKIP_1) | instid1(VALU_DEP_1)
	v_fmac_f32_e32 v1, v14, v1
	v_div_scale_f32 v14, vcc_lo, 1.0, v12, 1.0
	v_mul_f32_e32 v15, v14, v1
	s_delay_alu instid0(VALU_DEP_1) | instskip(NEXT) | instid1(VALU_DEP_1)
	v_fma_f32 v18, -v0, v15, v14
	v_fmac_f32_e32 v15, v18, v1
	s_delay_alu instid0(VALU_DEP_1) | instskip(NEXT) | instid1(VALU_DEP_1)
	v_fma_f32 v0, -v0, v15, v14
	v_div_fmas_f32 v0, v0, v1, v15
	s_delay_alu instid0(VALU_DEP_1)
	v_div_fixup_f32 v0, v0, v12, 1.0
.LBB17_24:
	s_add_co_i32 s4, s34, 2
	v_dual_mov_b32 v15, 0 :: v_dual_lshrrev_b32 v21, 16, v111
	v_dual_add_nc_u32 v1, s4, v17 :: v_dual_lshrrev_b32 v14, 16, v110
	v_cvt_f32_f16_e32 v18, v110
	v_cvt_f32_f16_e32 v20, v111
	s_delay_alu instid0(VALU_DEP_4) | instskip(NEXT) | instid1(VALU_DEP_4)
	v_cvt_f32_f16_e32 v21, v21
	v_mad_u32 v1, s0, v1, s33
	v_cvt_f32_f16_e32 v19, v14
	s_delay_alu instid0(VALU_DEP_2) | instskip(NEXT) | instid1(VALU_DEP_2)
	v_lshl_add_u32 v14, v1, 7, v76
	v_pk_mul_f32 v[18:19], v[0:1], v[18:19] op_sel_hi:[0,1]
	v_pk_mul_f32 v[20:21], v[0:1], v[20:21] op_sel_hi:[0,1]
	s_delay_alu instid0(VALU_DEP_3)
	v_lshl_add_u64 v[14:15], v[14:15], 2, s[24:25]
	global_store_b128 v[14:15], v[18:21], off
	s_wait_xcnt 0x0
	s_and_saveexec_b32 s3, s2
	s_cbranch_execz .LBB17_26
; %bb.25:
	v_dual_mov_b32 v14, v2 :: v_dual_mov_b32 v15, v12
	global_store_b64 v1, v[14:15], s[26:27] scale_offset
.LBB17_26:
	s_wait_xcnt 0x0
	s_or_b32 exec_lo, exec_lo, s3
	v_cmp_ne_u32_e32 vcc_lo, 1, v16
	v_mov_b32_e32 v0, 1.0
	s_cbranch_vccnz .LBB17_28
; %bb.27:
	v_div_scale_f32 v0, null, v13, v13, 1.0
	s_delay_alu instid0(VALU_DEP_1) | instskip(SKIP_1) | instid1(TRANS32_DEP_1)
	v_rcp_f32_e32 v1, v0
	v_nop
	v_fma_f32 v2, -v0, v1, 1.0
	s_delay_alu instid0(VALU_DEP_1) | instskip(SKIP_1) | instid1(VALU_DEP_1)
	v_fmac_f32_e32 v1, v2, v1
	v_div_scale_f32 v2, vcc_lo, 1.0, v13, 1.0
	v_mul_f32_e32 v12, v2, v1
	s_delay_alu instid0(VALU_DEP_1) | instskip(NEXT) | instid1(VALU_DEP_1)
	v_fma_f32 v14, -v0, v12, v2
	v_fmac_f32_e32 v12, v14, v1
	s_delay_alu instid0(VALU_DEP_1) | instskip(NEXT) | instid1(VALU_DEP_1)
	v_fma_f32 v0, -v0, v12, v2
	v_div_fmas_f32 v0, v0, v1, v12
	s_delay_alu instid0(VALU_DEP_1)
	v_div_fixup_f32 v0, v0, v13, 1.0
.LBB17_28:
	s_add_co_i32 s3, s34, 3
	v_dual_mov_b32 v15, 0 :: v_dual_lshrrev_b32 v12, 16, v109
	v_dual_add_nc_u32 v1, s3, v17 :: v_dual_lshrrev_b32 v2, 16, v108
	v_cvt_f32_f16_e32 v18, v108
	v_cvt_f32_f16_e32 v20, v109
	s_delay_alu instid0(VALU_DEP_4) | instskip(NEXT) | instid1(VALU_DEP_4)
	v_cvt_f32_f16_e32 v21, v12
	v_mad_u32 v1, s0, v1, s33
	v_cvt_f32_f16_e32 v19, v2
	s_delay_alu instid0(VALU_DEP_2) | instskip(NEXT) | instid1(VALU_DEP_2)
	v_lshl_add_u32 v14, v1, 7, v76
	v_pk_mul_f32 v[18:19], v[0:1], v[18:19] op_sel_hi:[0,1]
	v_pk_mul_f32 v[20:21], v[0:1], v[20:21] op_sel_hi:[0,1]
	s_delay_alu instid0(VALU_DEP_3)
	v_lshl_add_u64 v[14:15], v[14:15], 2, s[24:25]
	global_store_b128 v[14:15], v[18:21], off
	s_wait_xcnt 0x0
	s_and_saveexec_b32 s6, s2
	s_cbranch_execz .LBB17_30
; %bb.29:
	v_mov_b32_e32 v12, v3
	global_store_b64 v1, v[12:13], s[26:27] scale_offset
.LBB17_30:
	s_wait_xcnt 0x0
	s_or_b32 exec_lo, exec_lo, s6
	v_cmp_gt_i32_e32 vcc_lo, s30, v75
	s_and_b32 exec_lo, exec_lo, vcc_lo
	s_cbranch_execz .LBB17_50
; %bb.31:
	v_cmp_ne_u32_e32 vcc_lo, 1, v16
	v_mov_b32_e32 v0, 1.0
	s_cbranch_vccnz .LBB17_33
; %bb.32:
	v_div_scale_f32 v0, null, v10, v10, 1.0
	s_delay_alu instid0(VALU_DEP_1) | instskip(SKIP_1) | instid1(TRANS32_DEP_1)
	v_rcp_f32_e32 v1, v0
	v_nop
	v_fma_f32 v2, -v0, v1, 1.0
	s_delay_alu instid0(VALU_DEP_1) | instskip(SKIP_1) | instid1(VALU_DEP_1)
	v_fmac_f32_e32 v1, v2, v1
	v_div_scale_f32 v2, vcc_lo, 1.0, v10, 1.0
	v_mul_f32_e32 v3, v2, v1
	s_delay_alu instid0(VALU_DEP_1) | instskip(NEXT) | instid1(VALU_DEP_1)
	v_fma_f32 v12, -v0, v3, v2
	v_fmac_f32_e32 v3, v12, v1
	s_delay_alu instid0(VALU_DEP_1) | instskip(NEXT) | instid1(VALU_DEP_1)
	v_fma_f32 v0, -v0, v3, v2
	v_div_fmas_f32 v0, v0, v1, v3
	s_delay_alu instid0(VALU_DEP_1)
	v_div_fixup_f32 v0, v0, v10, 1.0
.LBB17_33:
	v_dual_add_nc_u32 v1, s1, v73 :: v_dual_lshrrev_b32 v2, 16, v106
	v_dual_mov_b32 v3, 0 :: v_dual_lshrrev_b32 v15, 16, v107
	v_cvt_f32_f16_e32 v12, v106
	s_delay_alu instid0(VALU_DEP_3) | instskip(SKIP_3) | instid1(VALU_DEP_4)
	v_mad_u32 v1, v1, s31, s34
	v_cvt_f32_f16_e32 v14, v107
	v_cvt_f32_f16_e32 v13, v2
	;; [unrolled: 1-line block ×3, first 2 shown]
	v_mad_u32 v1, s0, v1, s33
	s_delay_alu instid0(VALU_DEP_1) | instskip(NEXT) | instid1(VALU_DEP_4)
	v_lshl_add_u32 v2, v1, 7, v76
	v_pk_mul_f32 v[12:13], v[0:1], v[12:13] op_sel_hi:[0,1]
	s_delay_alu instid0(VALU_DEP_4) | instskip(NEXT) | instid1(VALU_DEP_3)
	v_pk_mul_f32 v[14:15], v[0:1], v[14:15] op_sel_hi:[0,1]
	v_lshl_add_u64 v[2:3], v[2:3], 2, s[24:25]
	global_store_b128 v[2:3], v[12:15], off
	s_wait_xcnt 0x0
	s_and_saveexec_b32 s6, s2
	s_cbranch_execz .LBB17_35
; %bb.34:
	v_dual_mov_b32 v2, v4 :: v_dual_mov_b32 v3, v10
	global_store_b64 v1, v[2:3], s[26:27] scale_offset
.LBB17_35:
	s_wait_xcnt 0x0
	s_or_b32 exec_lo, exec_lo, s6
	v_cmp_gt_i32_e32 vcc_lo, s30, v74
	s_and_b32 exec_lo, exec_lo, vcc_lo
	s_cbranch_execz .LBB17_50
; %bb.36:
	v_cmp_ne_u32_e32 vcc_lo, 1, v16
	v_mov_b32_e32 v0, 1.0
	s_cbranch_vccnz .LBB17_38
; %bb.37:
	v_div_scale_f32 v0, null, v11, v11, 1.0
	s_delay_alu instid0(VALU_DEP_1) | instskip(SKIP_1) | instid1(TRANS32_DEP_1)
	v_rcp_f32_e32 v1, v0
	v_nop
	v_fma_f32 v2, -v0, v1, 1.0
	s_delay_alu instid0(VALU_DEP_1) | instskip(SKIP_1) | instid1(VALU_DEP_1)
	v_fmac_f32_e32 v1, v2, v1
	v_div_scale_f32 v2, vcc_lo, 1.0, v11, 1.0
	v_mul_f32_e32 v3, v2, v1
	s_delay_alu instid0(VALU_DEP_1) | instskip(NEXT) | instid1(VALU_DEP_1)
	v_fma_f32 v4, -v0, v3, v2
	v_fmac_f32_e32 v3, v4, v1
	s_delay_alu instid0(VALU_DEP_1) | instskip(NEXT) | instid1(VALU_DEP_1)
	v_fma_f32 v0, -v0, v3, v2
	v_div_fmas_f32 v0, v0, v1, v3
	s_delay_alu instid0(VALU_DEP_1)
	v_div_fixup_f32 v0, v0, v11, 1.0
.LBB17_38:
	v_dual_add_nc_u32 v1, s1, v72 :: v_dual_mov_b32 v3, 0
	v_dual_lshrrev_b32 v2, 16, v104 :: v_dual_lshrrev_b32 v4, 16, v105
	v_cvt_f32_f16_e32 v12, v104
	s_delay_alu instid0(VALU_DEP_3) | instskip(SKIP_1) | instid1(VALU_DEP_4)
	v_mad_u32 v1, v1, s31, s5
	v_cvt_f32_f16_e32 v14, v105
	v_cvt_f32_f16_e32 v13, v2
	;; [unrolled: 1-line block ×3, first 2 shown]
	s_delay_alu instid0(VALU_DEP_4) | instskip(NEXT) | instid1(VALU_DEP_1)
	v_mad_u32 v1, s0, v1, s33
	v_lshl_add_u32 v2, v1, 7, v76
	s_delay_alu instid0(VALU_DEP_4) | instskip(NEXT) | instid1(VALU_DEP_4)
	v_pk_mul_f32 v[12:13], v[0:1], v[12:13] op_sel_hi:[0,1]
	v_pk_mul_f32 v[14:15], v[0:1], v[14:15] op_sel_hi:[0,1]
	s_delay_alu instid0(VALU_DEP_3)
	v_lshl_add_u64 v[2:3], v[2:3], 2, s[24:25]
	global_store_b128 v[2:3], v[12:15], off
	s_wait_xcnt 0x0
	s_and_saveexec_b32 s5, s2
	s_cbranch_execz .LBB17_40
; %bb.39:
	v_mov_b32_e32 v10, v5
	global_store_b64 v1, v[10:11], s[26:27] scale_offset
.LBB17_40:
	s_wait_xcnt 0x0
	s_or_b32 exec_lo, exec_lo, s5
	v_cmp_gt_i32_e32 vcc_lo, s30, v71
	s_and_b32 exec_lo, exec_lo, vcc_lo
	s_cbranch_execz .LBB17_50
; %bb.41:
	v_cmp_ne_u32_e32 vcc_lo, 1, v16
	v_mov_b32_e32 v0, 1.0
	s_cbranch_vccnz .LBB17_43
; %bb.42:
	v_div_scale_f32 v0, null, v8, v8, 1.0
	s_delay_alu instid0(VALU_DEP_1) | instskip(SKIP_1) | instid1(TRANS32_DEP_1)
	v_rcp_f32_e32 v1, v0
	v_nop
	v_fma_f32 v2, -v0, v1, 1.0
	s_delay_alu instid0(VALU_DEP_1) | instskip(SKIP_1) | instid1(VALU_DEP_1)
	v_fmac_f32_e32 v1, v2, v1
	v_div_scale_f32 v2, vcc_lo, 1.0, v8, 1.0
	v_mul_f32_e32 v3, v2, v1
	s_delay_alu instid0(VALU_DEP_1) | instskip(NEXT) | instid1(VALU_DEP_1)
	v_fma_f32 v4, -v0, v3, v2
	v_fmac_f32_e32 v3, v4, v1
	s_delay_alu instid0(VALU_DEP_1) | instskip(NEXT) | instid1(VALU_DEP_1)
	v_fma_f32 v0, -v0, v3, v2
	v_div_fmas_f32 v0, v0, v1, v3
	s_delay_alu instid0(VALU_DEP_1)
	v_div_fixup_f32 v0, v0, v8, 1.0
.LBB17_43:
	v_dual_add_nc_u32 v1, s1, v70 :: v_dual_mov_b32 v5, 0
	v_dual_lshrrev_b32 v3, 16, v102 :: v_dual_lshrrev_b32 v11, 16, v103
	v_cvt_f32_f16_e32 v2, v102
	s_delay_alu instid0(VALU_DEP_3) | instskip(SKIP_1) | instid1(VALU_DEP_4)
	v_mad_u32 v1, v1, s31, s4
	v_cvt_f32_f16_e32 v10, v103
	v_cvt_f32_f16_e32 v3, v3
	v_cvt_f32_f16_e32 v11, v11
	s_delay_alu instid0(VALU_DEP_4) | instskip(NEXT) | instid1(VALU_DEP_1)
	v_mad_u32 v1, s0, v1, s33
	v_lshl_add_u32 v4, v1, 7, v76
	s_delay_alu instid0(VALU_DEP_4) | instskip(NEXT) | instid1(VALU_DEP_2)
	v_pk_mul_f32 v[2:3], v[0:1], v[2:3] op_sel_hi:[0,1]
	v_lshl_add_u64 v[12:13], v[4:5], 2, s[24:25]
	v_pk_mul_f32 v[4:5], v[0:1], v[10:11] op_sel_hi:[0,1]
	global_store_b128 v[12:13], v[2:5], off
	s_wait_xcnt 0x0
	s_and_saveexec_b32 s4, s2
	s_cbranch_execz .LBB17_45
; %bb.44:
	v_dual_mov_b32 v2, v6 :: v_dual_mov_b32 v3, v8
	global_store_b64 v1, v[2:3], s[26:27] scale_offset
.LBB17_45:
	s_wait_xcnt 0x0
	s_or_b32 exec_lo, exec_lo, s4
	v_cmp_gt_i32_e32 vcc_lo, s30, v69
	s_and_b32 exec_lo, exec_lo, vcc_lo
	s_cbranch_execz .LBB17_50
; %bb.46:
	v_cmp_ne_u32_e32 vcc_lo, 1, v16
	v_mov_b32_e32 v0, 1.0
	s_cbranch_vccnz .LBB17_48
; %bb.47:
	v_div_scale_f32 v0, null, v9, v9, 1.0
	s_delay_alu instid0(VALU_DEP_1) | instskip(SKIP_1) | instid1(TRANS32_DEP_1)
	v_rcp_f32_e32 v1, v0
	v_nop
	v_fma_f32 v2, -v0, v1, 1.0
	s_delay_alu instid0(VALU_DEP_1) | instskip(SKIP_1) | instid1(VALU_DEP_1)
	v_fmac_f32_e32 v1, v2, v1
	v_div_scale_f32 v2, vcc_lo, 1.0, v9, 1.0
	v_mul_f32_e32 v3, v2, v1
	s_delay_alu instid0(VALU_DEP_1) | instskip(NEXT) | instid1(VALU_DEP_1)
	v_fma_f32 v4, -v0, v3, v2
	v_fmac_f32_e32 v3, v4, v1
	s_delay_alu instid0(VALU_DEP_1) | instskip(NEXT) | instid1(VALU_DEP_1)
	v_fma_f32 v0, -v0, v3, v2
	v_div_fmas_f32 v0, v0, v1, v3
	s_delay_alu instid0(VALU_DEP_1)
	v_div_fixup_f32 v0, v0, v9, 1.0
.LBB17_48:
	v_dual_add_nc_u32 v1, s1, v68 :: v_dual_mov_b32 v5, 0
	v_dual_lshrrev_b32 v3, 16, v100 :: v_dual_lshrrev_b32 v6, 16, v101
	v_cvt_f32_f16_e32 v2, v100
	s_delay_alu instid0(VALU_DEP_3) | instskip(SKIP_1) | instid1(VALU_DEP_4)
	v_mad_u32 v1, v1, s31, s3
	v_cvt_f32_f16_e32 v10, v101
	v_cvt_f32_f16_e32 v3, v3
	;; [unrolled: 1-line block ×3, first 2 shown]
	s_delay_alu instid0(VALU_DEP_4) | instskip(NEXT) | instid1(VALU_DEP_1)
	v_mad_u32 v1, s0, v1, s33
	v_lshl_add_u32 v4, v1, 7, v76
	s_delay_alu instid0(VALU_DEP_4) | instskip(NEXT) | instid1(VALU_DEP_2)
	v_pk_mul_f32 v[2:3], v[0:1], v[2:3] op_sel_hi:[0,1]
	v_lshl_add_u64 v[12:13], v[4:5], 2, s[24:25]
	v_pk_mul_f32 v[4:5], v[0:1], v[10:11] op_sel_hi:[0,1]
	global_store_b128 v[12:13], v[2:5], off
	s_wait_xcnt 0x0
	s_and_b32 exec_lo, exec_lo, s2
	s_cbranch_execz .LBB17_50
; %bb.49:
	v_mov_b32_e32 v8, v7
	global_store_b64 v1, v[8:9], s[26:27] scale_offset
.LBB17_50:
	s_sendmsg sendmsg(MSG_DEALLOC_VGPRS)
	s_endpgm
	.section	.rodata,"a",@progbits
	.p2align	6, 0x0
	.amdhsa_kernel _ZL15flash_attn_tileILi128ELi128ELi16ELi4ELb0EEvPKcS1_S1_S1_S1_PKiPfP15HIP_vector_typeIfLj2EEffffjfiS5_IjLj3EEiiiiiiiiiiiliiliiiiil
		.amdhsa_group_segment_fixed_size 33792
		.amdhsa_private_segment_fixed_size 0
		.amdhsa_kernarg_size 464
		.amdhsa_user_sgpr_count 2
		.amdhsa_user_sgpr_dispatch_ptr 0
		.amdhsa_user_sgpr_queue_ptr 0
		.amdhsa_user_sgpr_kernarg_segment_ptr 1
		.amdhsa_user_sgpr_dispatch_id 0
		.amdhsa_user_sgpr_kernarg_preload_length 0
		.amdhsa_user_sgpr_kernarg_preload_offset 0
		.amdhsa_user_sgpr_private_segment_size 0
		.amdhsa_wavefront_size32 1
		.amdhsa_uses_dynamic_stack 0
		.amdhsa_enable_private_segment 0
		.amdhsa_system_sgpr_workgroup_id_x 1
		.amdhsa_system_sgpr_workgroup_id_y 1
		.amdhsa_system_sgpr_workgroup_id_z 1
		.amdhsa_system_sgpr_workgroup_info 0
		.amdhsa_system_vgpr_workitem_id 1
		.amdhsa_next_free_vgpr 196
		.amdhsa_next_free_sgpr 48
		.amdhsa_named_barrier_count 0
		.amdhsa_reserve_vcc 1
		.amdhsa_float_round_mode_32 0
		.amdhsa_float_round_mode_16_64 0
		.amdhsa_float_denorm_mode_32 3
		.amdhsa_float_denorm_mode_16_64 3
		.amdhsa_fp16_overflow 0
		.amdhsa_memory_ordered 1
		.amdhsa_forward_progress 1
		.amdhsa_inst_pref_size 244
		.amdhsa_round_robin_scheduling 0
		.amdhsa_exception_fp_ieee_invalid_op 0
		.amdhsa_exception_fp_denorm_src 0
		.amdhsa_exception_fp_ieee_div_zero 0
		.amdhsa_exception_fp_ieee_overflow 0
		.amdhsa_exception_fp_ieee_underflow 0
		.amdhsa_exception_fp_ieee_inexact 0
		.amdhsa_exception_int_div_zero 0
	.end_amdhsa_kernel
	.section	.text._ZL15flash_attn_tileILi128ELi128ELi16ELi4ELb0EEvPKcS1_S1_S1_S1_PKiPfP15HIP_vector_typeIfLj2EEffffjfiS5_IjLj3EEiiiiiiiiiiiliiliiiiil,"axG",@progbits,_ZL15flash_attn_tileILi128ELi128ELi16ELi4ELb0EEvPKcS1_S1_S1_S1_PKiPfP15HIP_vector_typeIfLj2EEffffjfiS5_IjLj3EEiiiiiiiiiiiliiliiiiil,comdat
.Lfunc_end17:
	.size	_ZL15flash_attn_tileILi128ELi128ELi16ELi4ELb0EEvPKcS1_S1_S1_S1_PKiPfP15HIP_vector_typeIfLj2EEffffjfiS5_IjLj3EEiiiiiiiiiiiliiliiiiil, .Lfunc_end17-_ZL15flash_attn_tileILi128ELi128ELi16ELi4ELb0EEvPKcS1_S1_S1_S1_PKiPfP15HIP_vector_typeIfLj2EEffffjfiS5_IjLj3EEiiiiiiiiiiiliiliiiiil
                                        ; -- End function
	.set _ZL15flash_attn_tileILi128ELi128ELi16ELi4ELb0EEvPKcS1_S1_S1_S1_PKiPfP15HIP_vector_typeIfLj2EEffffjfiS5_IjLj3EEiiiiiiiiiiiliiliiiiil.num_vgpr, 196
	.set _ZL15flash_attn_tileILi128ELi128ELi16ELi4ELb0EEvPKcS1_S1_S1_S1_PKiPfP15HIP_vector_typeIfLj2EEffffjfiS5_IjLj3EEiiiiiiiiiiiliiliiiiil.num_agpr, 0
	.set _ZL15flash_attn_tileILi128ELi128ELi16ELi4ELb0EEvPKcS1_S1_S1_S1_PKiPfP15HIP_vector_typeIfLj2EEffffjfiS5_IjLj3EEiiiiiiiiiiiliiliiiiil.numbered_sgpr, 48
	.set _ZL15flash_attn_tileILi128ELi128ELi16ELi4ELb0EEvPKcS1_S1_S1_S1_PKiPfP15HIP_vector_typeIfLj2EEffffjfiS5_IjLj3EEiiiiiiiiiiiliiliiiiil.num_named_barrier, 0
	.set _ZL15flash_attn_tileILi128ELi128ELi16ELi4ELb0EEvPKcS1_S1_S1_S1_PKiPfP15HIP_vector_typeIfLj2EEffffjfiS5_IjLj3EEiiiiiiiiiiiliiliiiiil.private_seg_size, 0
	.set _ZL15flash_attn_tileILi128ELi128ELi16ELi4ELb0EEvPKcS1_S1_S1_S1_PKiPfP15HIP_vector_typeIfLj2EEffffjfiS5_IjLj3EEiiiiiiiiiiiliiliiiiil.uses_vcc, 1
	.set _ZL15flash_attn_tileILi128ELi128ELi16ELi4ELb0EEvPKcS1_S1_S1_S1_PKiPfP15HIP_vector_typeIfLj2EEffffjfiS5_IjLj3EEiiiiiiiiiiiliiliiiiil.uses_flat_scratch, 0
	.set _ZL15flash_attn_tileILi128ELi128ELi16ELi4ELb0EEvPKcS1_S1_S1_S1_PKiPfP15HIP_vector_typeIfLj2EEffffjfiS5_IjLj3EEiiiiiiiiiiiliiliiiiil.has_dyn_sized_stack, 0
	.set _ZL15flash_attn_tileILi128ELi128ELi16ELi4ELb0EEvPKcS1_S1_S1_S1_PKiPfP15HIP_vector_typeIfLj2EEffffjfiS5_IjLj3EEiiiiiiiiiiiliiliiiiil.has_recursion, 0
	.set _ZL15flash_attn_tileILi128ELi128ELi16ELi4ELb0EEvPKcS1_S1_S1_S1_PKiPfP15HIP_vector_typeIfLj2EEffffjfiS5_IjLj3EEiiiiiiiiiiiliiliiiiil.has_indirect_call, 0
	.section	.AMDGPU.csdata,"",@progbits
; Kernel info:
; codeLenInByte = 31208
; TotalNumSgprs: 50
; NumVgprs: 196
; ScratchSize: 0
; MemoryBound: 0
; FloatMode: 240
; IeeeMode: 1
; LDSByteSize: 33792 bytes/workgroup (compile time only)
; SGPRBlocks: 0
; VGPRBlocks: 12
; NumSGPRsForWavesPerEU: 50
; NumVGPRsForWavesPerEU: 196
; NamedBarCnt: 0
; Occupancy: 4
; WaveLimiterHint : 1
; COMPUTE_PGM_RSRC2:SCRATCH_EN: 0
; COMPUTE_PGM_RSRC2:USER_SGPR: 2
; COMPUTE_PGM_RSRC2:TRAP_HANDLER: 0
; COMPUTE_PGM_RSRC2:TGID_X_EN: 1
; COMPUTE_PGM_RSRC2:TGID_Y_EN: 1
; COMPUTE_PGM_RSRC2:TGID_Z_EN: 1
; COMPUTE_PGM_RSRC2:TIDIG_COMP_CNT: 1
	.section	.text._ZL25flash_attn_mask_to_KV_maxILi16EEvPK7__half2Piiii,"axG",@progbits,_ZL25flash_attn_mask_to_KV_maxILi16EEvPK7__half2Piiii,comdat
	.globl	_ZL25flash_attn_mask_to_KV_maxILi16EEvPK7__half2Piiii ; -- Begin function _ZL25flash_attn_mask_to_KV_maxILi16EEvPK7__half2Piiii
	.p2align	8
	.type	_ZL25flash_attn_mask_to_KV_maxILi16EEvPK7__half2Piiii,@function
_ZL25flash_attn_mask_to_KV_maxILi16EEvPK7__half2Piiii: ; @_ZL25flash_attn_mask_to_KV_maxILi16EEvPK7__half2Piiii
; %bb.0:
	s_load_b128 s[4:7], s[0:1], 0x0
	s_mov_b32 s2, exec_lo
	v_cmpx_gt_u32_e32 32, v0
; %bb.1:
	v_dual_mov_b32 v2, 1 :: v_dual_lshlrev_b32 v1, 2, v0
	ds_store_b32 v1, v2
; %bb.2:
	s_or_b32 exec_lo, exec_lo, s2
	s_clause 0x1
	s_load_b96 s[8:10], s[0:1], 0x10
	s_load_b32 s11, s[0:1], 0x20
	s_wait_xcnt 0x0
	s_bfe_u32 s1, ttmp6, 0x4000c
	s_bfe_u32 s2, ttmp6, 0x40010
	s_add_co_i32 s1, s1, 1
	s_add_co_i32 s2, s2, 1
	s_and_b32 s0, ttmp6, 15
	s_bfe_u32 s3, ttmp6, 0x40004
	s_mul_i32 s1, ttmp9, s1
	s_mul_i32 s2, ttmp7, s2
	s_getreg_b32 s12, hwreg(HW_REG_IB_STS2, 6, 4)
	s_add_co_i32 s0, s0, s1
	s_add_co_i32 s3, s3, s2
	s_cmp_eq_u32 s12, 0
	v_dual_lshrrev_b32 v1, 3, v0 :: v_dual_bitop2_b32 v2, 31, v0 bitop3:0x40
	s_cselect_b32 s1, ttmp9, s0
	s_cselect_b32 s12, ttmp7, s3
	s_wait_dscnt 0x0
	s_barrier_signal -1
	s_wait_kmcnt 0x0
	s_mul_i32 s0, s1, s9
	s_mul_i32 s2, s10, s12
	s_lshl_b32 s0, s0, 4
	s_barrier_wait -1
	s_add_co_i32 s2, s2, s0
	v_cmp_eq_u32_e64 s0, 0, v2
	s_ashr_i32 s3, s2, 31
	v_lshlrev_b32_e32 v2, 2, v2
	s_lshl_b64 s[2:3], s[2:3], 2
	s_delay_alu instid0(SALU_CYCLE_1)
	s_add_nc_u64 s[2:3], s[4:5], s[2:3]
	s_lshl_b32 s5, s8, 8
	s_branch .LBB18_4
.LBB18_3:                               ;   in Loop: Header=BB18_4 Depth=1
	s_or_b32 exec_lo, exec_lo, s8
	s_wait_dscnt 0x0
	s_barrier_signal -1
	s_barrier_wait -1
	ds_load_b32 v3, v2
	s_wait_dscnt 0x0
	s_barrier_signal -1
	s_barrier_wait -1
	v_cmp_ne_u32_e32 vcc_lo, 0, v3
	s_cmp_lg_u32 vcc_lo, exec_lo
	s_cselect_b32 s8, -1, 0
	s_delay_alu instid0(SALU_CYCLE_1)
	s_and_b32 vcc_lo, exec_lo, s8
	s_cbranch_vccnz .LBB18_68
.LBB18_4:                               ; =>This Inner Loop Header: Depth=1
	s_mov_b32 s4, s5
	s_addk_co_i32 s5, 0xff00
	s_delay_alu instid0(SALU_CYCLE_1)
	s_cmp_lt_i32 s5, 0
	s_cbranch_scc1 .LBB18_67
; %bb.5:                                ;   in Loop: Header=BB18_4 Depth=1
	s_lshr_b32 s8, s5, 1
	s_delay_alu instid0(SALU_CYCLE_1) | instskip(SKIP_4) | instid1(VALU_DEP_2)
	v_add_nc_u32_e32 v3, s8, v0
	global_load_b32 v4, v3, s[2:3] scale_offset
	s_wait_loadcnt 0x0
	v_lshrrev_b32_e32 v5, 16, v4
	v_cmp_class_f16_e64 s8, v4, 0x204
	v_cmp_class_f16_e64 s10, v5, 0x204
	s_and_b32 s13, s8, s10
	s_mov_b32 s10, 0
	s_and_saveexec_b32 s8, s13
	s_cbranch_execz .LBB18_65
; %bb.6:                                ;   in Loop: Header=BB18_4 Depth=1
	v_add_nc_u32_e32 v3, s9, v3
	s_mov_b32 s13, 0
	global_load_b32 v4, v3, s[2:3] scale_offset
	s_wait_loadcnt 0x0
	v_cmp_class_f16_e64 s14, v4, 0x204
	s_and_saveexec_b32 s10, s14
	s_cbranch_execz .LBB18_64
; %bb.7:                                ;   in Loop: Header=BB18_4 Depth=1
	v_lshrrev_b32_e32 v4, 16, v4
	s_mov_b32 s14, 0
	s_delay_alu instid0(VALU_DEP_1)
	v_cmp_class_f16_e64 s15, v4, 0x204
	s_and_saveexec_b32 s13, s15
	s_cbranch_execz .LBB18_63
; %bb.8:                                ;   in Loop: Header=BB18_4 Depth=1
	v_add_nc_u32_e32 v3, s9, v3
	s_mov_b32 s15, 0
	global_load_b32 v4, v3, s[2:3] scale_offset
	s_wait_loadcnt 0x0
	v_cmp_class_f16_e64 s16, v4, 0x204
	s_and_saveexec_b32 s14, s16
	s_cbranch_execz .LBB18_62
; %bb.9:                                ;   in Loop: Header=BB18_4 Depth=1
	v_lshrrev_b32_e32 v4, 16, v4
	s_mov_b32 s16, 0
	s_delay_alu instid0(VALU_DEP_1)
	v_cmp_class_f16_e64 s17, v4, 0x204
	s_and_saveexec_b32 s15, s17
	s_cbranch_execz .LBB18_61
; %bb.10:                               ;   in Loop: Header=BB18_4 Depth=1
	v_add_nc_u32_e32 v3, s9, v3
	s_mov_b32 s17, 0
	global_load_b32 v4, v3, s[2:3] scale_offset
	s_wait_loadcnt 0x0
	v_cmp_class_f16_e64 s18, v4, 0x204
	s_and_saveexec_b32 s16, s18
	s_cbranch_execz .LBB18_60
; %bb.11:                               ;   in Loop: Header=BB18_4 Depth=1
	v_lshrrev_b32_e32 v4, 16, v4
	s_mov_b32 s18, 0
	s_delay_alu instid0(VALU_DEP_1)
	v_cmp_class_f16_e64 s19, v4, 0x204
	s_and_saveexec_b32 s17, s19
	s_cbranch_execz .LBB18_59
; %bb.12:                               ;   in Loop: Header=BB18_4 Depth=1
	v_add_nc_u32_e32 v3, s9, v3
	s_mov_b32 s19, 0
	global_load_b32 v4, v3, s[2:3] scale_offset
	s_wait_loadcnt 0x0
	v_cmp_class_f16_e64 s20, v4, 0x204
	s_and_saveexec_b32 s18, s20
	s_cbranch_execz .LBB18_58
; %bb.13:                               ;   in Loop: Header=BB18_4 Depth=1
	;; [unrolled: 15-line block ×12, first 2 shown]
	v_lshrrev_b32_e32 v4, 16, v4
	s_mov_b32 s41, 0
	s_delay_alu instid0(VALU_DEP_1)
	v_cmp_class_f16_e64 s42, v4, 0x204
	s_and_saveexec_b32 s40, s42
	s_cbranch_execz .LBB18_37
; %bb.34:                               ;   in Loop: Header=BB18_4 Depth=1
	v_add_nc_u32_e32 v3, s9, v3
	global_load_b32 v3, v3, s[2:3] scale_offset
	s_wait_loadcnt 0x0
	v_cmp_class_f16_e64 s43, v3, 0x204
	s_and_saveexec_b32 s42, s43
; %bb.35:                               ;   in Loop: Header=BB18_4 Depth=1
	v_lshrrev_b32_e32 v3, 16, v3
	s_delay_alu instid0(VALU_DEP_1)
	v_cmp_class_f16_e64 s41, v3, 0x204
	s_and_b32 s41, s41, exec_lo
; %bb.36:                               ;   in Loop: Header=BB18_4 Depth=1
	s_or_b32 exec_lo, exec_lo, s42
	s_delay_alu instid0(SALU_CYCLE_1)
	s_and_b32 s41, s41, exec_lo
.LBB18_37:                              ;   in Loop: Header=BB18_4 Depth=1
	s_or_b32 exec_lo, exec_lo, s40
	s_delay_alu instid0(SALU_CYCLE_1)
	s_and_b32 s40, s41, exec_lo
.LBB18_38:                              ;   in Loop: Header=BB18_4 Depth=1
	s_or_b32 exec_lo, exec_lo, s39
	s_delay_alu instid0(SALU_CYCLE_1)
	s_and_b32 s39, s40, exec_lo
.LBB18_39:                              ;   in Loop: Header=BB18_4 Depth=1
	s_or_b32 exec_lo, exec_lo, s38
	s_delay_alu instid0(SALU_CYCLE_1)
	s_and_b32 s38, s39, exec_lo
.LBB18_40:                              ;   in Loop: Header=BB18_4 Depth=1
	s_or_b32 exec_lo, exec_lo, s37
	s_delay_alu instid0(SALU_CYCLE_1)
	s_and_b32 s37, s38, exec_lo
.LBB18_41:                              ;   in Loop: Header=BB18_4 Depth=1
	s_or_b32 exec_lo, exec_lo, s36
	s_delay_alu instid0(SALU_CYCLE_1)
	s_and_b32 s36, s37, exec_lo
.LBB18_42:                              ;   in Loop: Header=BB18_4 Depth=1
	s_or_b32 exec_lo, exec_lo, s35
	s_delay_alu instid0(SALU_CYCLE_1)
	s_and_b32 s35, s36, exec_lo
.LBB18_43:                              ;   in Loop: Header=BB18_4 Depth=1
	s_or_b32 exec_lo, exec_lo, s34
	s_delay_alu instid0(SALU_CYCLE_1)
	s_and_b32 s34, s35, exec_lo
.LBB18_44:                              ;   in Loop: Header=BB18_4 Depth=1
	s_or_b32 exec_lo, exec_lo, s33
	s_delay_alu instid0(SALU_CYCLE_1)
	s_and_b32 s33, s34, exec_lo
.LBB18_45:                              ;   in Loop: Header=BB18_4 Depth=1
	s_or_b32 exec_lo, exec_lo, s31
	s_delay_alu instid0(SALU_CYCLE_1)
	s_and_b32 s31, s33, exec_lo
.LBB18_46:                              ;   in Loop: Header=BB18_4 Depth=1
	s_or_b32 exec_lo, exec_lo, s30
	s_delay_alu instid0(SALU_CYCLE_1)
	s_and_b32 s30, s31, exec_lo
.LBB18_47:                              ;   in Loop: Header=BB18_4 Depth=1
	s_or_b32 exec_lo, exec_lo, s29
	s_delay_alu instid0(SALU_CYCLE_1)
	s_and_b32 s29, s30, exec_lo
.LBB18_48:                              ;   in Loop: Header=BB18_4 Depth=1
	s_or_b32 exec_lo, exec_lo, s28
	s_delay_alu instid0(SALU_CYCLE_1)
	s_and_b32 s28, s29, exec_lo
.LBB18_49:                              ;   in Loop: Header=BB18_4 Depth=1
	s_or_b32 exec_lo, exec_lo, s27
	s_delay_alu instid0(SALU_CYCLE_1)
	s_and_b32 s27, s28, exec_lo
.LBB18_50:                              ;   in Loop: Header=BB18_4 Depth=1
	s_or_b32 exec_lo, exec_lo, s26
	s_delay_alu instid0(SALU_CYCLE_1)
	s_and_b32 s26, s27, exec_lo
.LBB18_51:                              ;   in Loop: Header=BB18_4 Depth=1
	s_or_b32 exec_lo, exec_lo, s25
	s_delay_alu instid0(SALU_CYCLE_1)
	s_and_b32 s25, s26, exec_lo
.LBB18_52:                              ;   in Loop: Header=BB18_4 Depth=1
	s_or_b32 exec_lo, exec_lo, s24
	s_delay_alu instid0(SALU_CYCLE_1)
	s_and_b32 s24, s25, exec_lo
.LBB18_53:                              ;   in Loop: Header=BB18_4 Depth=1
	s_or_b32 exec_lo, exec_lo, s23
	s_delay_alu instid0(SALU_CYCLE_1)
	s_and_b32 s23, s24, exec_lo
.LBB18_54:                              ;   in Loop: Header=BB18_4 Depth=1
	s_or_b32 exec_lo, exec_lo, s22
	s_delay_alu instid0(SALU_CYCLE_1)
	s_and_b32 s22, s23, exec_lo
.LBB18_55:                              ;   in Loop: Header=BB18_4 Depth=1
	s_or_b32 exec_lo, exec_lo, s21
	s_delay_alu instid0(SALU_CYCLE_1)
	s_and_b32 s21, s22, exec_lo
.LBB18_56:                              ;   in Loop: Header=BB18_4 Depth=1
	s_or_b32 exec_lo, exec_lo, s20
	s_delay_alu instid0(SALU_CYCLE_1)
	s_and_b32 s20, s21, exec_lo
.LBB18_57:                              ;   in Loop: Header=BB18_4 Depth=1
	s_or_b32 exec_lo, exec_lo, s19
	s_delay_alu instid0(SALU_CYCLE_1)
	s_and_b32 s19, s20, exec_lo
.LBB18_58:                              ;   in Loop: Header=BB18_4 Depth=1
	s_or_b32 exec_lo, exec_lo, s18
	s_delay_alu instid0(SALU_CYCLE_1)
	s_and_b32 s18, s19, exec_lo
.LBB18_59:                              ;   in Loop: Header=BB18_4 Depth=1
	s_or_b32 exec_lo, exec_lo, s17
	s_delay_alu instid0(SALU_CYCLE_1)
	s_and_b32 s17, s18, exec_lo
.LBB18_60:                              ;   in Loop: Header=BB18_4 Depth=1
	s_or_b32 exec_lo, exec_lo, s16
	s_delay_alu instid0(SALU_CYCLE_1)
	s_and_b32 s16, s17, exec_lo
.LBB18_61:                              ;   in Loop: Header=BB18_4 Depth=1
	s_or_b32 exec_lo, exec_lo, s15
	s_delay_alu instid0(SALU_CYCLE_1)
	s_and_b32 s15, s16, exec_lo
.LBB18_62:                              ;   in Loop: Header=BB18_4 Depth=1
	s_or_b32 exec_lo, exec_lo, s14
	s_delay_alu instid0(SALU_CYCLE_1)
	s_and_b32 s14, s15, exec_lo
.LBB18_63:                              ;   in Loop: Header=BB18_4 Depth=1
	s_or_b32 exec_lo, exec_lo, s13
	s_delay_alu instid0(SALU_CYCLE_1)
	s_and_b32 s13, s14, exec_lo
.LBB18_64:                              ;   in Loop: Header=BB18_4 Depth=1
	s_or_b32 exec_lo, exec_lo, s10
	s_delay_alu instid0(SALU_CYCLE_1)
	s_and_b32 s10, s13, exec_lo
.LBB18_65:                              ;   in Loop: Header=BB18_4 Depth=1
	s_or_b32 exec_lo, exec_lo, s8
	v_cndmask_b32_e64 v3, 0, 1, s10
	s_mov_b32 s13, exec_lo
	s_delay_alu instid0(VALU_DEP_1)
	v_cmp_ne_u32_e32 vcc_lo, 0, v3
	s_and_saveexec_b32 s8, s0
	s_cbranch_execz .LBB18_3
; %bb.66:                               ;   in Loop: Header=BB18_4 Depth=1
	s_cmp_eq_u32 vcc_lo, s13
	s_cselect_b32 s10, -1, 0
	s_delay_alu instid0(SALU_CYCLE_1)
	v_cndmask_b32_e64 v3, 0, 1, s10
	ds_store_b32 v1, v3
	s_branch .LBB18_3
.LBB18_67:                              ;   in Loop: Header=BB18_4 Depth=1
	s_cbranch_execz .LBB18_4
.LBB18_68:
	s_mov_b32 s0, exec_lo
	v_cmpx_eq_u32_e32 0, v0
	s_cbranch_execz .LBB18_70
; %bb.69:
	s_mul_i32 s0, s11, s12
	v_mov_b32_e32 v1, s4
	s_add_co_i32 s0, s0, s1
	s_delay_alu instid0(SALU_CYCLE_1)
	v_mov_b32_e32 v0, s0
	global_store_b32 v0, v1, s[6:7] scale_offset
.LBB18_70:
	s_endpgm
	.section	.rodata,"a",@progbits
	.p2align	6, 0x0
	.amdhsa_kernel _ZL25flash_attn_mask_to_KV_maxILi16EEvPK7__half2Piiii
		.amdhsa_group_segment_fixed_size 128
		.amdhsa_private_segment_fixed_size 0
		.amdhsa_kernarg_size 288
		.amdhsa_user_sgpr_count 2
		.amdhsa_user_sgpr_dispatch_ptr 0
		.amdhsa_user_sgpr_queue_ptr 0
		.amdhsa_user_sgpr_kernarg_segment_ptr 1
		.amdhsa_user_sgpr_dispatch_id 0
		.amdhsa_user_sgpr_kernarg_preload_length 0
		.amdhsa_user_sgpr_kernarg_preload_offset 0
		.amdhsa_user_sgpr_private_segment_size 0
		.amdhsa_wavefront_size32 1
		.amdhsa_uses_dynamic_stack 0
		.amdhsa_enable_private_segment 0
		.amdhsa_system_sgpr_workgroup_id_x 1
		.amdhsa_system_sgpr_workgroup_id_y 1
		.amdhsa_system_sgpr_workgroup_id_z 0
		.amdhsa_system_sgpr_workgroup_info 0
		.amdhsa_system_vgpr_workitem_id 0
		.amdhsa_next_free_vgpr 6
		.amdhsa_next_free_sgpr 44
		.amdhsa_named_barrier_count 0
		.amdhsa_reserve_vcc 1
		.amdhsa_float_round_mode_32 0
		.amdhsa_float_round_mode_16_64 0
		.amdhsa_float_denorm_mode_32 3
		.amdhsa_float_denorm_mode_16_64 3
		.amdhsa_fp16_overflow 0
		.amdhsa_memory_ordered 1
		.amdhsa_forward_progress 1
		.amdhsa_inst_pref_size 16
		.amdhsa_round_robin_scheduling 0
		.amdhsa_exception_fp_ieee_invalid_op 0
		.amdhsa_exception_fp_denorm_src 0
		.amdhsa_exception_fp_ieee_div_zero 0
		.amdhsa_exception_fp_ieee_overflow 0
		.amdhsa_exception_fp_ieee_underflow 0
		.amdhsa_exception_fp_ieee_inexact 0
		.amdhsa_exception_int_div_zero 0
	.end_amdhsa_kernel
	.section	.text._ZL25flash_attn_mask_to_KV_maxILi16EEvPK7__half2Piiii,"axG",@progbits,_ZL25flash_attn_mask_to_KV_maxILi16EEvPK7__half2Piiii,comdat
.Lfunc_end18:
	.size	_ZL25flash_attn_mask_to_KV_maxILi16EEvPK7__half2Piiii, .Lfunc_end18-_ZL25flash_attn_mask_to_KV_maxILi16EEvPK7__half2Piiii
                                        ; -- End function
	.set _ZL25flash_attn_mask_to_KV_maxILi16EEvPK7__half2Piiii.num_vgpr, 6
	.set _ZL25flash_attn_mask_to_KV_maxILi16EEvPK7__half2Piiii.num_agpr, 0
	.set _ZL25flash_attn_mask_to_KV_maxILi16EEvPK7__half2Piiii.numbered_sgpr, 44
	.set _ZL25flash_attn_mask_to_KV_maxILi16EEvPK7__half2Piiii.num_named_barrier, 0
	.set _ZL25flash_attn_mask_to_KV_maxILi16EEvPK7__half2Piiii.private_seg_size, 0
	.set _ZL25flash_attn_mask_to_KV_maxILi16EEvPK7__half2Piiii.uses_vcc, 1
	.set _ZL25flash_attn_mask_to_KV_maxILi16EEvPK7__half2Piiii.uses_flat_scratch, 0
	.set _ZL25flash_attn_mask_to_KV_maxILi16EEvPK7__half2Piiii.has_dyn_sized_stack, 0
	.set _ZL25flash_attn_mask_to_KV_maxILi16EEvPK7__half2Piiii.has_recursion, 0
	.set _ZL25flash_attn_mask_to_KV_maxILi16EEvPK7__half2Piiii.has_indirect_call, 0
	.section	.AMDGPU.csdata,"",@progbits
; Kernel info:
; codeLenInByte = 1948
; TotalNumSgprs: 46
; NumVgprs: 6
; ScratchSize: 0
; MemoryBound: 0
; FloatMode: 240
; IeeeMode: 1
; LDSByteSize: 128 bytes/workgroup (compile time only)
; SGPRBlocks: 0
; VGPRBlocks: 0
; NumSGPRsForWavesPerEU: 46
; NumVGPRsForWavesPerEU: 6
; NamedBarCnt: 0
; Occupancy: 16
; WaveLimiterHint : 0
; COMPUTE_PGM_RSRC2:SCRATCH_EN: 0
; COMPUTE_PGM_RSRC2:USER_SGPR: 2
; COMPUTE_PGM_RSRC2:TRAP_HANDLER: 0
; COMPUTE_PGM_RSRC2:TGID_X_EN: 1
; COMPUTE_PGM_RSRC2:TGID_Y_EN: 1
; COMPUTE_PGM_RSRC2:TGID_Z_EN: 0
; COMPUTE_PGM_RSRC2:TIDIG_COMP_CNT: 0
	.section	.text._ZL33flash_attn_stream_k_fixup_uniformILi128ELi16ELi4EEvPfPK15HIP_vector_typeIfLj2EEiiiiiiS1_IjLj3EES5_S5_,"axG",@progbits,_ZL33flash_attn_stream_k_fixup_uniformILi128ELi16ELi4EEvPfPK15HIP_vector_typeIfLj2EEiiiiiiS1_IjLj3EES5_S5_,comdat
	.globl	_ZL33flash_attn_stream_k_fixup_uniformILi128ELi16ELi4EEvPfPK15HIP_vector_typeIfLj2EEiiiiiiS1_IjLj3EES5_S5_ ; -- Begin function _ZL33flash_attn_stream_k_fixup_uniformILi128ELi16ELi4EEvPfPK15HIP_vector_typeIfLj2EEiiiiiiS1_IjLj3EES5_S5_
	.p2align	8
	.type	_ZL33flash_attn_stream_k_fixup_uniformILi128ELi16ELi4EEvPfPK15HIP_vector_typeIfLj2EEiiiiiiS1_IjLj3EES5_S5_,@function
_ZL33flash_attn_stream_k_fixup_uniformILi128ELi16ELi4EEvPfPK15HIP_vector_typeIfLj2EEiiiiiiS1_IjLj3EES5_S5_: ; @_ZL33flash_attn_stream_k_fixup_uniformILi128ELi16ELi4EEvPfPK15HIP_vector_typeIfLj2EEiiiiiiS1_IjLj3EES5_S5_
; %bb.0:
	s_load_b256 s[4:11], s[0:1], 0x1c
	s_bfe_u32 s2, ttmp6, 0x40014
	s_lshr_b32 s3, ttmp7, 16
	s_add_co_i32 s2, s2, 1
	s_bfe_u32 s13, ttmp6, 0x40010
	s_mul_i32 s2, s3, s2
	s_bfe_u32 s12, ttmp6, 0x40008
	s_and_b32 s15, ttmp7, 0xffff
	s_add_co_i32 s13, s13, 1
	s_bfe_u32 s14, ttmp6, 0x4000c
	s_add_co_i32 s12, s12, s2
	s_mul_i32 s2, s15, s13
	s_bfe_u32 s13, ttmp6, 0x40004
	s_add_co_i32 s14, s14, 1
	s_add_co_i32 s13, s13, s2
	s_and_b32 s2, ttmp6, 15
	s_mul_i32 s14, ttmp9, s14
	s_getreg_b32 s20, hwreg(HW_REG_IB_STS2, 6, 4)
	s_add_co_i32 s2, s2, s14
	s_load_b128 s[16:19], s[0:1], 0x3c
	s_cmp_eq_u32 s20, 0
	s_cselect_b32 s14, ttmp9, s2
	s_cselect_b32 s13, s15, s13
	s_wait_kmcnt 0x0
	s_mul_hi_u32 s2, s7, s14
	s_cselect_b32 s12, s3, s12
	s_add_co_i32 s2, s14, s2
	s_delay_alu instid0(SALU_CYCLE_1) | instskip(NEXT) | instid1(SALU_CYCLE_1)
	s_lshr_b32 s7, s2, s8
	s_mul_i32 s2, s7, s9
	s_delay_alu instid0(SALU_CYCLE_1) | instskip(NEXT) | instid1(SALU_CYCLE_1)
	s_sub_co_i32 s8, s14, s2
	s_mul_hi_u32 s2, s8, s10
	s_delay_alu instid0(SALU_CYCLE_1) | instskip(SKIP_2) | instid1(SALU_CYCLE_1)
	s_add_co_i32 s9, s8, s2
	s_load_b64 s[2:3], s[0:1], 0x10
	s_lshr_b32 s15, s9, s11
	s_mul_i32 s9, s15, s16
	s_delay_alu instid0(SALU_CYCLE_1) | instskip(NEXT) | instid1(SALU_CYCLE_1)
	s_sub_co_i32 s8, s8, s9
	s_mul_hi_u32 s9, s8, s17
	s_delay_alu instid0(SALU_CYCLE_1) | instskip(NEXT) | instid1(SALU_CYCLE_1)
	s_add_co_i32 s9, s8, s9
	s_lshr_b32 s9, s9, s18
	s_delay_alu instid0(SALU_CYCLE_1) | instskip(SKIP_2) | instid1(SALU_CYCLE_1)
	s_mul_i32 s10, s9, s19
	s_lshl_b32 s17, s9, 2
	s_sub_co_i32 s16, s8, s10
	s_lshl_b32 s8, s16, 4
	s_delay_alu instid0(SALU_CYCLE_1) | instskip(SKIP_4) | instid1(SALU_CYCLE_1)
	s_add_co_i32 s8, s8, s13
	s_wait_kmcnt 0x0
	s_cmp_lt_i32 s8, s2
	s_cselect_b32 s8, -1, 0
	s_add_co_i32 s9, s17, s12
	s_cmp_lt_i32 s9, s5
	s_cselect_b32 s9, -1, 0
	s_delay_alu instid0(SALU_CYCLE_1) | instskip(NEXT) | instid1(SALU_CYCLE_1)
	s_and_b32 s8, s8, s9
	s_and_not1_b32 vcc_lo, exec_lo, s8
	s_cbranch_vccnz .LBB19_6
; %bb.1:
	s_mul_i32 s2, s7, s2
	s_load_b128 s[8:11], s[0:1], 0x0
	s_wait_xcnt 0x0
	s_add_co_i32 s0, s2, s13
	s_mul_i32 s15, s15, s5
	s_mul_i32 s0, s0, s3
	;; [unrolled: 1-line block ×3, first 2 shown]
	s_add_co_i32 s0, s0, s12
	s_lshl_b32 s1, s1, 11
	s_add_co_i32 s0, s0, s15
	s_mul_i32 s7, s6, s14
	s_add_co_i32 s0, s0, s17
	s_lshl_b32 s5, s13, 2
	s_lshl_b32 s0, s0, 7
	s_add_co_i32 s15, s7, s6
	s_add_co_i32 s1, s1, s0
	;; [unrolled: 1-line block ×3, first 2 shown]
	v_or_b32_e32 v4, s1, v0
	s_lshl_b32 s1, s15, 6
	s_add_co_i32 s2, s15, -2
	s_add_co_i32 s0, s0, s1
	s_delay_alu instid0(SALU_CYCLE_1)
	s_sub_co_i32 s0, s0, 64
	s_wait_kmcnt 0x0
	global_load_b32 v3, v4, s[8:9] scale_offset
	s_ashr_i32 s1, s0, 31
	v_ashrrev_i32_e32 v5, 31, v4
	s_lshl_b64 s[0:1], s[0:1], 3
	s_cmp_lt_i32 s2, s7
	s_add_nc_u64 s[0:1], s[10:11], s[0:1]
	s_load_b32 s16, s[0:1], 0x4
	s_cbranch_scc1 .LBB19_4
; %bb.2:
	s_wait_xcnt 0x0
	s_load_b32 s0, s[0:1], 0x0
	s_add_co_i32 s14, s14, 1
	s_lshl_b32 s3, s13, 9
	s_wait_xcnt 0x0
	s_mul_i32 s1, s6, s14
	s_lshl_b32 s6, s12, 7
	s_lshl_b32 s13, s1, 13
	s_add_co_i32 s6, s6, s3
	s_lshl_b32 s1, s1, 6
	s_add_co_i32 s6, s6, s13
	s_lshl_b32 s2, s4, 8
	s_wait_kmcnt 0x0
	v_dual_mov_b32 v2, s16 :: v_dual_bitop2_b32 v0, s6, v0 bitop3:0x54
	s_add_co_i32 s1, s12, s1
	s_lshl_b32 s4, s4, 6
	s_ashr_i32 s3, s2, 31
	s_add_co_i32 s1, s1, s4
	v_add_nc_u32_e32 v0, 0xffffc000, v0
	s_lshl_b64 s[2:3], s[2:3], 2
	s_add_co_i32 s4, s1, s5
	s_add_nc_u64 s[2:3], s[10:11], s[2:3]
	s_add_co_i32 s1, s15, -1
	s_addk_co_i32 s4, 0xff80
.LBB19_3:                               ; =>This Inner Loop Header: Depth=1
	global_load_b32 v7, v0, s[2:3] scale_offset
	s_ashr_i32 s5, s4, 31
	v_max_num_f32_e64 v1, s0, s0
	s_lshl_b64 s[12:13], s[4:5], 3
	s_delay_alu instid0(SALU_CYCLE_1) | instskip(SKIP_1) | instid1(VALU_DEP_1)
	s_add_nc_u64 s[12:13], s[10:11], s[12:13]
	s_load_b64 s[12:13], s[12:13], 0x0
	v_readfirstlane_b32 s5, v1
	v_add_nc_u32_e32 v0, 0xffffe000, v0
	s_wait_kmcnt 0x0
	v_max_num_f32_e64 v1, s12, s12
	s_delay_alu instid0(VALU_DEP_1) | instskip(SKIP_1) | instid1(SALU_CYCLE_3)
	v_readfirstlane_b32 s6, v1
	s_max_num_f32 s5, s5, s6
	s_sub_f32 s0, s0, s5
	s_sub_f32 s6, s12, s5
	s_delay_alu instid0(SALU_CYCLE_2) | instskip(NEXT) | instid1(SALU_CYCLE_2)
	s_mul_f32 s12, s0, 0x3fb8aa3b
	s_mul_f32 s14, s6, 0x3fb8aa3b
	s_delay_alu instid0(SALU_CYCLE_2)
	s_xor_b32 s15, s12, 0x80000000
	s_rndne_f32 s16, s12
	s_fmamk_f32 s15, s0, 0x3fb8aa3b, s15
	s_cmp_nlt_f32 s0, 0xc2ce8ed0
	s_rndne_f32 s17, s14
	s_sub_f32 s12, s12, s16
	s_fmamk_f32 s15, s0, 0x32a5705f, s15
	s_cselect_b32 vcc_lo, -1, 0
	s_cmp_ngt_f32 s0, 0x42b17218
	s_delay_alu instid0(SALU_CYCLE_1) | instskip(SKIP_2) | instid1(SALU_CYCLE_1)
	s_add_f32 s12, s12, s15
	s_cvt_i32_f32 s15, s16
	s_sub_f32 s16, s14, s17
	v_s_exp_f32 s12, s12
	v_nop
	s_delay_alu instid0(TRANS32_DEP_1) | instskip(SKIP_1) | instid1(VALU_DEP_1)
	v_ldexp_f32 v1, s12, s15
	s_cvt_i32_f32 s12, s17
	v_cndmask_b32_e32 v1, 0, v1, vcc_lo
	s_cselect_b32 vcc_lo, -1, 0
	s_cmp_ge_f32 s0, 0xc1a00000
	s_delay_alu instid0(VALU_DEP_1)
	v_cndmask_b32_e32 v1, 0x7f800000, v1, vcc_lo
	s_cselect_b32 vcc_lo, -1, 0
	s_xor_b32 s0, s14, 0x80000000
	s_cmp_nlt_f32 s6, 0xc2ce8ed0
	s_fmamk_f32 s0, s6, 0x3fb8aa3b, s0
	v_cndmask_b32_e32 v10, 0, v1, vcc_lo
	s_delay_alu instid0(SALU_CYCLE_2) | instskip(NEXT) | instid1(SALU_CYCLE_3)
	s_fmamk_f32 s0, s6, 0x32a5705f, s0
	s_add_f32 s0, s16, s0
	s_delay_alu instid0(SALU_CYCLE_3) | instskip(SKIP_1) | instid1(TRANS32_DEP_1)
	v_s_exp_f32 s0, s0
	v_nop
	v_ldexp_f32 v6, s0, s12
	s_cselect_b32 s0, -1, 0
	s_cmp_ngt_f32 s6, 0x42b17218
	s_delay_alu instid0(VALU_DEP_1) | instskip(SKIP_2) | instid1(VALU_DEP_1)
	v_cndmask_b32_e64 v6, 0, v6, s0
	s_cselect_b32 s0, -1, 0
	s_cmp_ge_f32 s6, 0xc1a00000
	v_cndmask_b32_e64 v8, 0x7f800000, v6, s0
	s_cselect_b32 s0, -1, 0
	v_mov_b32_e32 v6, s13
	s_add_co_i32 s1, s1, -1
	s_sub_co_i32 s4, s4, 64
	v_cndmask_b32_e64 v8, 0, v8, s0
	s_cmp_le_i32 s1, s7
	s_mov_b32 s0, s5
	s_wait_loadcnt 0x0
	s_delay_alu instid0(VALU_DEP_1) | instskip(NEXT) | instid1(VALU_DEP_1)
	v_pk_mul_f32 v[6:7], v[6:7], v[8:9] op_sel_hi:[1,0]
	v_pk_fma_f32 v[2:3], v[2:3], v[10:11], v[6:7] op_sel_hi:[1,0,1]
	s_cbranch_scc0 .LBB19_3
	s_branch .LBB19_5
.LBB19_4:
	s_wait_kmcnt 0x0
	v_mov_b32_e32 v2, s16
.LBB19_5:
	v_lshl_add_u64 v[0:1], v[4:5], 2, s[8:9]
	s_wait_loadcnt 0x0
	s_delay_alu instid0(VALU_DEP_2) | instskip(NEXT) | instid1(VALU_DEP_1)
	v_div_scale_f32 v4, null, v2, v2, v3
	v_rcp_f32_e32 v5, v4
	v_nop
	s_delay_alu instid0(TRANS32_DEP_1) | instskip(NEXT) | instid1(VALU_DEP_1)
	v_fma_f32 v6, -v4, v5, 1.0
	v_fmac_f32_e32 v5, v6, v5
	v_div_scale_f32 v6, vcc_lo, v3, v2, v3
	s_delay_alu instid0(VALU_DEP_1) | instskip(NEXT) | instid1(VALU_DEP_1)
	v_mul_f32_e32 v7, v6, v5
	v_fma_f32 v8, -v4, v7, v6
	s_delay_alu instid0(VALU_DEP_1) | instskip(NEXT) | instid1(VALU_DEP_1)
	v_fmac_f32_e32 v7, v8, v5
	v_fma_f32 v4, -v4, v7, v6
	s_delay_alu instid0(VALU_DEP_1) | instskip(NEXT) | instid1(VALU_DEP_1)
	v_div_fmas_f32 v4, v4, v5, v7
	v_div_fixup_f32 v2, v4, v2, v3
	global_store_b32 v[0:1], v2, off
.LBB19_6:
	s_endpgm
	.section	.rodata,"a",@progbits
	.p2align	6, 0x0
	.amdhsa_kernel _ZL33flash_attn_stream_k_fixup_uniformILi128ELi16ELi4EEvPfPK15HIP_vector_typeIfLj2EEiiiiiiS1_IjLj3EES5_S5_
		.amdhsa_group_segment_fixed_size 0
		.amdhsa_private_segment_fixed_size 0
		.amdhsa_kernarg_size 76
		.amdhsa_user_sgpr_count 2
		.amdhsa_user_sgpr_dispatch_ptr 0
		.amdhsa_user_sgpr_queue_ptr 0
		.amdhsa_user_sgpr_kernarg_segment_ptr 1
		.amdhsa_user_sgpr_dispatch_id 0
		.amdhsa_user_sgpr_kernarg_preload_length 0
		.amdhsa_user_sgpr_kernarg_preload_offset 0
		.amdhsa_user_sgpr_private_segment_size 0
		.amdhsa_wavefront_size32 1
		.amdhsa_uses_dynamic_stack 0
		.amdhsa_enable_private_segment 0
		.amdhsa_system_sgpr_workgroup_id_x 1
		.amdhsa_system_sgpr_workgroup_id_y 1
		.amdhsa_system_sgpr_workgroup_id_z 1
		.amdhsa_system_sgpr_workgroup_info 0
		.amdhsa_system_vgpr_workitem_id 0
		.amdhsa_next_free_vgpr 12
		.amdhsa_next_free_sgpr 21
		.amdhsa_named_barrier_count 0
		.amdhsa_reserve_vcc 1
		.amdhsa_float_round_mode_32 0
		.amdhsa_float_round_mode_16_64 0
		.amdhsa_float_denorm_mode_32 3
		.amdhsa_float_denorm_mode_16_64 3
		.amdhsa_fp16_overflow 0
		.amdhsa_memory_ordered 1
		.amdhsa_forward_progress 1
		.amdhsa_inst_pref_size 9
		.amdhsa_round_robin_scheduling 0
		.amdhsa_exception_fp_ieee_invalid_op 0
		.amdhsa_exception_fp_denorm_src 0
		.amdhsa_exception_fp_ieee_div_zero 0
		.amdhsa_exception_fp_ieee_overflow 0
		.amdhsa_exception_fp_ieee_underflow 0
		.amdhsa_exception_fp_ieee_inexact 0
		.amdhsa_exception_int_div_zero 0
	.end_amdhsa_kernel
	.section	.text._ZL33flash_attn_stream_k_fixup_uniformILi128ELi16ELi4EEvPfPK15HIP_vector_typeIfLj2EEiiiiiiS1_IjLj3EES5_S5_,"axG",@progbits,_ZL33flash_attn_stream_k_fixup_uniformILi128ELi16ELi4EEvPfPK15HIP_vector_typeIfLj2EEiiiiiiS1_IjLj3EES5_S5_,comdat
.Lfunc_end19:
	.size	_ZL33flash_attn_stream_k_fixup_uniformILi128ELi16ELi4EEvPfPK15HIP_vector_typeIfLj2EEiiiiiiS1_IjLj3EES5_S5_, .Lfunc_end19-_ZL33flash_attn_stream_k_fixup_uniformILi128ELi16ELi4EEvPfPK15HIP_vector_typeIfLj2EEiiiiiiS1_IjLj3EES5_S5_
                                        ; -- End function
	.set _ZL33flash_attn_stream_k_fixup_uniformILi128ELi16ELi4EEvPfPK15HIP_vector_typeIfLj2EEiiiiiiS1_IjLj3EES5_S5_.num_vgpr, 12
	.set _ZL33flash_attn_stream_k_fixup_uniformILi128ELi16ELi4EEvPfPK15HIP_vector_typeIfLj2EEiiiiiiS1_IjLj3EES5_S5_.num_agpr, 0
	.set _ZL33flash_attn_stream_k_fixup_uniformILi128ELi16ELi4EEvPfPK15HIP_vector_typeIfLj2EEiiiiiiS1_IjLj3EES5_S5_.numbered_sgpr, 21
	.set _ZL33flash_attn_stream_k_fixup_uniformILi128ELi16ELi4EEvPfPK15HIP_vector_typeIfLj2EEiiiiiiS1_IjLj3EES5_S5_.num_named_barrier, 0
	.set _ZL33flash_attn_stream_k_fixup_uniformILi128ELi16ELi4EEvPfPK15HIP_vector_typeIfLj2EEiiiiiiS1_IjLj3EES5_S5_.private_seg_size, 0
	.set _ZL33flash_attn_stream_k_fixup_uniformILi128ELi16ELi4EEvPfPK15HIP_vector_typeIfLj2EEiiiiiiS1_IjLj3EES5_S5_.uses_vcc, 1
	.set _ZL33flash_attn_stream_k_fixup_uniformILi128ELi16ELi4EEvPfPK15HIP_vector_typeIfLj2EEiiiiiiS1_IjLj3EES5_S5_.uses_flat_scratch, 0
	.set _ZL33flash_attn_stream_k_fixup_uniformILi128ELi16ELi4EEvPfPK15HIP_vector_typeIfLj2EEiiiiiiS1_IjLj3EES5_S5_.has_dyn_sized_stack, 0
	.set _ZL33flash_attn_stream_k_fixup_uniformILi128ELi16ELi4EEvPfPK15HIP_vector_typeIfLj2EEiiiiiiS1_IjLj3EES5_S5_.has_recursion, 0
	.set _ZL33flash_attn_stream_k_fixup_uniformILi128ELi16ELi4EEvPfPK15HIP_vector_typeIfLj2EEiiiiiiS1_IjLj3EES5_S5_.has_indirect_call, 0
	.section	.AMDGPU.csdata,"",@progbits
; Kernel info:
; codeLenInByte = 1092
; TotalNumSgprs: 23
; NumVgprs: 12
; ScratchSize: 0
; MemoryBound: 0
; FloatMode: 240
; IeeeMode: 1
; LDSByteSize: 0 bytes/workgroup (compile time only)
; SGPRBlocks: 0
; VGPRBlocks: 0
; NumSGPRsForWavesPerEU: 23
; NumVGPRsForWavesPerEU: 12
; NamedBarCnt: 0
; Occupancy: 16
; WaveLimiterHint : 0
; COMPUTE_PGM_RSRC2:SCRATCH_EN: 0
; COMPUTE_PGM_RSRC2:USER_SGPR: 2
; COMPUTE_PGM_RSRC2:TRAP_HANDLER: 0
; COMPUTE_PGM_RSRC2:TGID_X_EN: 1
; COMPUTE_PGM_RSRC2:TGID_Y_EN: 1
; COMPUTE_PGM_RSRC2:TGID_Z_EN: 1
; COMPUTE_PGM_RSRC2:TIDIG_COMP_CNT: 0
	.section	.text._ZL33flash_attn_stream_k_fixup_generalILi128ELi16ELi4EEvPfPK15HIP_vector_typeIfLj2EEiiiiS1_IjLj3EES5_S5_S5_,"axG",@progbits,_ZL33flash_attn_stream_k_fixup_generalILi128ELi16ELi4EEvPfPK15HIP_vector_typeIfLj2EEiiiiS1_IjLj3EES5_S5_S5_,comdat
	.globl	_ZL33flash_attn_stream_k_fixup_generalILi128ELi16ELi4EEvPfPK15HIP_vector_typeIfLj2EEiiiiS1_IjLj3EES5_S5_S5_ ; -- Begin function _ZL33flash_attn_stream_k_fixup_generalILi128ELi16ELi4EEvPfPK15HIP_vector_typeIfLj2EEiiiiS1_IjLj3EES5_S5_S5_
	.p2align	8
	.type	_ZL33flash_attn_stream_k_fixup_generalILi128ELi16ELi4EEvPfPK15HIP_vector_typeIfLj2EEiiiiS1_IjLj3EES5_S5_S5_,@function
_ZL33flash_attn_stream_k_fixup_generalILi128ELi16ELi4EEvPfPK15HIP_vector_typeIfLj2EEiiiiS1_IjLj3EES5_S5_S5_: ; @_ZL33flash_attn_stream_k_fixup_generalILi128ELi16ELi4EEvPfPK15HIP_vector_typeIfLj2EEiiiiS1_IjLj3EES5_S5_S5_
; %bb.0:
	s_clause 0x1
	s_load_b128 s[4:7], s[0:1], 0x10
	s_load_b32 s16, s[0:1], 0x50
	s_bfe_u32 s2, ttmp6, 0x4000c
	s_and_b32 s3, ttmp6, 15
	s_add_co_i32 s2, s2, 1
	s_getreg_b32 s15, hwreg(HW_REG_IB_STS2, 6, 4)
	s_mul_i32 s2, ttmp9, s2
	s_mov_b32 s17, 0
	s_add_co_i32 s3, s3, s2
	s_cmp_eq_u32 s15, 0
	s_cselect_b32 s2, ttmp9, s3
	s_delay_alu instid0(SALU_CYCLE_1) | instskip(SKIP_3) | instid1(SALU_CYCLE_1)
	s_ashr_i32 s3, s2, 31
	s_wait_kmcnt 0x0
	s_ashr_i32 s19, s7, 31
	s_mov_b32 s18, s7
	s_mul_u64 s[8:9], s[18:19], s[2:3]
	s_delay_alu instid0(SALU_CYCLE_1) | instskip(NEXT) | instid1(SALU_CYCLE_1)
	s_and_b64 s[10:11], s[8:9], 0xffffffff00000000
	s_cmp_lg_u64 s[10:11], 0
	s_cbranch_scc0 .LBB20_21
; %bb.1:
	s_add_nc_u64 s[10:11], s[16:17], 0
	s_mov_b32 s23, s17
	s_xor_b64 s[10:11], s[10:11], 0
	s_mov_b32 s27, s17
	s_cvt_f32_u32 s3, s10
	s_cvt_f32_u32 s7, s11
	s_sub_nc_u64 s[20:21], 0, s[10:11]
	s_delay_alu instid0(SALU_CYCLE_2) | instskip(NEXT) | instid1(SALU_CYCLE_3)
	s_fmamk_f32 s3, s7, 0x4f800000, s3
	v_s_rcp_f32 s3, s3
	s_delay_alu instid0(TRANS32_DEP_1) | instskip(NEXT) | instid1(SALU_CYCLE_3)
	s_mul_f32 s3, s3, 0x5f7ffffc
	s_mul_f32 s7, s3, 0x2f800000
	s_delay_alu instid0(SALU_CYCLE_3) | instskip(NEXT) | instid1(SALU_CYCLE_3)
	s_trunc_f32 s7, s7
	s_fmamk_f32 s3, s7, 0xcf800000, s3
	s_cvt_u32_f32 s13, s7
	s_delay_alu instid0(SALU_CYCLE_2) | instskip(NEXT) | instid1(SALU_CYCLE_3)
	s_cvt_u32_f32 s12, s3
	s_mul_u64 s[24:25], s[20:21], s[12:13]
	s_delay_alu instid0(SALU_CYCLE_1)
	s_mul_hi_u32 s29, s12, s25
	s_mul_i32 s28, s12, s25
	s_mul_hi_u32 s22, s12, s24
	s_mul_i32 s7, s13, s24
	s_add_nc_u64 s[22:23], s[22:23], s[28:29]
	s_mul_hi_u32 s3, s13, s24
	s_mul_hi_u32 s14, s13, s25
	s_add_co_u32 s7, s22, s7
	s_add_co_ci_u32 s26, s23, s3
	s_mul_i32 s24, s13, s25
	s_add_co_ci_u32 s25, s14, 0
	s_delay_alu instid0(SALU_CYCLE_1) | instskip(SKIP_3) | instid1(SALU_CYCLE_1)
	s_add_nc_u64 s[22:23], s[26:27], s[24:25]
	s_mov_b32 s25, s17
	s_add_co_u32 s12, s12, s22
	s_cselect_b32 s3, -1, 0
	s_cmp_lg_u32 s3, 0
	s_add_co_ci_u32 s13, s13, s23
	s_mov_b32 s23, s17
	s_mul_u64 s[20:21], s[20:21], s[12:13]
	s_delay_alu instid0(SALU_CYCLE_1)
	s_mul_hi_u32 s27, s12, s21
	s_mul_i32 s26, s12, s21
	s_mul_hi_u32 s22, s12, s20
	s_mul_i32 s7, s13, s20
	s_add_nc_u64 s[22:23], s[22:23], s[26:27]
	s_mul_hi_u32 s3, s13, s20
	s_mul_hi_u32 s14, s13, s21
	s_add_co_u32 s7, s22, s7
	s_add_co_ci_u32 s24, s23, s3
	s_mul_i32 s20, s13, s21
	s_add_co_ci_u32 s21, s14, 0
	s_mov_b32 s23, s17
	s_add_nc_u64 s[20:21], s[24:25], s[20:21]
	s_delay_alu instid0(SALU_CYCLE_1) | instskip(SKIP_1) | instid1(SALU_CYCLE_1)
	s_add_co_u32 s3, s12, s20
	s_cselect_b32 s7, -1, 0
	s_cmp_lg_u32 s7, 0
	s_add_co_ci_u32 s7, s13, s21
	s_ashr_i32 s12, s9, 31
	s_delay_alu instid0(SALU_CYCLE_1) | instskip(NEXT) | instid1(SALU_CYCLE_1)
	s_mov_b32 s13, s12
	s_add_nc_u64 s[20:21], s[8:9], s[12:13]
	s_delay_alu instid0(SALU_CYCLE_1) | instskip(NEXT) | instid1(SALU_CYCLE_1)
	s_xor_b64 s[20:21], s[20:21], s[12:13]
	s_mul_hi_u32 s27, s20, s7
	s_mul_i32 s26, s20, s7
	s_mul_hi_u32 s22, s20, s3
	s_mul_hi_u32 s14, s21, s3
	s_mul_i32 s3, s21, s3
	s_add_nc_u64 s[22:23], s[22:23], s[26:27]
	s_mul_hi_u32 s9, s21, s7
	s_add_co_u32 s3, s22, s3
	s_add_co_ci_u32 s24, s23, s14
	s_mul_i32 s26, s21, s7
	s_add_co_ci_u32 s27, s9, 0
	s_delay_alu instid0(SALU_CYCLE_1) | instskip(NEXT) | instid1(SALU_CYCLE_1)
	s_add_nc_u64 s[22:23], s[24:25], s[26:27]
	s_and_b64 s[24:25], s[22:23], 0xffffffff00000000
	s_delay_alu instid0(SALU_CYCLE_1) | instskip(NEXT) | instid1(SALU_CYCLE_1)
	s_or_b32 s24, s24, s22
	s_mul_u64 s[22:23], s[10:11], s[24:25]
	s_add_nc_u64 s[26:27], s[24:25], 1
	s_sub_co_u32 s3, s20, s22
	s_cselect_b32 s7, -1, 0
	s_sub_co_i32 s9, s21, s23
	s_cmp_lg_u32 s7, 0
	s_add_nc_u64 s[28:29], s[24:25], 2
	s_sub_co_ci_u32 s9, s9, s11
	s_sub_co_u32 s14, s3, s10
	s_cselect_b32 s20, -1, 0
	s_delay_alu instid0(SALU_CYCLE_1) | instskip(SKIP_1) | instid1(SALU_CYCLE_1)
	s_cmp_lg_u32 s20, 0
	s_sub_co_ci_u32 s9, s9, 0
	s_cmp_ge_u32 s9, s11
	s_cselect_b32 s20, -1, 0
	s_cmp_ge_u32 s14, s10
	s_cselect_b32 s14, -1, 0
	s_cmp_eq_u32 s9, s11
	s_cselect_b32 s9, s14, s20
	s_delay_alu instid0(SALU_CYCLE_1) | instskip(SKIP_4) | instid1(SALU_CYCLE_1)
	s_cmp_lg_u32 s9, 0
	s_cselect_b32 s9, s28, s26
	s_cselect_b32 s14, s29, s27
	s_cmp_lg_u32 s7, 0
	s_sub_co_ci_u32 s7, s21, s23
	s_cmp_ge_u32 s7, s11
	s_cselect_b32 s20, -1, 0
	s_cmp_ge_u32 s3, s10
	s_cselect_b32 s3, -1, 0
	s_cmp_eq_u32 s7, s11
	s_cselect_b32 s3, s3, s20
	s_delay_alu instid0(SALU_CYCLE_1) | instskip(SKIP_4) | instid1(SALU_CYCLE_1)
	s_cmp_lg_u32 s3, 0
	s_mov_b32 s3, s17
	s_cselect_b32 s11, s14, s25
	s_cselect_b32 s10, s9, s24
	s_xor_b64 s[12:13], s[12:13], 0
	s_xor_b64 s[10:11], s[10:11], s[12:13]
	s_delay_alu instid0(SALU_CYCLE_1)
	s_sub_nc_u64 s[20:21], s[10:11], s[12:13]
	s_and_not1_b32 vcc_lo, exec_lo, s3
	s_cbranch_vccnz .LBB20_3
.LBB20_2:
	v_cvt_f32_u32_e32 v1, s16
	s_sub_co_i32 s7, 0, s16
	s_mov_b32 s21, 0
	s_delay_alu instid0(VALU_DEP_1) | instskip(SKIP_1) | instid1(TRANS32_DEP_1)
	v_rcp_iflag_f32_e32 v1, v1
	v_nop
	v_mul_f32_e32 v1, 0x4f7ffffe, v1
	s_delay_alu instid0(VALU_DEP_1) | instskip(NEXT) | instid1(VALU_DEP_1)
	v_cvt_u32_f32_e32 v1, v1
	v_readfirstlane_b32 s3, v1
	s_mul_i32 s7, s7, s3
	s_delay_alu instid0(SALU_CYCLE_1) | instskip(NEXT) | instid1(SALU_CYCLE_1)
	s_mul_hi_u32 s7, s3, s7
	s_add_co_i32 s3, s3, s7
	s_delay_alu instid0(SALU_CYCLE_1) | instskip(NEXT) | instid1(SALU_CYCLE_1)
	s_mul_hi_u32 s3, s8, s3
	s_mul_i32 s7, s3, s16
	s_delay_alu instid0(SALU_CYCLE_1)
	s_sub_co_i32 s7, s8, s7
	s_add_co_i32 s8, s3, 1
	s_sub_co_i32 s9, s7, s16
	s_cmp_ge_u32 s7, s16
	s_cselect_b32 s3, s8, s3
	s_cselect_b32 s7, s9, s7
	s_add_co_i32 s8, s3, 1
	s_cmp_ge_u32 s7, s16
	s_cselect_b32 s20, s8, s3
.LBB20_3:
	s_add_co_i32 s8, s2, 1
	s_delay_alu instid0(SALU_CYCLE_1) | instskip(NEXT) | instid1(SALU_CYCLE_1)
	s_ashr_i32 s9, s8, 31
	s_mul_u64 s[8:9], s[18:19], s[8:9]
	s_delay_alu instid0(SALU_CYCLE_1) | instskip(NEXT) | instid1(SALU_CYCLE_1)
	s_and_b64 s[10:11], s[8:9], 0xffffffff00000000
	s_cmp_lg_u64 s[10:11], 0
	s_cbranch_scc0 .LBB20_22
; %bb.4:
	s_add_nc_u64 s[10:11], s[16:17], 0
	s_delay_alu instid0(SALU_CYCLE_1) | instskip(SKIP_4) | instid1(SALU_CYCLE_2)
	s_xor_b64 s[12:13], s[10:11], 0
	s_mov_b32 s11, 0
	s_cvt_f32_u32 s3, s12
	s_cvt_f32_u32 s7, s13
	s_sub_nc_u64 s[24:25], 0, s[12:13]
	s_fmamk_f32 s3, s7, 0x4f800000, s3
	s_delay_alu instid0(SALU_CYCLE_3) | instskip(NEXT) | instid1(TRANS32_DEP_1)
	v_s_rcp_f32 s3, s3
	s_mul_f32 s3, s3, 0x5f7ffffc
	s_delay_alu instid0(SALU_CYCLE_3) | instskip(NEXT) | instid1(SALU_CYCLE_3)
	s_mul_f32 s7, s3, 0x2f800000
	s_trunc_f32 s7, s7
	s_delay_alu instid0(SALU_CYCLE_3) | instskip(SKIP_1) | instid1(SALU_CYCLE_2)
	s_fmamk_f32 s3, s7, 0xcf800000, s3
	s_cvt_u32_f32 s23, s7
	s_cvt_u32_f32 s22, s3
	s_delay_alu instid0(SALU_CYCLE_3) | instskip(NEXT) | instid1(SALU_CYCLE_1)
	s_mul_u64 s[26:27], s[24:25], s[22:23]
	s_mul_hi_u32 s29, s22, s27
	s_mul_i32 s28, s22, s27
	s_mul_hi_u32 s10, s22, s26
	s_mul_i32 s7, s23, s26
	s_add_nc_u64 s[28:29], s[10:11], s[28:29]
	s_mul_hi_u32 s3, s23, s26
	s_mul_hi_u32 s14, s23, s27
	s_add_co_u32 s7, s28, s7
	s_add_co_ci_u32 s10, s29, s3
	s_mul_i32 s26, s23, s27
	s_add_co_ci_u32 s27, s14, 0
	s_delay_alu instid0(SALU_CYCLE_1) | instskip(NEXT) | instid1(SALU_CYCLE_1)
	s_add_nc_u64 s[26:27], s[10:11], s[26:27]
	s_add_co_u32 s22, s22, s26
	s_cselect_b32 s3, -1, 0
	s_delay_alu instid0(SALU_CYCLE_1) | instskip(SKIP_1) | instid1(SALU_CYCLE_1)
	s_cmp_lg_u32 s3, 0
	s_add_co_ci_u32 s23, s23, s27
	s_mul_u64 s[24:25], s[24:25], s[22:23]
	s_delay_alu instid0(SALU_CYCLE_1)
	s_mul_hi_u32 s27, s22, s25
	s_mul_i32 s26, s22, s25
	s_mul_hi_u32 s10, s22, s24
	s_mul_i32 s7, s23, s24
	s_add_nc_u64 s[26:27], s[10:11], s[26:27]
	s_mul_hi_u32 s3, s23, s24
	s_mul_hi_u32 s14, s23, s25
	s_add_co_u32 s7, s26, s7
	s_add_co_ci_u32 s10, s27, s3
	s_mul_i32 s24, s23, s25
	s_add_co_ci_u32 s25, s14, 0
	s_delay_alu instid0(SALU_CYCLE_1) | instskip(NEXT) | instid1(SALU_CYCLE_1)
	s_add_nc_u64 s[24:25], s[10:11], s[24:25]
	s_add_co_u32 s3, s22, s24
	s_cselect_b32 s7, -1, 0
	s_delay_alu instid0(SALU_CYCLE_1) | instskip(SKIP_2) | instid1(SALU_CYCLE_1)
	s_cmp_lg_u32 s7, 0
	s_add_co_ci_u32 s7, s23, s25
	s_ashr_i32 s22, s9, 31
	s_mov_b32 s23, s22
	s_delay_alu instid0(SALU_CYCLE_1) | instskip(NEXT) | instid1(SALU_CYCLE_1)
	s_add_nc_u64 s[24:25], s[8:9], s[22:23]
	s_xor_b64 s[24:25], s[24:25], s[22:23]
	s_delay_alu instid0(SALU_CYCLE_1)
	s_mul_hi_u32 s27, s24, s7
	s_mul_i32 s26, s24, s7
	s_mul_hi_u32 s10, s24, s3
	s_mul_hi_u32 s14, s25, s3
	s_mul_i32 s3, s25, s3
	s_add_nc_u64 s[26:27], s[10:11], s[26:27]
	s_mul_hi_u32 s9, s25, s7
	s_add_co_u32 s3, s26, s3
	s_add_co_ci_u32 s10, s27, s14
	s_mul_i32 s28, s25, s7
	s_add_co_ci_u32 s29, s9, 0
	s_delay_alu instid0(SALU_CYCLE_1) | instskip(NEXT) | instid1(SALU_CYCLE_1)
	s_add_nc_u64 s[26:27], s[10:11], s[28:29]
	s_and_b64 s[28:29], s[26:27], 0xffffffff00000000
	s_delay_alu instid0(SALU_CYCLE_1) | instskip(NEXT) | instid1(SALU_CYCLE_1)
	s_or_b32 s28, s28, s26
	s_mul_u64 s[26:27], s[12:13], s[28:29]
	s_add_nc_u64 s[30:31], s[28:29], 1
	s_sub_co_u32 s3, s24, s26
	s_cselect_b32 s7, -1, 0
	s_sub_co_i32 s9, s25, s27
	s_cmp_lg_u32 s7, 0
	s_add_nc_u64 s[34:35], s[28:29], 2
	s_sub_co_ci_u32 s9, s9, s13
	s_sub_co_u32 s10, s3, s12
	s_cselect_b32 s14, -1, 0
	s_delay_alu instid0(SALU_CYCLE_1) | instskip(SKIP_1) | instid1(SALU_CYCLE_1)
	s_cmp_lg_u32 s14, 0
	s_sub_co_ci_u32 s9, s9, 0
	s_cmp_ge_u32 s9, s13
	s_cselect_b32 s14, -1, 0
	s_cmp_ge_u32 s10, s12
	s_cselect_b32 s10, -1, 0
	s_cmp_eq_u32 s9, s13
	s_cselect_b32 s9, s10, s14
	s_delay_alu instid0(SALU_CYCLE_1) | instskip(SKIP_4) | instid1(SALU_CYCLE_1)
	s_cmp_lg_u32 s9, 0
	s_cselect_b32 s9, s34, s30
	s_cselect_b32 s10, s35, s31
	s_cmp_lg_u32 s7, 0
	s_sub_co_ci_u32 s7, s25, s27
	s_cmp_ge_u32 s7, s13
	s_cselect_b32 s14, -1, 0
	s_cmp_ge_u32 s3, s12
	s_cselect_b32 s3, -1, 0
	s_cmp_eq_u32 s7, s13
	s_cselect_b32 s3, s3, s14
	s_delay_alu instid0(SALU_CYCLE_1) | instskip(SKIP_3) | instid1(SALU_CYCLE_1)
	s_cmp_lg_u32 s3, 0
	s_cselect_b32 s13, s10, s29
	s_cselect_b32 s12, s9, s28
	s_xor_b64 s[22:23], s[22:23], 0
	s_xor_b64 s[12:13], s[12:13], s[22:23]
	s_delay_alu instid0(SALU_CYCLE_1)
	s_sub_nc_u64 s[24:25], s[12:13], s[22:23]
	s_load_b96 s[12:14], s[0:1], 0x44
	s_cbranch_execnz .LBB20_6
.LBB20_5:
	v_cvt_f32_u32_e32 v1, s16
	s_sub_co_i32 s7, 0, s16
	s_delay_alu instid0(VALU_DEP_1) | instskip(SKIP_1) | instid1(TRANS32_DEP_1)
	v_rcp_iflag_f32_e32 v1, v1
	v_nop
	v_mul_f32_e32 v1, 0x4f7ffffe, v1
	s_delay_alu instid0(VALU_DEP_1) | instskip(NEXT) | instid1(VALU_DEP_1)
	v_cvt_u32_f32_e32 v1, v1
	v_readfirstlane_b32 s3, v1
	s_mul_i32 s7, s7, s3
	s_delay_alu instid0(SALU_CYCLE_1) | instskip(NEXT) | instid1(SALU_CYCLE_1)
	s_mul_hi_u32 s7, s3, s7
	s_add_co_i32 s3, s3, s7
	s_delay_alu instid0(SALU_CYCLE_1) | instskip(NEXT) | instid1(SALU_CYCLE_1)
	s_mul_hi_u32 s3, s8, s3
	s_mul_i32 s7, s3, s16
	s_delay_alu instid0(SALU_CYCLE_1)
	s_sub_co_i32 s7, s8, s7
	s_add_co_i32 s8, s3, 1
	s_sub_co_i32 s9, s7, s16
	s_cmp_ge_u32 s7, s16
	s_cselect_b32 s3, s8, s3
	s_cselect_b32 s7, s9, s7
	s_add_co_i32 s8, s3, 1
	s_cmp_ge_u32 s7, s16
	s_cselect_b32 s24, s8, s3
.LBB20_6:
	s_delay_alu instid0(SALU_CYCLE_1)
	s_cmp_eq_u32 s20, s24
	s_mov_b64 s[8:9], 0xffffffff
	s_cselect_b32 s3, -1, 0
	s_and_b64 s[8:9], s[20:21], s[8:9]
	s_mov_b32 s23, 0
	s_wait_kmcnt 0x0
	s_mov_b32 s22, s12
	s_mov_b32 s25, s23
	s_mul_u64 s[10:11], s[8:9], s[22:23]
	s_delay_alu instid0(SALU_CYCLE_1) | instskip(SKIP_2) | instid1(SALU_CYCLE_1)
	s_add_co_i32 s7, s11, s20
	s_mul_u64 s[10:11], s[24:25], s[22:23]
	s_lshr_b32 s12, s7, s13
	s_mul_i32 s7, s12, s14
	s_delay_alu instid0(SALU_CYCLE_1) | instskip(SKIP_2) | instid1(SALU_CYCLE_1)
	s_cmp_eq_u32 s7, s20
	s_cselect_b32 s7, -1, 0
	s_add_co_i32 s10, s11, s24
	s_lshr_b32 s10, s10, s13
	s_delay_alu instid0(SALU_CYCLE_1)
	s_cmp_eq_u32 s12, s10
	s_mul_i32 s10, s10, s14
	s_cselect_b32 s11, -1, 0
	s_cmp_lg_u32 s10, s24
	s_cselect_b32 s10, -1, 0
	s_or_b32 s3, s3, s7
	s_and_b32 s10, s11, s10
	s_delay_alu instid0(SALU_CYCLE_1) | instskip(NEXT) | instid1(SALU_CYCLE_1)
	s_or_b32 s3, s3, s10
	s_and_b32 vcc_lo, exec_lo, s3
	s_cbranch_vccnz .LBB20_24
; %bb.7:
	s_load_b256 s[24:31], s[0:1], 0x20
	s_bfe_u32 s7, ttmp6, 0x40014
	s_bfe_u32 s33, ttmp6, 0x40010
	s_lshr_b32 s3, ttmp7, 16
	s_add_co_i32 s7, s7, 1
	s_and_b32 s21, ttmp7, 0xffff
	s_add_co_i32 s33, s33, 1
	s_bfe_u32 s10, ttmp6, 0x40008
	s_mul_i32 s7, s3, s7
	s_bfe_u32 s34, ttmp6, 0x40004
	s_mul_i32 s33, s21, s33
	s_mov_b32 s11, s23
	s_add_co_i32 s35, s10, s7
	s_add_co_i32 s34, s34, s33
	s_cmp_eq_u32 s15, 0
	s_cselect_b32 s7, s21, s34
	s_cselect_b32 s3, s3, s35
	s_wait_kmcnt 0x0
	s_mov_b32 s10, s24
	s_delay_alu instid0(SALU_CYCLE_1) | instskip(NEXT) | instid1(SALU_CYCLE_1)
	s_mul_u64 s[8:9], s[8:9], s[10:11]
	s_add_co_i32 s8, s9, s20
	s_load_b32 s9, s[0:1], 0x40
	s_lshr_b32 s8, s8, s25
	s_delay_alu instid0(SALU_CYCLE_1) | instskip(NEXT) | instid1(SALU_CYCLE_1)
	s_mul_i32 s10, s8, s26
	s_sub_co_i32 s10, s20, s10
	s_delay_alu instid0(SALU_CYCLE_1) | instskip(NEXT) | instid1(SALU_CYCLE_1)
	s_mul_hi_u32 s11, s10, s27
	s_add_co_i32 s11, s10, s11
	s_delay_alu instid0(SALU_CYCLE_1) | instskip(NEXT) | instid1(SALU_CYCLE_1)
	s_lshr_b32 s15, s11, s28
	s_mul_i32 s11, s15, s29
	s_delay_alu instid0(SALU_CYCLE_1) | instskip(NEXT) | instid1(SALU_CYCLE_1)
	s_sub_co_i32 s10, s10, s11
	s_mul_hi_u32 s11, s10, s30
	s_delay_alu instid0(SALU_CYCLE_1) | instskip(NEXT) | instid1(SALU_CYCLE_1)
	s_add_co_i32 s11, s10, s11
	s_lshr_b32 s26, s11, s31
	s_mov_b32 s11, s23
	s_wait_kmcnt 0x0
	s_mul_i32 s9, s26, s9
	s_delay_alu instid0(SALU_CYCLE_1) | instskip(NEXT) | instid1(SALU_CYCLE_1)
	s_sub_co_i32 s10, s10, s9
	s_mul_u64 s[24:25], s[10:11], s[22:23]
	s_lshl_b32 s24, s26, 2
	s_add_co_i32 s9, s10, s25
	s_delay_alu instid0(SALU_CYCLE_1) | instskip(NEXT) | instid1(SALU_CYCLE_1)
	s_lshr_b32 s21, s9, s13
	s_lshl_b32 s9, s21, 4
	s_delay_alu instid0(SALU_CYCLE_1) | instskip(NEXT) | instid1(SALU_CYCLE_1)
	s_add_co_i32 s9, s9, s7
	s_cmp_lt_i32 s9, s4
	s_cselect_b32 s9, -1, 0
	s_add_co_i32 s10, s24, s3
	s_delay_alu instid0(SALU_CYCLE_1) | instskip(SKIP_1) | instid1(SALU_CYCLE_1)
	s_cmp_lt_i32 s10, s6
	s_cselect_b32 s10, -1, 0
	s_and_b32 s9, s9, s10
	s_delay_alu instid0(SALU_CYCLE_1)
	s_and_not1_b32 vcc_lo, exec_lo, s9
	s_cbranch_vccnz .LBB20_24
; %bb.8:
	s_mul_i32 s4, s8, s4
	s_load_b128 s[8:11], s[0:1], 0x0
	s_wait_xcnt 0x0
	s_add_co_i32 s0, s4, s7
	s_mul_i32 s15, s15, s6
	s_mul_i32 s0, s0, s5
	;; [unrolled: 1-line block ×3, first 2 shown]
	s_add_co_i32 s0, s0, s3
	s_lshl_b32 s1, s1, 11
	s_add_co_i32 s0, s0, s15
	s_lshl_b32 s15, s7, 2
	s_add_co_i32 s0, s0, s24
	s_add_co_i32 s15, s15, s3
	s_lshl_b32 s0, s0, 7
	v_lshl_or_b32 v6, s15, 7, v0
	s_add_co_i32 s1, s1, s0
	v_cvt_f32_u32_e32 v4, s16
	v_or_b32_e32 v2, s1, v0
	s_add_nc_u64 s[0:1], s[16:17], 0
	s_lshl_b32 s24, s16, 8
	s_xor_b64 s[6:7], s[0:1], 0
	s_lshl_b32 s0, s2, 6
	s_cvt_f32_u32 s3, s6
	s_add_co_i32 s0, s15, s0
	s_cvt_f32_u32 s4, s7
	s_ashr_i32 s1, s0, 31
	v_rcp_iflag_f32_e32 v4, v4
	s_lshl_b64 s[0:1], s[0:1], 3
	s_fmamk_f32 s3, s4, 0x4f800000, s3
	s_wait_kmcnt 0x0
	s_add_nc_u64 s[0:1], s[10:11], s[0:1]
	s_mov_b32 s25, 0
	s_load_b64 s[28:29], s[0:1], 0x0
	v_s_rcp_f32 s3, s3
	s_wait_xcnt 0x0
	s_lshl_b64 s[0:1], s[24:25], 2
	s_add_co_i32 s36, s2, -1
	s_add_nc_u64 s[26:27], s[10:11], s[0:1]
	s_sub_nc_u64 s[34:35], 0, s[6:7]
	v_mul_f32_e32 v4, 0x4f7ffffe, v4
	s_delay_alu instid0(TRANS32_DEP_1) | instskip(NEXT) | instid1(VALU_DEP_1)
	s_mul_f32 s3, s3, 0x5f7ffffc
	v_cvt_u32_f32_e32 v7, v4
	s_delay_alu instid0(SALU_CYCLE_2) | instskip(NEXT) | instid1(SALU_CYCLE_3)
	s_mul_f32 s4, s3, 0x2f800000
	s_trunc_f32 s4, s4
	s_wait_kmcnt 0x0
	v_mov_b32_e32 v0, s29
	global_load_b32 v1, v2, s[8:9] scale_offset
	v_ashrrev_i32_e32 v3, 31, v2
	s_fmamk_f32 s0, s4, 0xcf800000, s3
	s_cvt_u32_f32 s31, s4
	s_wait_xcnt 0x0
	s_delay_alu instid0(VALU_DEP_1)
	v_lshl_add_u64 v[2:3], v[2:3], 2, s[8:9]
	s_cvt_u32_f32 s30, s0
	s_mov_b64 s[8:9], 0xffffffff
.LBB20_9:                               ; =>This Inner Loop Header: Depth=1
	s_ashr_i32 s37, s36, 31
                                        ; implicit-def: $sgpr40_sgpr41
	s_delay_alu instid0(SALU_CYCLE_1) | instskip(NEXT) | instid1(SALU_CYCLE_1)
	s_mul_u64 s[0:1], s[36:37], s[18:19]
	s_and_b64 s[2:3], s[0:1], 0xffffffff00000000
	s_delay_alu instid0(SALU_CYCLE_1)
	s_cmp_lg_u64 s[2:3], 0
	s_mov_b32 s2, -1
	s_cbranch_scc0 .LBB20_11
; %bb.10:                               ;   in Loop: Header=BB20_9 Depth=1
	s_mul_u64 s[2:3], s[34:35], s[30:31]
	s_delay_alu instid0(SALU_CYCLE_1)
	s_mul_hi_u32 s5, s30, s3
	s_mul_i32 s4, s30, s3
	s_mul_hi_u32 s24, s30, s2
	s_mul_hi_u32 s17, s31, s2
	s_add_nc_u64 s[4:5], s[24:25], s[4:5]
	s_mul_i32 s2, s31, s2
	s_mul_hi_u32 s21, s31, s3
	s_add_co_u32 s2, s4, s2
	s_add_co_ci_u32 s24, s5, s17
	s_add_co_ci_u32 s5, s21, 0
	s_mul_i32 s4, s31, s3
	s_delay_alu instid0(SALU_CYCLE_1) | instskip(NEXT) | instid1(SALU_CYCLE_1)
	s_add_nc_u64 s[2:3], s[24:25], s[4:5]
	s_add_co_u32 s2, s30, s2
	s_cselect_b32 s4, -1, 0
	s_delay_alu instid0(SALU_CYCLE_1) | instskip(SKIP_1) | instid1(SALU_CYCLE_1)
	s_cmp_lg_u32 s4, 0
	s_add_co_ci_u32 s3, s31, s3
	s_mul_u64 s[4:5], s[34:35], s[2:3]
	s_delay_alu instid0(SALU_CYCLE_1)
	s_mul_hi_u32 s39, s2, s5
	s_mul_i32 s38, s2, s5
	s_mul_hi_u32 s24, s2, s4
	s_mul_hi_u32 s17, s3, s4
	s_mul_i32 s4, s3, s4
	s_add_nc_u64 s[38:39], s[24:25], s[38:39]
	s_mul_hi_u32 s21, s3, s5
	s_add_co_u32 s4, s38, s4
	s_add_co_ci_u32 s24, s39, s17
	s_mul_i32 s4, s3, s5
	s_add_co_ci_u32 s5, s21, 0
	s_delay_alu instid0(SALU_CYCLE_1) | instskip(NEXT) | instid1(SALU_CYCLE_1)
	s_add_nc_u64 s[4:5], s[24:25], s[4:5]
	s_add_co_u32 s17, s2, s4
	s_cselect_b32 s2, -1, 0
	s_delay_alu instid0(SALU_CYCLE_1) | instskip(SKIP_2) | instid1(SALU_CYCLE_1)
	s_cmp_lg_u32 s2, 0
	s_add_co_ci_u32 s21, s3, s5
	s_ashr_i32 s2, s1, 31
	s_mov_b32 s3, s2
	s_delay_alu instid0(SALU_CYCLE_1) | instskip(NEXT) | instid1(SALU_CYCLE_1)
	s_add_nc_u64 s[4:5], s[0:1], s[2:3]
	s_xor_b64 s[4:5], s[4:5], s[2:3]
	s_delay_alu instid0(SALU_CYCLE_1)
	s_mul_hi_u32 s39, s4, s21
	s_mul_i32 s38, s4, s21
	s_mul_hi_u32 s24, s4, s17
	s_mul_hi_u32 s29, s5, s17
	s_mul_i32 s17, s5, s17
	s_add_nc_u64 s[38:39], s[24:25], s[38:39]
	s_mul_hi_u32 s1, s5, s21
	s_add_co_u32 s17, s38, s17
	s_add_co_ci_u32 s24, s39, s29
	s_mul_i32 s40, s5, s21
	s_add_co_ci_u32 s41, s1, 0
	s_delay_alu instid0(SALU_CYCLE_1) | instskip(NEXT) | instid1(SALU_CYCLE_1)
	s_add_nc_u64 s[38:39], s[24:25], s[40:41]
	s_and_b64 s[40:41], s[38:39], 0xffffffff00000000
	s_delay_alu instid0(SALU_CYCLE_1) | instskip(NEXT) | instid1(SALU_CYCLE_1)
	s_or_b32 s40, s40, s38
	s_mul_u64 s[38:39], s[6:7], s[40:41]
	s_add_nc_u64 s[42:43], s[40:41], 1
	s_sub_co_u32 s1, s4, s38
	s_cselect_b32 s4, -1, 0
	s_sub_co_i32 s17, s5, s39
	s_cmp_lg_u32 s4, 0
	s_add_nc_u64 s[44:45], s[40:41], 2
	s_sub_co_ci_u32 s17, s17, s7
	s_sub_co_u32 s21, s1, s6
	s_cselect_b32 s24, -1, 0
	s_delay_alu instid0(SALU_CYCLE_1) | instskip(SKIP_1) | instid1(SALU_CYCLE_1)
	s_cmp_lg_u32 s24, 0
	s_sub_co_ci_u32 s17, s17, 0
	s_cmp_ge_u32 s17, s7
	s_cselect_b32 s24, -1, 0
	s_cmp_ge_u32 s21, s6
	s_cselect_b32 s21, -1, 0
	s_cmp_eq_u32 s17, s7
	s_cselect_b32 s17, s21, s24
	s_delay_alu instid0(SALU_CYCLE_1) | instskip(SKIP_4) | instid1(SALU_CYCLE_1)
	s_cmp_lg_u32 s17, 0
	s_cselect_b32 s17, s44, s42
	s_cselect_b32 s21, s45, s43
	s_cmp_lg_u32 s4, 0
	s_sub_co_ci_u32 s4, s5, s39
	s_cmp_ge_u32 s4, s7
	s_cselect_b32 s5, -1, 0
	s_cmp_ge_u32 s1, s6
	s_cselect_b32 s1, -1, 0
	s_cmp_eq_u32 s4, s7
	s_cselect_b32 s1, s1, s5
	s_delay_alu instid0(SALU_CYCLE_1) | instskip(SKIP_3) | instid1(SALU_CYCLE_1)
	s_cmp_lg_u32 s1, 0
	s_cselect_b32 s5, s21, s41
	s_cselect_b32 s4, s17, s40
	s_xor_b64 s[2:3], s[2:3], 0
	s_xor_b64 s[4:5], s[4:5], s[2:3]
	s_delay_alu instid0(SALU_CYCLE_1)
	s_sub_nc_u64 s[40:41], s[4:5], s[2:3]
	s_mov_b32 s2, 0
.LBB20_11:                              ;   in Loop: Header=BB20_9 Depth=1
	s_delay_alu instid0(SALU_CYCLE_1)
	s_and_not1_b32 vcc_lo, exec_lo, s2
	s_cbranch_vccnz .LBB20_13
; %bb.12:                               ;   in Loop: Header=BB20_9 Depth=1
	v_readfirstlane_b32 s1, v7
	s_sub_co_i32 s2, 0, s16
	s_delay_alu instid0(SALU_CYCLE_1) | instskip(NEXT) | instid1(SALU_CYCLE_1)
	s_mul_i32 s2, s2, s1
	s_mul_hi_u32 s2, s1, s2
	s_delay_alu instid0(SALU_CYCLE_1) | instskip(NEXT) | instid1(SALU_CYCLE_1)
	s_add_co_i32 s1, s1, s2
	s_mul_hi_u32 s1, s0, s1
	s_delay_alu instid0(SALU_CYCLE_1) | instskip(NEXT) | instid1(SALU_CYCLE_1)
	s_mul_i32 s2, s1, s16
	s_sub_co_i32 s0, s0, s2
	s_add_co_i32 s2, s1, 1
	s_sub_co_i32 s3, s0, s16
	s_cmp_ge_u32 s0, s16
	s_cselect_b32 s1, s2, s1
	s_cselect_b32 s0, s3, s0
	s_add_co_i32 s2, s1, 1
	s_cmp_ge_u32 s0, s16
	s_cselect_b32 s24, s2, s1
	s_delay_alu instid0(SALU_CYCLE_1)
	s_mov_b64 s[40:41], s[24:25]
.LBB20_13:                              ;   in Loop: Header=BB20_9 Depth=1
	s_delay_alu instid0(SALU_CYCLE_1)
	s_cmp_lg_u32 s20, s40
	s_mov_b32 s0, -1
                                        ; implicit-def: $vgpr4_vgpr5
                                        ; implicit-def: $sgpr24
                                        ; implicit-def: $sgpr17
                                        ; implicit-def: $sgpr21
                                        ; implicit-def: $sgpr29
	s_cbranch_scc0 .LBB20_18
; %bb.14:                               ;   in Loop: Header=BB20_9 Depth=1
	s_add_co_i32 s0, s36, s16
	v_max_num_f32_e64 v4, s28, s28
	s_lshl_b32 s0, s0, 6
	s_mov_b32 s29, s20
	s_add_co_i32 s0, s0, s15
	s_load_b64 s[38:39], s[10:11], s0 offset:0x0 scale_offset
	s_wait_xcnt 0x0
	v_readfirstlane_b32 s0, v4
	s_wait_kmcnt 0x0
	v_max_num_f32_e64 v5, s38, s38
	s_delay_alu instid0(VALU_DEP_1) | instskip(SKIP_1) | instid1(SALU_CYCLE_3)
	v_readfirstlane_b32 s1, v5
	s_max_num_f32 s17, s0, s1
	s_sub_f32 s33, s28, s17
	s_sub_f32 s37, s38, s17
	s_delay_alu instid0(SALU_CYCLE_2)
	s_cmp_nlt_f32 s33, 0xc2ce8ed0
	s_cselect_b32 s1, -1, 0
	s_cmp_ngt_f32 s33, 0x42b17218
	s_cselect_b32 s2, -1, 0
	s_cmp_ge_f32 s33, 0xc1a00000
	s_cselect_b32 s0, -1, 0
	s_cmp_nlt_f32 s37, 0xc2ce8ed0
	s_cselect_b32 s3, -1, 0
	s_cmp_ngt_f32 s37, 0x42b17218
	s_cselect_b32 s4, -1, 0
	s_cmp_ge_f32 s37, 0xc1a00000
	s_cselect_b32 s5, -1, 0
	s_and_b64 s[42:43], s[40:41], s[8:9]
	s_delay_alu instid0(SALU_CYCLE_1) | instskip(NEXT) | instid1(SALU_CYCLE_1)
	s_mul_u64 s[42:43], s[42:43], s[22:23]
	s_add_co_i32 s21, s43, s40
	s_delay_alu instid0(SALU_CYCLE_1) | instskip(NEXT) | instid1(SALU_CYCLE_1)
	s_lshr_b32 s21, s21, s13
	s_mul_i32 s24, s21, s14
	s_delay_alu instid0(SALU_CYCLE_1) | instskip(SKIP_3) | instid1(SALU_CYCLE_1)
	s_cmp_eq_u32 s24, s40
	s_cselect_b32 s24, -1, 0
	s_cmp_lt_u32 s21, s12
	s_cselect_b32 s21, -1, 0
	s_or_b32 s21, s21, s24
	s_mov_b32 s24, -1
	s_and_b32 vcc_lo, exec_lo, s21
	s_mov_b32 s21, s36
	s_cbranch_vccnz .LBB20_16
; %bb.15:                               ;   in Loop: Header=BB20_9 Depth=1
	s_add_co_i32 s21, s36, -1
	s_mov_b32 s24, 0
	s_mov_b32 s29, s40
.LBB20_16:                              ;   in Loop: Header=BB20_9 Depth=1
	v_lshl_add_u32 v4, s36, 13, v6
	s_mul_f32 s40, s33, 0x3fb8aa3b
	s_mul_f32 s38, s37, 0x3fb8aa3b
	s_delay_alu instid0(SALU_CYCLE_2)
	s_xor_b32 s42, s40, 0x80000000
	global_load_b32 v5, v4, s[26:27] scale_offset
	s_fmamk_f32 s42, s33, 0x3fb8aa3b, s42
	s_rndne_f32 s44, s40
	s_xor_b32 s41, s38, 0x80000000
	s_rndne_f32 s43, s38
	s_fmamk_f32 s33, s33, 0x32a5705f, s42
	s_sub_f32 s40, s40, s44
	s_fmamk_f32 s41, s37, 0x3fb8aa3b, s41
	s_sub_f32 s38, s38, s43
	s_delay_alu instid0(SALU_CYCLE_1) | instskip(NEXT) | instid1(SALU_CYCLE_1)
	s_add_f32 s33, s40, s33
	s_fmamk_f32 s37, s37, 0x32a5705f, s41
	s_cvt_i32_f32 s40, s44
	s_delay_alu instid0(SALU_CYCLE_1) | instskip(NEXT) | instid1(SALU_CYCLE_1)
	v_s_exp_f32 s33, s33
	s_add_f32 s37, s38, s37
	s_cvt_i32_f32 s38, s43
	s_delay_alu instid0(SALU_CYCLE_2) | instskip(NEXT) | instid1(TRANS32_DEP_2)
	v_s_exp_f32 s37, s37
	v_ldexp_f32 v8, s33, s40
	s_wait_xcnt 0x0
	s_delay_alu instid0(TRANS32_DEP_1) | instskip(NEXT) | instid1(VALU_DEP_2)
	v_ldexp_f32 v4, s37, s38
	v_cndmask_b32_e64 v8, 0, v8, s1
	s_delay_alu instid0(VALU_DEP_1) | instskip(NEXT) | instid1(VALU_DEP_1)
	v_cndmask_b32_e64 v9, 0x7f800000, v8, s2
	v_dual_cndmask_b32 v4, 0, v4, s3 :: v_dual_cndmask_b32 v10, 0, v9, s0
	s_delay_alu instid0(VALU_DEP_1) | instskip(NEXT) | instid1(VALU_DEP_1)
	v_cndmask_b32_e64 v4, 0x7f800000, v4, s4
	v_dual_cndmask_b32 v8, 0, v4, s5 :: v_dual_mov_b32 v4, s39
	s_wait_loadcnt 0x0
	s_delay_alu instid0(VALU_DEP_1) | instskip(NEXT) | instid1(VALU_DEP_1)
	v_pk_mul_f32 v[4:5], v[4:5], v[8:9] op_sel_hi:[1,0]
	v_pk_fma_f32 v[4:5], v[0:1], v[10:11], v[4:5] op_sel_hi:[1,0,1]
	s_cbranch_execz .LBB20_19
.LBB20_17:                              ;   in Loop: Header=BB20_9 Depth=1
	s_and_not1_b32 vcc_lo, exec_lo, s24
	s_cbranch_vccnz .LBB20_20
	s_branch .LBB20_23
.LBB20_18:                              ;   in Loop: Header=BB20_9 Depth=1
	s_and_not1_b32 vcc_lo, exec_lo, s0
	s_cbranch_vccnz .LBB20_17
.LBB20_19:                              ;   in Loop: Header=BB20_9 Depth=1
	s_wait_loadcnt 0x0
	v_mov_b64_e32 v[4:5], v[0:1]
	s_add_co_i32 s21, s36, -1
	s_mov_b32 s29, s20
	s_mov_b32 s17, s28
	s_cbranch_execz .LBB20_23
.LBB20_20:                              ;   in Loop: Header=BB20_9 Depth=1
	s_wait_loadcnt 0x0
	s_delay_alu instid0(VALU_DEP_1)
	v_mov_b64_e32 v[0:1], v[4:5]
	s_mov_b32 s20, s29
	s_mov_b32 s36, s21
	;; [unrolled: 1-line block ×3, first 2 shown]
	s_branch .LBB20_9
.LBB20_21:
                                        ; implicit-def: $sgpr20_sgpr21
	s_branch .LBB20_2
.LBB20_22:
                                        ; implicit-def: $sgpr24_sgpr25
	s_load_b96 s[12:14], s[0:1], 0x44
	s_branch .LBB20_5
.LBB20_23:
	s_delay_alu instid0(VALU_DEP_1) | instskip(SKIP_1) | instid1(VALU_DEP_1)
	v_div_scale_f32 v0, null, v4, v4, v5
	s_wait_loadcnt 0x0
	v_rcp_f32_e32 v1, v0
	v_nop
	s_delay_alu instid0(TRANS32_DEP_1) | instskip(NEXT) | instid1(VALU_DEP_1)
	v_fma_f32 v6, -v0, v1, 1.0
	v_fmac_f32_e32 v1, v6, v1
	v_div_scale_f32 v6, vcc_lo, v5, v4, v5
	s_delay_alu instid0(VALU_DEP_1) | instskip(NEXT) | instid1(VALU_DEP_1)
	v_mul_f32_e32 v7, v6, v1
	v_fma_f32 v8, -v0, v7, v6
	s_delay_alu instid0(VALU_DEP_1) | instskip(NEXT) | instid1(VALU_DEP_1)
	v_fmac_f32_e32 v7, v8, v1
	v_fma_f32 v0, -v0, v7, v6
	s_delay_alu instid0(VALU_DEP_1) | instskip(NEXT) | instid1(VALU_DEP_1)
	v_div_fmas_f32 v0, v0, v1, v7
	v_div_fixup_f32 v0, v0, v4, v5
	global_store_b32 v[2:3], v0, off
.LBB20_24:
	s_endpgm
	.section	.rodata,"a",@progbits
	.p2align	6, 0x0
	.amdhsa_kernel _ZL33flash_attn_stream_k_fixup_generalILi128ELi16ELi4EEvPfPK15HIP_vector_typeIfLj2EEiiiiS1_IjLj3EES5_S5_S5_
		.amdhsa_group_segment_fixed_size 0
		.amdhsa_private_segment_fixed_size 0
		.amdhsa_kernarg_size 336
		.amdhsa_user_sgpr_count 2
		.amdhsa_user_sgpr_dispatch_ptr 0
		.amdhsa_user_sgpr_queue_ptr 0
		.amdhsa_user_sgpr_kernarg_segment_ptr 1
		.amdhsa_user_sgpr_dispatch_id 0
		.amdhsa_user_sgpr_kernarg_preload_length 0
		.amdhsa_user_sgpr_kernarg_preload_offset 0
		.amdhsa_user_sgpr_private_segment_size 0
		.amdhsa_wavefront_size32 1
		.amdhsa_uses_dynamic_stack 0
		.amdhsa_enable_private_segment 0
		.amdhsa_system_sgpr_workgroup_id_x 1
		.amdhsa_system_sgpr_workgroup_id_y 1
		.amdhsa_system_sgpr_workgroup_id_z 1
		.amdhsa_system_sgpr_workgroup_info 0
		.amdhsa_system_vgpr_workitem_id 0
		.amdhsa_next_free_vgpr 12
		.amdhsa_next_free_sgpr 46
		.amdhsa_named_barrier_count 0
		.amdhsa_reserve_vcc 1
		.amdhsa_float_round_mode_32 0
		.amdhsa_float_round_mode_16_64 0
		.amdhsa_float_denorm_mode_32 3
		.amdhsa_float_denorm_mode_16_64 3
		.amdhsa_fp16_overflow 0
		.amdhsa_memory_ordered 1
		.amdhsa_forward_progress 1
		.amdhsa_inst_pref_size 27
		.amdhsa_round_robin_scheduling 0
		.amdhsa_exception_fp_ieee_invalid_op 0
		.amdhsa_exception_fp_denorm_src 0
		.amdhsa_exception_fp_ieee_div_zero 0
		.amdhsa_exception_fp_ieee_overflow 0
		.amdhsa_exception_fp_ieee_underflow 0
		.amdhsa_exception_fp_ieee_inexact 0
		.amdhsa_exception_int_div_zero 0
	.end_amdhsa_kernel
	.section	.text._ZL33flash_attn_stream_k_fixup_generalILi128ELi16ELi4EEvPfPK15HIP_vector_typeIfLj2EEiiiiS1_IjLj3EES5_S5_S5_,"axG",@progbits,_ZL33flash_attn_stream_k_fixup_generalILi128ELi16ELi4EEvPfPK15HIP_vector_typeIfLj2EEiiiiS1_IjLj3EES5_S5_S5_,comdat
.Lfunc_end20:
	.size	_ZL33flash_attn_stream_k_fixup_generalILi128ELi16ELi4EEvPfPK15HIP_vector_typeIfLj2EEiiiiS1_IjLj3EES5_S5_S5_, .Lfunc_end20-_ZL33flash_attn_stream_k_fixup_generalILi128ELi16ELi4EEvPfPK15HIP_vector_typeIfLj2EEiiiiS1_IjLj3EES5_S5_S5_
                                        ; -- End function
	.set _ZL33flash_attn_stream_k_fixup_generalILi128ELi16ELi4EEvPfPK15HIP_vector_typeIfLj2EEiiiiS1_IjLj3EES5_S5_S5_.num_vgpr, 12
	.set _ZL33flash_attn_stream_k_fixup_generalILi128ELi16ELi4EEvPfPK15HIP_vector_typeIfLj2EEiiiiS1_IjLj3EES5_S5_S5_.num_agpr, 0
	.set _ZL33flash_attn_stream_k_fixup_generalILi128ELi16ELi4EEvPfPK15HIP_vector_typeIfLj2EEiiiiS1_IjLj3EES5_S5_S5_.numbered_sgpr, 46
	.set _ZL33flash_attn_stream_k_fixup_generalILi128ELi16ELi4EEvPfPK15HIP_vector_typeIfLj2EEiiiiS1_IjLj3EES5_S5_S5_.num_named_barrier, 0
	.set _ZL33flash_attn_stream_k_fixup_generalILi128ELi16ELi4EEvPfPK15HIP_vector_typeIfLj2EEiiiiS1_IjLj3EES5_S5_S5_.private_seg_size, 0
	.set _ZL33flash_attn_stream_k_fixup_generalILi128ELi16ELi4EEvPfPK15HIP_vector_typeIfLj2EEiiiiS1_IjLj3EES5_S5_S5_.uses_vcc, 1
	.set _ZL33flash_attn_stream_k_fixup_generalILi128ELi16ELi4EEvPfPK15HIP_vector_typeIfLj2EEiiiiS1_IjLj3EES5_S5_S5_.uses_flat_scratch, 0
	.set _ZL33flash_attn_stream_k_fixup_generalILi128ELi16ELi4EEvPfPK15HIP_vector_typeIfLj2EEiiiiS1_IjLj3EES5_S5_S5_.has_dyn_sized_stack, 0
	.set _ZL33flash_attn_stream_k_fixup_generalILi128ELi16ELi4EEvPfPK15HIP_vector_typeIfLj2EEiiiiS1_IjLj3EES5_S5_S5_.has_recursion, 0
	.set _ZL33flash_attn_stream_k_fixup_generalILi128ELi16ELi4EEvPfPK15HIP_vector_typeIfLj2EEiiiiS1_IjLj3EES5_S5_S5_.has_indirect_call, 0
	.section	.AMDGPU.csdata,"",@progbits
; Kernel info:
; codeLenInByte = 3360
; TotalNumSgprs: 48
; NumVgprs: 12
; ScratchSize: 0
; MemoryBound: 0
; FloatMode: 240
; IeeeMode: 1
; LDSByteSize: 0 bytes/workgroup (compile time only)
; SGPRBlocks: 0
; VGPRBlocks: 0
; NumSGPRsForWavesPerEU: 48
; NumVGPRsForWavesPerEU: 12
; NamedBarCnt: 0
; Occupancy: 16
; WaveLimiterHint : 0
; COMPUTE_PGM_RSRC2:SCRATCH_EN: 0
; COMPUTE_PGM_RSRC2:USER_SGPR: 2
; COMPUTE_PGM_RSRC2:TRAP_HANDLER: 0
; COMPUTE_PGM_RSRC2:TGID_X_EN: 1
; COMPUTE_PGM_RSRC2:TGID_Y_EN: 1
; COMPUTE_PGM_RSRC2:TGID_Z_EN: 1
; COMPUTE_PGM_RSRC2:TIDIG_COMP_CNT: 0
	.section	.text._ZL15flash_attn_tileILi128ELi128ELi8ELi4ELb0EEvPKcS1_S1_S1_S1_PKiPfP15HIP_vector_typeIfLj2EEffffjfiS5_IjLj3EEiiiiiiiiiiiliiliiiiil,"axG",@progbits,_ZL15flash_attn_tileILi128ELi128ELi8ELi4ELb0EEvPKcS1_S1_S1_S1_PKiPfP15HIP_vector_typeIfLj2EEffffjfiS5_IjLj3EEiiiiiiiiiiiliiliiiiil,comdat
	.globl	_ZL15flash_attn_tileILi128ELi128ELi8ELi4ELb0EEvPKcS1_S1_S1_S1_PKiPfP15HIP_vector_typeIfLj2EEffffjfiS5_IjLj3EEiiiiiiiiiiiliiliiiiil ; -- Begin function _ZL15flash_attn_tileILi128ELi128ELi8ELi4ELb0EEvPKcS1_S1_S1_S1_PKiPfP15HIP_vector_typeIfLj2EEffffjfiS5_IjLj3EEiiiiiiiiiiiliiliiiiil
	.p2align	8
	.type	_ZL15flash_attn_tileILi128ELi128ELi8ELi4ELb0EEvPKcS1_S1_S1_S1_PKiPfP15HIP_vector_typeIfLj2EEffffjfiS5_IjLj3EEiiiiiiiiiiiliiliiiiil,@function
_ZL15flash_attn_tileILi128ELi128ELi8ELi4ELb0EEvPKcS1_S1_S1_S1_PKiPfP15HIP_vector_typeIfLj2EEffffjfiS5_IjLj3EEiiiiiiiiiiiliiliiiiil: ; @_ZL15flash_attn_tileILi128ELi128ELi8ELi4ELb0EEvPKcS1_S1_S1_S1_PKiPfP15HIP_vector_typeIfLj2EEffffjfiS5_IjLj3EEiiiiiiiiiiiliiliiiiil
; %bb.0:
	s_clause 0x1
	s_load_b128 s[28:31], s[0:1], 0x5c
	s_load_b64 s[38:39], s[0:1], 0x80
	s_bfe_u32 s6, ttmp6, 0x40014
	s_lshr_b32 s5, ttmp7, 16
	s_add_co_i32 s6, s6, 1
	s_bfe_u32 s7, ttmp6, 0x40008
	s_mul_i32 s6, s5, s6
	s_getreg_b32 s4, hwreg(HW_REG_IB_STS2, 6, 4)
	s_add_co_i32 s7, s7, s6
	s_load_b512 s[12:27], s[0:1], 0x0
	s_mov_b64 s[40:41], 0
	s_wait_kmcnt 0x0
	s_ashr_i32 s2, s31, 31
	s_delay_alu instid0(SALU_CYCLE_1) | instskip(NEXT) | instid1(SALU_CYCLE_1)
	s_lshr_b32 s2, s2, 30
	s_add_co_i32 s2, s31, s2
	s_delay_alu instid0(SALU_CYCLE_1) | instskip(NEXT) | instid1(SALU_CYCLE_1)
	s_ashr_i32 s2, s2, 2
	s_cvt_f32_u32 s3, s2
	s_sub_co_i32 s8, 0, s2
	s_delay_alu instid0(SALU_CYCLE_2) | instskip(SKIP_1) | instid1(TRANS32_DEP_1)
	v_rcp_iflag_f32_e32 v1, s3
	v_nop
	v_readfirstlane_b32 s3, v1
	s_mul_f32 s3, s3, 0x4f7ffffe
	s_delay_alu instid0(SALU_CYCLE_3) | instskip(NEXT) | instid1(SALU_CYCLE_3)
	s_cvt_u32_f32 s3, s3
	s_mul_i32 s8, s8, s3
	s_delay_alu instid0(SALU_CYCLE_1) | instskip(NEXT) | instid1(SALU_CYCLE_1)
	s_mul_hi_u32 s8, s3, s8
	s_add_co_i32 s3, s3, s8
	s_cmp_eq_u32 s4, 0
	s_cselect_b32 s5, s5, s7
	s_delay_alu instid0(SALU_CYCLE_1) | instskip(NEXT) | instid1(SALU_CYCLE_1)
	s_mul_hi_u32 s3, s5, s3
	s_mul_i32 s6, s3, s2
	s_add_co_i32 s7, s3, 1
	s_sub_co_i32 s6, s5, s6
	s_delay_alu instid0(SALU_CYCLE_1)
	s_sub_co_i32 s8, s6, s2
	s_cmp_ge_u32 s6, s2
	s_cselect_b32 s3, s7, s3
	s_cselect_b32 s6, s8, s6
	s_add_co_i32 s7, s3, 1
	s_cmp_ge_u32 s6, s2
	s_cselect_b32 s34, s7, s3
	s_abs_i32 s2, s39
	s_abs_i32 s8, s31
	s_cvt_f32_u32 s3, s2
	s_sub_co_i32 s6, 0, s2
	s_lshl_b32 s5, s5, 2
	s_mul_i32 s7, s34, s31
	v_rcp_iflag_f32_e32 v1, s3
	s_sub_co_i32 s36, s5, s7
	s_xor_b32 s5, s31, s39
	s_delay_alu instid0(SALU_CYCLE_1) | instskip(SKIP_1) | instid1(TRANS32_DEP_1)
	s_ashr_i32 s5, s5, 31
	v_nop
	v_readfirstlane_b32 s3, v1
	s_mul_f32 s3, s3, 0x4f7ffffe
	s_delay_alu instid0(SALU_CYCLE_3) | instskip(NEXT) | instid1(SALU_CYCLE_3)
	s_cvt_u32_f32 s3, s3
	s_mul_i32 s6, s6, s3
	s_delay_alu instid0(SALU_CYCLE_1) | instskip(NEXT) | instid1(SALU_CYCLE_1)
	s_mul_hi_u32 s6, s3, s6
	s_add_co_i32 s3, s3, s6
	s_delay_alu instid0(SALU_CYCLE_1) | instskip(NEXT) | instid1(SALU_CYCLE_1)
	s_mul_hi_u32 s3, s8, s3
	s_mul_i32 s6, s3, s2
	s_add_co_i32 s7, s3, 1
	s_sub_co_i32 s6, s8, s6
	s_delay_alu instid0(SALU_CYCLE_1)
	s_sub_co_i32 s8, s6, s2
	s_cmp_ge_u32 s6, s2
	s_cselect_b32 s3, s7, s3
	s_cselect_b32 s6, s8, s6
	s_add_co_i32 s7, s3, 1
	s_cmp_ge_u32 s6, s2
	s_load_b64 s[8:9], s[0:1], 0xb8
	s_cselect_b32 s2, s7, s3
	s_mov_b32 s3, 0
	s_xor_b32 s2, s2, s5
	s_delay_alu instid0(SALU_CYCLE_1) | instskip(NEXT) | instid1(SALU_CYCLE_1)
	s_sub_co_i32 s11, s2, s5
	s_abs_i32 s10, s11
	s_cmp_eq_u64 s[18:19], 0
	s_cvt_f32_u32 s2, s10
	s_delay_alu instid0(SALU_CYCLE_3) | instskip(SKIP_1) | instid1(TRANS32_DEP_1)
	v_rcp_iflag_f32_e32 v1, s2
	v_nop
	v_readfirstlane_b32 s2, v1
	s_cbranch_scc1 .LBB21_2
; %bb.1:
	s_wait_kmcnt 0x0
	s_abs_i32 s5, s8
	s_abs_i32 s8, s34
	s_cvt_f32_u32 s6, s5
	s_sub_co_i32 s7, 0, s5
	s_delay_alu instid0(SALU_CYCLE_2) | instskip(SKIP_1) | instid1(TRANS32_DEP_1)
	v_rcp_iflag_f32_e32 v1, s6
	v_nop
	v_readfirstlane_b32 s6, v1
	s_mul_f32 s6, s6, 0x4f7ffffe
	s_delay_alu instid0(SALU_CYCLE_3) | instskip(NEXT) | instid1(SALU_CYCLE_3)
	s_cvt_u32_f32 s6, s6
	s_mul_i32 s7, s7, s6
	s_delay_alu instid0(SALU_CYCLE_1) | instskip(NEXT) | instid1(SALU_CYCLE_1)
	s_mul_hi_u32 s7, s6, s7
	s_add_co_i32 s6, s6, s7
	s_delay_alu instid0(SALU_CYCLE_1) | instskip(SKIP_2) | instid1(SALU_CYCLE_1)
	s_mul_hi_u32 s33, s8, s6
	s_load_b64 s[6:7], s[0:1], 0xc8
	s_mul_i32 s33, s33, s5
	s_sub_co_i32 s8, s8, s33
	s_ashr_i32 s33, s34, 31
	s_sub_co_i32 s35, s8, s5
	s_cmp_ge_u32 s8, s5
	s_cselect_b32 s8, s35, s8
	s_delay_alu instid0(SALU_CYCLE_1) | instskip(SKIP_2) | instid1(SALU_CYCLE_1)
	s_sub_co_i32 s35, s8, s5
	s_cmp_ge_u32 s8, s5
	s_cselect_b32 s5, s35, s8
	s_xor_b32 s5, s5, s33
	s_delay_alu instid0(SALU_CYCLE_1) | instskip(NEXT) | instid1(SALU_CYCLE_1)
	s_sub_co_i32 s40, s5, s33
	s_ashr_i32 s41, s40, 31
	s_wait_kmcnt 0x0
	s_mul_u64 s[6:7], s[6:7], s[40:41]
	s_delay_alu instid0(SALU_CYCLE_1)
	s_add_nc_u64 s[40:41], s[18:19], s[6:7]
.LBB21_2:
	s_bfe_u32 s5, ttmp6, 0x4000c
	s_and_b32 s6, ttmp6, 15
	s_add_co_i32 s5, s5, 1
	v_bfe_u32 v1, v0, 10, 10
	s_mul_i32 s5, ttmp9, s5
	s_load_b96 s[44:46], s[0:1], 0x70
	s_add_co_i32 s6, s6, s5
	s_cmp_eq_u32 s4, 0
	v_and_b32_e32 v62, 0x3ff, v0
	s_cselect_b32 s5, ttmp9, s6
	v_mov_b32_e32 v3, 0
	v_lshl_add_u32 v63, s5, 3, v1
	s_delay_alu instid0(VALU_DEP_3) | instskip(NEXT) | instid1(VALU_DEP_3)
	v_dual_lshlrev_b32 v0, 10, v1 :: v_dual_lshlrev_b32 v6, 4, v62
	v_dual_lshlrev_b32 v65, 3, v62 :: v_dual_mov_b32 v7, v3
	s_delay_alu instid0(VALU_DEP_3) | instskip(NEXT) | instid1(VALU_DEP_3)
	v_mul_hi_u32 v2, s28, v63
	v_add_nc_u32_e32 v66, 0x6800, v0
	s_wait_kmcnt 0x0
	s_mul_i32 s6, s36, s45
	s_ashr_i32 s19, s45, 31
	s_delay_alu instid0(VALU_DEP_2) | instskip(SKIP_3) | instid1(VALU_DEP_1)
	v_add_nc_u32_e32 v2, v63, v2
	s_mov_b32 s18, s45
	s_ashr_i32 s45, s44, 31
	s_ashr_i32 s7, s6, 31
	v_lshrrev_b32_e32 v2, s29, v2
	s_lshr_b64 s[28:29], s[44:45], 2
	s_delay_alu instid0(VALU_DEP_1) | instskip(NEXT) | instid1(VALU_DEP_1)
	v_mul_lo_u32 v2, v2, s30
	v_sub_nc_u32_e32 v2, v63, v2
	s_delay_alu instid0(VALU_DEP_1) | instskip(SKIP_1) | instid1(SALU_CYCLE_1)
	v_mul_u64_e32 v[4:5], s[28:29], v[2:3]
	s_mul_i32 s28, s34, s46
	s_ashr_i32 s29, s28, 31
	s_delay_alu instid0(SALU_CYCLE_1) | instskip(NEXT) | instid1(SALU_CYCLE_1)
	s_add_nc_u64 s[12:13], s[12:13], s[28:29]
	s_add_nc_u64 s[6:7], s[12:13], s[6:7]
	s_and_b64 s[12:13], s[18:19], -4
	s_delay_alu instid0(VALU_DEP_1) | instskip(SKIP_2) | instid1(VALU_DEP_1)
	v_lshl_add_u64 v[4:5], v[4:5], 2, s[6:7]
	s_lshr_b64 s[6:7], s[18:19], 2
	s_cmp_eq_u64 s[22:23], 0
	v_add_nc_u64_e32 v[8:9], v[4:5], v[6:7]
	s_delay_alu instid0(VALU_DEP_1)
	v_mad_nc_u64_u32 v[20:21], s6, 12, v[8:9]
	global_load_b128 v[4:7], v[8:9], off
	v_add_nc_u64_e32 v[18:19], s[12:13], v[8:9]
	v_lshl_add_u64 v[16:17], s[6:7], 3, v[8:9]
	s_load_b32 s6, s[0:1], 0x40
	s_clause 0x1
	global_load_b128 v[8:11], v[16:17], off
	global_load_b128 v[12:15], v[18:19], off
	v_mad_u32 v21, s19, 12, v21
	global_load_b128 v[16:19], v[20:21], off
	s_wait_loadcnt 0x3
	s_wait_kmcnt 0x0
	v_fma_mixlo_f16 v3, s6, v5, 0
	v_fma_mixlo_f16 v4, s6, v4, 0
	;; [unrolled: 1-line block ×4, first 2 shown]
	s_wait_xcnt 0x0
	v_dual_add_nc_u32 v20, v66, v65 :: v_dual_lshlrev_b32 v3, 16, v3
	v_and_b32_e32 v4, 0xffff, v4
	v_lshlrev_b32_e32 v5, 16, v5
	v_and_b32_e32 v6, 0xffff, v6
	s_wait_loadcnt 0x2
	v_fma_mixlo_f16 v7, s6, v8, 0
	v_fma_mixlo_f16 v8, s6, v9, 0
	;; [unrolled: 1-line block ×4, first 2 shown]
	s_wait_loadcnt 0x1
	v_fma_mixlo_f16 v11, s6, v12, 0
	v_fma_mixlo_f16 v12, s6, v13, 0
	v_fma_mixlo_f16 v13, s6, v14, 0
	v_fma_mixlo_f16 v14, s6, v15, 0
	v_or_b32_e32 v3, v3, v4
	v_or3_b32 v5, v5, v6, 0
	v_dual_lshlrev_b32 v6, 16, v8 :: v_dual_lshlrev_b32 v8, 16, v10
	s_delay_alu instid0(VALU_DEP_4) | instskip(NEXT) | instid1(VALU_DEP_4)
	v_dual_lshlrev_b32 v10, 16, v12 :: v_dual_lshlrev_b32 v12, 16, v14
	v_or3_b32 v4, 0, 0, v3
	s_wait_loadcnt 0x0
	v_fma_mixlo_f16 v3, s6, v17, 0
	v_fma_mixlo_f16 v14, s6, v16, 0
	v_and_b32_e32 v7, 0xffff, v7
	v_and_b32_e32 v9, 0xffff, v9
	;; [unrolled: 1-line block ×3, first 2 shown]
	v_fma_mixlo_f16 v15, s6, v18, 0
	v_fma_mixlo_f16 v16, s6, v19, 0
	v_lshlrev_b32_e32 v3, 16, v3
	v_and_b32_e32 v14, 0xffff, v14
	v_and_b32_e32 v13, 0xffff, v13
	v_or_b32_e32 v6, v6, v7
	v_or3_b32 v7, v8, v9, 0
	v_dual_lshlrev_b32 v10, 16, v16 :: v_dual_bitop2_b32 v8, v10, v11 bitop3:0x54
	v_and_b32_e32 v11, 0xffff, v15
	v_or_b32_e32 v3, v3, v14
	v_or3_b32 v9, v12, v13, 0
	s_delay_alu instid0(VALU_DEP_4)
	v_or3_b32 v8, 0, 0, v8
	v_or3_b32 v6, 0, 0, v6
	;; [unrolled: 1-line block ×4, first 2 shown]
	ds_store_2addr_b64 v20, v[4:5], v[8:9] offset1:32
	ds_store_2addr_b64 v20, v[6:7], v[10:11] offset0:64 offset1:96
	s_wait_dscnt 0x0
	s_barrier_signal -1
	s_barrier_wait -1
	s_cbranch_scc1 .LBB21_4
; %bb.3:
	s_load_b32 s6, s[0:1], 0xd0
	s_wait_kmcnt 0x0
	s_mul_i32 s6, s6, s34
	s_delay_alu instid0(SALU_CYCLE_1)
	s_add_co_i32 s6, s6, s5
	s_load_b32 s38, s[22:23], s6 offset:0x0 scale_offset
.LBB21_4:
	s_bfe_u32 s5, ttmp6, 0x40010
	s_wait_xcnt 0x0
	s_and_b32 s6, ttmp7, 0xffff
	s_add_co_i32 s5, s5, 1
	s_bfe_u32 s7, ttmp6, 0x40004
	s_mul_i32 s5, s6, s5
	v_mbcnt_lo_u32_b32 v67, -1, 0
	s_add_co_i32 s7, s7, s5
	s_cmp_eq_u32 s4, 0
	s_mov_b32 s4, 0
	s_cselect_b32 s33, s6, s7
	s_delay_alu instid0(SALU_CYCLE_1)
	s_lshl_b32 s18, s33, 7
	s_wait_kmcnt 0x0
	s_cmp_lt_i32 s18, s38
	s_cbranch_scc1 .LBB21_7
; %bb.5:
	v_mbcnt_lo_u32_b32 v4, -1, 0
	s_delay_alu instid0(VALU_DEP_1)
	v_dual_mov_b32 v68, 32 :: v_dual_bitop2_b32 v73, 16, v4 bitop3:0x14
	v_xor_b32_e32 v72, 8, v4
	v_xor_b32_e32 v71, 4, v4
	;; [unrolled: 1-line block ×3, first 2 shown]
	v_dual_lshlrev_b32 v64, 2, v62 :: v_dual_bitop2_b32 v69, 1, v4 bitop3:0x14
	s_and_not1_b32 vcc_lo, exec_lo, s4
	s_cbranch_vccz .LBB21_8
; %bb.6:
	v_dual_mov_b32 v99, 0 :: v_dual_mov_b32 v27, 0
	v_dual_mov_b32 v3, 0xfeffffff :: v_dual_mov_b32 v2, 0xfeffffff
	v_dual_mov_b32 v1, 0xfeffffff :: v_dual_mov_b32 v0, 0xfeffffff
	s_delay_alu instid0(VALU_DEP_3)
	v_dual_mov_b32 v26, v27 :: v_dual_mov_b32 v29, v27
	v_dual_mov_b32 v28, v27 :: v_dual_mov_b32 v100, 0
	;; [unrolled: 1-line block ×5, first 2 shown]
	s_branch .LBB21_11
.LBB21_7:
                                        ; implicit-def: $vgpr4
                                        ; implicit-def: $vgpr68
                                        ; implicit-def: $vgpr73
                                        ; implicit-def: $vgpr72
                                        ; implicit-def: $vgpr71
                                        ; implicit-def: $vgpr70
                                        ; implicit-def: $vgpr69
	v_lshlrev_b32_e32 v64, 2, v62
.LBB21_8:
	s_clause 0x1
	s_load_b64 s[12:13], s[0:1], 0x8c
	s_load_b128 s[4:7], s[0:1], 0x98
	s_mul_f32 s2, s2, 0x4f7ffffe
	s_sub_co_i32 s8, 0, s10
	s_mov_b32 s23, s3
	s_ashr_i32 s28, s36, 31
	s_cvt_u32_f32 s19, s2
	s_abs_i32 s2, s36
	s_ashr_i32 s11, s11, 31
	s_load_b64 s[42:43], s[0:1], 0xa8
	s_mul_i32 s8, s8, s19
	v_dual_lshrrev_b32 v3, 3, v62 :: v_dual_bitop2_b32 v4, 28, v64 bitop3:0x40
	s_mul_hi_u32 s8, s19, s8
	s_ashr_i32 s35, s34, 31
	s_add_co_i32 s22, s19, s8
	s_ashr_i32 s19, s9, 1
	s_mul_u64 s[8:9], s[2:3], s[22:23]
	s_xor_b32 s8, s28, s11
	s_mul_i32 s3, s9, s10
	s_wait_kmcnt 0x0
	s_ashr_i32 s28, s12, 2
	s_sub_co_i32 s2, s2, s3
	s_ashr_i32 s22, s6, 2
	s_add_co_i32 s3, s9, 1
	s_sub_co_i32 s6, s2, s10
	s_cmp_ge_u32 s2, s10
	v_lshl_add_u32 v3, v1, 2, v3
	s_cselect_b32 s3, s3, s9
	s_cselect_b32 s2, s6, s2
	s_add_co_i32 s6, s3, 1
	s_cmp_ge_u32 s2, s10
	v_mul_lo_u32 v24, s28, v3
	s_cselect_b32 s2, s6, s3
	v_dual_lshrrev_b32 v5, 4, v62 :: v_dual_lshlrev_b32 v6, 2, v4
	s_xor_b32 s2, s2, s8
	v_mad_u32 v80, v2, s19, v62
	s_sub_co_i32 s6, s2, s8
	s_mul_u64 s[2:3], s[4:5], s[34:35]
	s_mul_i32 s4, s6, s13
	v_lshl_add_u32 v1, v1, 1, v5
	s_add_nc_u64 s[2:3], s[14:15], s[2:3]
	s_ashr_i32 s5, s4, 31
	s_mul_u64 s[8:9], s[42:43], s[34:35]
	s_add_nc_u64 s[42:43], s[2:3], s[4:5]
	s_mul_i32 s2, s6, s7
	s_lshl_b32 s6, s28, 5
	v_mad_u32_u24 v74, 0x90, v3, v6
	v_mul_lo_u32 v6, s22, v1
	v_dual_mov_b32 v33, 0 :: v_dual_add_nc_u32 v30, s6, v24
	v_ashrrev_i32_e32 v25, 31, v24
	v_and_b32_e32 v8, 60, v64
	s_add_nc_u64 s[4:5], s[16:17], s[8:9]
	s_delay_alu instid0(VALU_DEP_3)
	v_dual_add_nc_u32 v34, s6, v30 :: v_dual_ashrrev_i32 v31, 31, v30
	s_ashr_i32 s3, s2, 31
	v_dual_mov_b32 v28, v33 :: v_dual_add_nc_u32 v81, 0x4800, v0
	s_add_nc_u64 s[44:45], s[4:5], s[2:3]
	s_lshl_b32 s2, s22, 4
	v_dual_ashrrev_i32 v35, 31, v34 :: v_dual_add_nc_u32 v36, s6, v34
	v_dual_lshlrev_b32 v3, 2, v8 :: v_dual_add_nc_u32 v10, s2, v6
	v_dual_mov_b32 v68, 32 :: v_dual_add_nc_u32 v75, 0x1200, v74
	s_delay_alu instid0(VALU_DEP_3) | instskip(NEXT) | instid1(VALU_DEP_3)
	v_ashrrev_i32_e32 v37, 31, v36
	v_lshl_or_b32 v79, v1, 8, v3
	s_delay_alu instid0(VALU_DEP_4) | instskip(SKIP_3) | instid1(VALU_DEP_4)
	v_add_nc_u32_e32 v12, s2, v10
	v_ashrrev_i32_e32 v7, 31, v6
	v_dual_mov_b32 v0, 0xfeffffff :: v_dual_ashrrev_i32 v11, 31, v10
	v_dual_mov_b32 v41, v33 :: v_dual_add_nc_u32 v76, 0x2400, v74
	v_dual_add_nc_u32 v2, s2, v12 :: v_dual_ashrrev_i32 v13, 31, v12
	s_delay_alu instid0(VALU_DEP_4) | instskip(NEXT) | instid1(VALU_DEP_4)
	v_lshlrev_b64_e32 v[38:39], 2, v[6:7]
	v_lshlrev_b64_e32 v[42:43], 2, v[10:11]
	v_dual_mov_b32 v94, v33 :: v_dual_add_nc_u32 v77, 0x3600, v74
	s_delay_alu instid0(VALU_DEP_4) | instskip(SKIP_3) | instid1(VALU_DEP_4)
	v_ashrrev_i32_e32 v3, 31, v2
	v_lshlrev_b64_e32 v[44:45], 2, v[12:13]
	v_mul_u32_u24_e32 v78, 0x90, v62
	v_dual_mov_b32 v93, v33 :: v_dual_add_nc_u32 v82, 0x1000, v79
	v_lshlrev_b64_e32 v[46:47], 2, v[2:3]
	v_dual_mov_b32 v26, v33 :: v_dual_add_nc_u32 v83, 0x2000, v79
	v_dual_mov_b32 v95, v33 :: v_dual_add_nc_u32 v84, 0x3000, v79
	v_dual_lshlrev_b32 v32, 2, v4 :: v_dual_bitop2_b32 v73, 16, v67 bitop3:0x14
	v_dual_add_nc_u32 v85, v81, v65 :: v_dual_bitop2_b32 v72, 8, v67 bitop3:0x14
	v_dual_lshlrev_b32 v40, 2, v8 :: v_dual_bitop2_b32 v71, 4, v67 bitop3:0x14
	v_dual_mov_b32 v29, v33 :: v_dual_bitop2_b32 v70, 2, v67 bitop3:0x14
	v_dual_mov_b32 v27, v33 :: v_dual_bitop2_b32 v69, 1, v67 bitop3:0x14
	v_dual_mov_b32 v97, v33 :: v_dual_add_nc_u32 v86, 0x800, v65
	v_dual_mov_b32 v96, v33 :: v_dual_add_nc_u32 v87, 0x1000, v65
	v_dual_mov_b32 v99, v33 :: v_dual_add_nc_u32 v88, 0x1800, v65
	v_dual_mov_b32 v98, v33 :: v_dual_add_nc_u32 v89, 0x2000, v65
	v_add_nc_u32_e32 v90, 0x2800, v65
	v_dual_mov_b32 v100, v33 :: v_dual_add_nc_u32 v91, 0x3000, v65
	v_add_nc_u32_e32 v92, 0x3800, v65
	v_dual_mov_b32 v1, 0xfeffffff :: v_dual_mov_b32 v2, 0xfeffffff
	v_mov_b32_e32 v3, 0xfeffffff
	s_ashr_i32 s29, s28, 31
	s_ashr_i32 s23, s22, 31
	s_add_nc_u64 s[46:47], s[0:1], 0xd0
.LBB21_9:                               ; =>This Inner Loop Header: Depth=1
	v_cmp_gt_i32_e64 s2, 32, v73
	v_add_nc_u32_e32 v105, s18, v80
	s_ashr_i32 s19, s18, 31
	v_cmp_gt_i32_e32 vcc_lo, 32, v69
	v_dual_mov_b32 v102, v1 :: v_dual_mov_b32 v101, v0
	v_cndmask_b32_e64 v60, v67, v73, s2
	v_cmp_gt_i32_e64 s2, 32, v72
	v_dual_mov_b32 v104, v3 :: v_dual_mov_b32 v103, v2
	v_dual_mov_b32 v111, 0 :: v_dual_mov_b32 v112, 0
	s_delay_alu instid0(VALU_DEP_3) | instskip(SKIP_3) | instid1(VALU_DEP_3)
	v_cndmask_b32_e64 v61, v67, v72, s2
	v_cmp_gt_i32_e64 s2, 32, v71
	v_dual_mov_b32 v113, 0 :: v_dual_mov_b32 v114, 0
	v_dual_mov_b32 v115, 0 :: v_dual_mov_b32 v116, 0
	v_cndmask_b32_e64 v127, v67, v71, s2
	v_cmp_gt_i32_e64 s2, 32, v70
	v_dual_mov_b32 v117, 0 :: v_dual_mov_b32 v118, 0
	v_dual_mov_b32 v119, 0 :: v_dual_mov_b32 v120, 0
	s_delay_alu instid0(VALU_DEP_3)
	v_cndmask_b32_e64 v132, v67, v70, s2
	s_mul_u64 s[2:3], s[18:19], s[28:29]
	v_dual_mov_b32 v121, 0 :: v_dual_mov_b32 v122, 0
	s_lshl_b64 s[2:3], s[2:3], 2
	v_dual_mov_b32 v123, 0 :: v_dual_mov_b32 v124, 0
	s_add_nc_u64 s[2:3], s[42:43], s[2:3]
	v_dual_mov_b32 v125, 0 :: v_dual_mov_b32 v126, 0
	v_lshl_add_u64 v[0:1], v[24:25], 2, s[2:3]
	v_lshl_add_u64 v[2:3], v[30:31], 2, s[2:3]
	;; [unrolled: 1-line block ×4, first 2 shown]
	s_mul_u64 s[2:3], s[18:19], s[22:23]
	v_add_nc_u64_e32 v[48:49], v[0:1], v[32:33]
	v_add_nc_u64_e32 v[50:51], v[2:3], v[32:33]
	;; [unrolled: 1-line block ×4, first 2 shown]
	s_clause 0x3
	global_load_b128 v[0:3], v[48:49], off
	global_load_b128 v[4:7], v[50:51], off
	;; [unrolled: 1-line block ×4, first 2 shown]
	s_lshl_b64 s[2:3], s[2:3], 2
	v_lshlrev_b32_e32 v110, 2, v60
	s_add_nc_u64 s[2:3], s[44:45], s[2:3]
	s_wait_loadcnt 0x3
	ds_store_b128 v74, v[0:3]
	s_wait_loadcnt 0x2
	ds_store_b128 v75, v[4:7]
	;; [unrolled: 2-line block ×4, first 2 shown]
	s_wait_dscnt 0x0
	s_barrier_signal -1
	s_barrier_wait -1
	ds_load_b128 v[0:3], v78
	ds_load_b128 v[4:7], v66
	ds_load_b128 v[8:11], v66 offset:256
	ds_load_b128 v[12:15], v66 offset:512
	;; [unrolled: 1-line block ×6, first 2 shown]
	s_wait_dscnt 0x6
	;;#ASMSTART
	v_dot2_f32_f16 v111, v0, v4, v111
	;;#ASMEND
	;;#ASMSTART
	v_dot2_f32_f16 v111, v1, v5, v111
	;;#ASMEND
	;;#ASMSTART
	v_dot2_f32_f16 v111, v2, v6, v111
	;;#ASMEND
	;;#ASMSTART
	v_dot2_f32_f16 v111, v3, v7, v111
	;;#ASMEND
	s_wait_dscnt 0x5
	;;#ASMSTART
	v_dot2_f32_f16 v112, v0, v8, v112
	;;#ASMEND
	;;#ASMSTART
	v_dot2_f32_f16 v112, v1, v9, v112
	;;#ASMEND
	;;#ASMSTART
	v_dot2_f32_f16 v112, v2, v10, v112
	;;#ASMEND
	;;#ASMSTART
	v_dot2_f32_f16 v112, v3, v11, v112
	;;#ASMEND
	;; [unrolled: 13-line block ×5, first 2 shown]
	;;#ASMSTART
	v_dot2_f32_f16 v116, v20, v8, v116
	;;#ASMEND
	;;#ASMSTART
	v_dot2_f32_f16 v116, v21, v9, v116
	;;#ASMEND
	;; [unrolled: 3-line block ×12, first 2 shown]
	s_wait_dscnt 0x1
	;;#ASMSTART
	v_dot2_f32_f16 v119, v56, v4, v119
	;;#ASMEND
	;;#ASMSTART
	v_dot2_f32_f16 v119, v57, v5, v119
	;;#ASMEND
	;; [unrolled: 3-line block ×16, first 2 shown]
	s_wait_dscnt 0x0
	;;#ASMSTART
	v_dot2_f32_f16 v123, v106, v4, v123
	;;#ASMEND
	;;#ASMSTART
	v_dot2_f32_f16 v123, v107, v5, v123
	;;#ASMEND
	;; [unrolled: 3-line block ×16, first 2 shown]
	ds_load_b128 v[0:3], v78 offset:16
	ds_load_b128 v[4:7], v66 offset:16
	;; [unrolled: 1-line block ×8, first 2 shown]
	s_wait_dscnt 0x6
	;;#ASMSTART
	v_dot2_f32_f16 v111, v0, v4, v111
	;;#ASMEND
	;;#ASMSTART
	v_dot2_f32_f16 v111, v1, v5, v111
	;;#ASMEND
	;;#ASMSTART
	v_dot2_f32_f16 v111, v2, v6, v111
	;;#ASMEND
	;;#ASMSTART
	v_dot2_f32_f16 v111, v3, v7, v111
	;;#ASMEND
	s_wait_dscnt 0x5
	;;#ASMSTART
	v_dot2_f32_f16 v112, v0, v8, v112
	;;#ASMEND
	;;#ASMSTART
	v_dot2_f32_f16 v112, v1, v9, v112
	;;#ASMEND
	;;#ASMSTART
	v_dot2_f32_f16 v112, v2, v10, v112
	;;#ASMEND
	;;#ASMSTART
	v_dot2_f32_f16 v112, v3, v11, v112
	;;#ASMEND
	;; [unrolled: 13-line block ×5, first 2 shown]
	;;#ASMSTART
	v_dot2_f32_f16 v116, v20, v8, v116
	;;#ASMEND
	;;#ASMSTART
	v_dot2_f32_f16 v116, v21, v9, v116
	;;#ASMEND
	;; [unrolled: 3-line block ×12, first 2 shown]
	s_wait_dscnt 0x1
	;;#ASMSTART
	v_dot2_f32_f16 v119, v56, v4, v119
	;;#ASMEND
	;;#ASMSTART
	v_dot2_f32_f16 v119, v57, v5, v119
	;;#ASMEND
	;; [unrolled: 3-line block ×16, first 2 shown]
	s_wait_dscnt 0x0
	;;#ASMSTART
	v_dot2_f32_f16 v123, v106, v4, v123
	;;#ASMEND
	;;#ASMSTART
	v_dot2_f32_f16 v123, v107, v5, v123
	;;#ASMEND
	;; [unrolled: 3-line block ×16, first 2 shown]
	ds_load_b128 v[0:3], v78 offset:32
	ds_load_b128 v[4:7], v66 offset:32
	;; [unrolled: 1-line block ×8, first 2 shown]
	s_wait_dscnt 0x6
	;;#ASMSTART
	v_dot2_f32_f16 v111, v0, v4, v111
	;;#ASMEND
	;;#ASMSTART
	v_dot2_f32_f16 v111, v1, v5, v111
	;;#ASMEND
	;;#ASMSTART
	v_dot2_f32_f16 v111, v2, v6, v111
	;;#ASMEND
	;;#ASMSTART
	v_dot2_f32_f16 v111, v3, v7, v111
	;;#ASMEND
	s_wait_dscnt 0x5
	;;#ASMSTART
	v_dot2_f32_f16 v112, v0, v8, v112
	;;#ASMEND
	;;#ASMSTART
	v_dot2_f32_f16 v112, v1, v9, v112
	;;#ASMEND
	;;#ASMSTART
	v_dot2_f32_f16 v112, v2, v10, v112
	;;#ASMEND
	;;#ASMSTART
	v_dot2_f32_f16 v112, v3, v11, v112
	;;#ASMEND
	;; [unrolled: 13-line block ×5, first 2 shown]
	;;#ASMSTART
	v_dot2_f32_f16 v116, v20, v8, v116
	;;#ASMEND
	;;#ASMSTART
	v_dot2_f32_f16 v116, v21, v9, v116
	;;#ASMEND
	;; [unrolled: 3-line block ×12, first 2 shown]
	s_wait_dscnt 0x1
	;;#ASMSTART
	v_dot2_f32_f16 v119, v56, v4, v119
	;;#ASMEND
	;;#ASMSTART
	v_dot2_f32_f16 v119, v57, v5, v119
	;;#ASMEND
	;; [unrolled: 3-line block ×16, first 2 shown]
	s_wait_dscnt 0x0
	;;#ASMSTART
	v_dot2_f32_f16 v123, v106, v4, v123
	;;#ASMEND
	;;#ASMSTART
	v_dot2_f32_f16 v123, v107, v5, v123
	;;#ASMEND
	;; [unrolled: 3-line block ×16, first 2 shown]
	ds_load_b128 v[0:3], v78 offset:48
	ds_load_b128 v[4:7], v66 offset:48
	;; [unrolled: 1-line block ×8, first 2 shown]
	s_wait_dscnt 0x6
	;;#ASMSTART
	v_dot2_f32_f16 v111, v0, v4, v111
	;;#ASMEND
	;;#ASMSTART
	v_dot2_f32_f16 v111, v1, v5, v111
	;;#ASMEND
	;;#ASMSTART
	v_dot2_f32_f16 v111, v2, v6, v111
	;;#ASMEND
	;;#ASMSTART
	v_dot2_f32_f16 v111, v3, v7, v111
	;;#ASMEND
	s_wait_dscnt 0x5
	;;#ASMSTART
	v_dot2_f32_f16 v112, v0, v8, v112
	;;#ASMEND
	;;#ASMSTART
	v_dot2_f32_f16 v112, v1, v9, v112
	;;#ASMEND
	;;#ASMSTART
	v_dot2_f32_f16 v112, v2, v10, v112
	;;#ASMEND
	;;#ASMSTART
	v_dot2_f32_f16 v112, v3, v11, v112
	;;#ASMEND
	;; [unrolled: 13-line block ×5, first 2 shown]
	;;#ASMSTART
	v_dot2_f32_f16 v116, v20, v8, v116
	;;#ASMEND
	;;#ASMSTART
	v_dot2_f32_f16 v116, v21, v9, v116
	;;#ASMEND
	;;#ASMSTART
	v_dot2_f32_f16 v116, v22, v10, v116
	;;#ASMEND
	;;#ASMSTART
	v_dot2_f32_f16 v116, v23, v11, v116
	;;#ASMEND
	;;#ASMSTART
	v_dot2_f32_f16 v117, v20, v12, v117
	;;#ASMEND
	;;#ASMSTART
	v_dot2_f32_f16 v117, v21, v13, v117
	;;#ASMEND
	;;#ASMSTART
	v_dot2_f32_f16 v117, v22, v14, v117
	;;#ASMEND
	;;#ASMSTART
	v_dot2_f32_f16 v117, v23, v15, v117
	;;#ASMEND
	;;#ASMSTART
	v_dot2_f32_f16 v118, v20, v16, v118
	;;#ASMEND
	;;#ASMSTART
	v_dot2_f32_f16 v118, v21, v17, v118
	;;#ASMEND
	;;#ASMSTART
	v_dot2_f32_f16 v118, v22, v18, v118
	;;#ASMEND
	;;#ASMSTART
	v_dot2_f32_f16 v118, v23, v19, v118
	;;#ASMEND
	s_wait_dscnt 0x1
	;;#ASMSTART
	v_dot2_f32_f16 v119, v56, v4, v119
	;;#ASMEND
	;;#ASMSTART
	v_dot2_f32_f16 v119, v57, v5, v119
	;;#ASMEND
	;; [unrolled: 3-line block ×16, first 2 shown]
	s_wait_dscnt 0x0
	;;#ASMSTART
	v_dot2_f32_f16 v123, v106, v4, v123
	;;#ASMEND
	;;#ASMSTART
	v_dot2_f32_f16 v123, v107, v5, v123
	;;#ASMEND
	;; [unrolled: 3-line block ×16, first 2 shown]
	ds_load_b128 v[0:3], v78 offset:64
	ds_load_b128 v[4:7], v66 offset:64
	;; [unrolled: 1-line block ×8, first 2 shown]
	s_wait_dscnt 0x6
	;;#ASMSTART
	v_dot2_f32_f16 v111, v0, v4, v111
	;;#ASMEND
	;;#ASMSTART
	v_dot2_f32_f16 v111, v1, v5, v111
	;;#ASMEND
	;;#ASMSTART
	v_dot2_f32_f16 v111, v2, v6, v111
	;;#ASMEND
	;;#ASMSTART
	v_dot2_f32_f16 v111, v3, v7, v111
	;;#ASMEND
	s_wait_dscnt 0x5
	;;#ASMSTART
	v_dot2_f32_f16 v112, v0, v8, v112
	;;#ASMEND
	;;#ASMSTART
	v_dot2_f32_f16 v112, v1, v9, v112
	;;#ASMEND
	;;#ASMSTART
	v_dot2_f32_f16 v112, v2, v10, v112
	;;#ASMEND
	;;#ASMSTART
	v_dot2_f32_f16 v112, v3, v11, v112
	;;#ASMEND
	;; [unrolled: 13-line block ×5, first 2 shown]
	;;#ASMSTART
	v_dot2_f32_f16 v116, v20, v8, v116
	;;#ASMEND
	;;#ASMSTART
	v_dot2_f32_f16 v116, v21, v9, v116
	;;#ASMEND
	;; [unrolled: 3-line block ×12, first 2 shown]
	s_wait_dscnt 0x1
	;;#ASMSTART
	v_dot2_f32_f16 v119, v56, v4, v119
	;;#ASMEND
	;;#ASMSTART
	v_dot2_f32_f16 v119, v57, v5, v119
	;;#ASMEND
	;; [unrolled: 3-line block ×16, first 2 shown]
	s_wait_dscnt 0x0
	;;#ASMSTART
	v_dot2_f32_f16 v123, v106, v4, v123
	;;#ASMEND
	;;#ASMSTART
	v_dot2_f32_f16 v123, v107, v5, v123
	;;#ASMEND
	;;#ASMSTART
	v_dot2_f32_f16 v123, v108, v6, v123
	;;#ASMEND
	;;#ASMSTART
	v_dot2_f32_f16 v123, v109, v7, v123
	;;#ASMEND
	;;#ASMSTART
	v_dot2_f32_f16 v124, v106, v8, v124
	;;#ASMEND
	;;#ASMSTART
	v_dot2_f32_f16 v124, v107, v9, v124
	;;#ASMEND
	;;#ASMSTART
	v_dot2_f32_f16 v124, v108, v10, v124
	;;#ASMEND
	;;#ASMSTART
	v_dot2_f32_f16 v124, v109, v11, v124
	;;#ASMEND
	;;#ASMSTART
	v_dot2_f32_f16 v125, v106, v12, v125
	;;#ASMEND
	;;#ASMSTART
	v_dot2_f32_f16 v125, v107, v13, v125
	;;#ASMEND
	;;#ASMSTART
	v_dot2_f32_f16 v125, v108, v14, v125
	;;#ASMEND
	;;#ASMSTART
	v_dot2_f32_f16 v125, v109, v15, v125
	;;#ASMEND
	;;#ASMSTART
	v_dot2_f32_f16 v126, v106, v16, v126
	;;#ASMEND
	;;#ASMSTART
	v_dot2_f32_f16 v126, v107, v17, v126
	;;#ASMEND
	;;#ASMSTART
	v_dot2_f32_f16 v126, v108, v18, v126
	;;#ASMEND
	;;#ASMSTART
	v_dot2_f32_f16 v126, v109, v19, v126
	;;#ASMEND
	ds_load_b128 v[0:3], v78 offset:80
	ds_load_b128 v[4:7], v66 offset:80
	;; [unrolled: 1-line block ×8, first 2 shown]
	s_wait_dscnt 0x6
	;;#ASMSTART
	v_dot2_f32_f16 v111, v0, v4, v111
	;;#ASMEND
	;;#ASMSTART
	v_dot2_f32_f16 v111, v1, v5, v111
	;;#ASMEND
	;;#ASMSTART
	v_dot2_f32_f16 v111, v2, v6, v111
	;;#ASMEND
	;;#ASMSTART
	v_dot2_f32_f16 v111, v3, v7, v111
	;;#ASMEND
	s_wait_dscnt 0x5
	;;#ASMSTART
	v_dot2_f32_f16 v112, v0, v8, v112
	;;#ASMEND
	;;#ASMSTART
	v_dot2_f32_f16 v112, v1, v9, v112
	;;#ASMEND
	;;#ASMSTART
	v_dot2_f32_f16 v112, v2, v10, v112
	;;#ASMEND
	;;#ASMSTART
	v_dot2_f32_f16 v112, v3, v11, v112
	;;#ASMEND
	s_wait_dscnt 0x4
	;;#ASMSTART
	v_dot2_f32_f16 v113, v0, v12, v113
	;;#ASMEND
	;;#ASMSTART
	v_dot2_f32_f16 v113, v1, v13, v113
	;;#ASMEND
	;;#ASMSTART
	v_dot2_f32_f16 v113, v2, v14, v113
	;;#ASMEND
	;;#ASMSTART
	v_dot2_f32_f16 v113, v3, v15, v113
	;;#ASMEND
	s_wait_dscnt 0x3
	;;#ASMSTART
	v_dot2_f32_f16 v114, v0, v16, v114
	;;#ASMEND
	;;#ASMSTART
	v_dot2_f32_f16 v114, v1, v17, v114
	;;#ASMEND
	;;#ASMSTART
	v_dot2_f32_f16 v114, v2, v18, v114
	;;#ASMEND
	;;#ASMSTART
	v_dot2_f32_f16 v114, v3, v19, v114
	;;#ASMEND
	s_wait_dscnt 0x2
	;;#ASMSTART
	v_dot2_f32_f16 v115, v20, v4, v115
	;;#ASMEND
	;;#ASMSTART
	v_dot2_f32_f16 v115, v21, v5, v115
	;;#ASMEND
	;;#ASMSTART
	v_dot2_f32_f16 v115, v22, v6, v115
	;;#ASMEND
	;;#ASMSTART
	v_dot2_f32_f16 v115, v23, v7, v115
	;;#ASMEND
	;;#ASMSTART
	v_dot2_f32_f16 v116, v20, v8, v116
	;;#ASMEND
	;;#ASMSTART
	v_dot2_f32_f16 v116, v21, v9, v116
	;;#ASMEND
	;; [unrolled: 3-line block ×12, first 2 shown]
	s_wait_dscnt 0x1
	;;#ASMSTART
	v_dot2_f32_f16 v119, v56, v4, v119
	;;#ASMEND
	;;#ASMSTART
	v_dot2_f32_f16 v119, v57, v5, v119
	;;#ASMEND
	;; [unrolled: 3-line block ×16, first 2 shown]
	s_wait_dscnt 0x0
	;;#ASMSTART
	v_dot2_f32_f16 v123, v106, v4, v123
	;;#ASMEND
	;;#ASMSTART
	v_dot2_f32_f16 v123, v107, v5, v123
	;;#ASMEND
	;; [unrolled: 3-line block ×16, first 2 shown]
	ds_load_b128 v[0:3], v78 offset:96
	ds_load_b128 v[4:7], v66 offset:96
	;; [unrolled: 1-line block ×8, first 2 shown]
	s_wait_dscnt 0x6
	;;#ASMSTART
	v_dot2_f32_f16 v111, v0, v4, v111
	;;#ASMEND
	;;#ASMSTART
	v_dot2_f32_f16 v111, v1, v5, v111
	;;#ASMEND
	;;#ASMSTART
	v_dot2_f32_f16 v111, v2, v6, v111
	;;#ASMEND
	;;#ASMSTART
	v_dot2_f32_f16 v111, v3, v7, v111
	;;#ASMEND
	s_wait_dscnt 0x5
	;;#ASMSTART
	v_dot2_f32_f16 v112, v0, v8, v112
	;;#ASMEND
	;;#ASMSTART
	v_dot2_f32_f16 v112, v1, v9, v112
	;;#ASMEND
	;;#ASMSTART
	v_dot2_f32_f16 v112, v2, v10, v112
	;;#ASMEND
	;;#ASMSTART
	v_dot2_f32_f16 v112, v3, v11, v112
	;;#ASMEND
	;; [unrolled: 13-line block ×5, first 2 shown]
	;;#ASMSTART
	v_dot2_f32_f16 v116, v20, v8, v116
	;;#ASMEND
	;;#ASMSTART
	v_dot2_f32_f16 v116, v21, v9, v116
	;;#ASMEND
	;; [unrolled: 3-line block ×12, first 2 shown]
	s_wait_dscnt 0x1
	;;#ASMSTART
	v_dot2_f32_f16 v119, v56, v4, v119
	;;#ASMEND
	;;#ASMSTART
	v_dot2_f32_f16 v119, v57, v5, v119
	;;#ASMEND
	;; [unrolled: 3-line block ×16, first 2 shown]
	s_wait_dscnt 0x0
	;;#ASMSTART
	v_dot2_f32_f16 v123, v106, v4, v123
	;;#ASMEND
	;;#ASMSTART
	v_dot2_f32_f16 v123, v107, v5, v123
	;;#ASMEND
	;;#ASMSTART
	v_dot2_f32_f16 v123, v108, v6, v123
	;;#ASMEND
	;;#ASMSTART
	v_dot2_f32_f16 v123, v109, v7, v123
	;;#ASMEND
	;;#ASMSTART
	v_dot2_f32_f16 v124, v106, v8, v124
	;;#ASMEND
	;;#ASMSTART
	v_dot2_f32_f16 v124, v107, v9, v124
	;;#ASMEND
	;;#ASMSTART
	v_dot2_f32_f16 v124, v108, v10, v124
	;;#ASMEND
	;;#ASMSTART
	v_dot2_f32_f16 v124, v109, v11, v124
	;;#ASMEND
	;;#ASMSTART
	v_dot2_f32_f16 v125, v106, v12, v125
	;;#ASMEND
	;;#ASMSTART
	v_dot2_f32_f16 v125, v107, v13, v125
	;;#ASMEND
	;;#ASMSTART
	v_dot2_f32_f16 v125, v108, v14, v125
	;;#ASMEND
	;;#ASMSTART
	v_dot2_f32_f16 v125, v109, v15, v125
	;;#ASMEND
	;;#ASMSTART
	v_dot2_f32_f16 v126, v106, v16, v126
	;;#ASMEND
	;;#ASMSTART
	v_dot2_f32_f16 v126, v107, v17, v126
	;;#ASMEND
	;;#ASMSTART
	v_dot2_f32_f16 v126, v108, v18, v126
	;;#ASMEND
	;;#ASMSTART
	v_dot2_f32_f16 v126, v109, v19, v126
	;;#ASMEND
	ds_load_b128 v[56:59], v78 offset:112
	ds_load_b128 v[16:19], v66 offset:112
	;; [unrolled: 1-line block ×8, first 2 shown]
	s_wait_dscnt 0x6
	;;#ASMSTART
	v_dot2_f32_f16 v111, v56, v16, v111
	;;#ASMEND
	;;#ASMSTART
	v_dot2_f32_f16 v111, v57, v17, v111
	;;#ASMEND
	;;#ASMSTART
	v_dot2_f32_f16 v111, v58, v18, v111
	;;#ASMEND
	;;#ASMSTART
	v_dot2_f32_f16 v111, v59, v19, v111
	;;#ASMEND
	s_wait_dscnt 0x5
	;;#ASMSTART
	v_dot2_f32_f16 v112, v56, v12, v112
	;;#ASMEND
	;;#ASMSTART
	v_dot2_f32_f16 v112, v57, v13, v112
	;;#ASMEND
	;;#ASMSTART
	v_dot2_f32_f16 v112, v58, v14, v112
	;;#ASMEND
	;;#ASMSTART
	v_dot2_f32_f16 v112, v59, v15, v112
	;;#ASMEND
	s_wait_dscnt 0x4
	;;#ASMSTART
	v_dot2_f32_f16 v113, v56, v8, v113
	;;#ASMEND
	;;#ASMSTART
	v_dot2_f32_f16 v113, v57, v9, v113
	;;#ASMEND
	;;#ASMSTART
	v_dot2_f32_f16 v113, v58, v10, v113
	;;#ASMEND
	;;#ASMSTART
	v_dot2_f32_f16 v113, v59, v11, v113
	;;#ASMEND
	s_wait_dscnt 0x3
	;;#ASMSTART
	v_dot2_f32_f16 v114, v56, v0, v114
	;;#ASMEND
	;;#ASMSTART
	v_dot2_f32_f16 v114, v57, v1, v114
	;;#ASMEND
	;;#ASMSTART
	v_dot2_f32_f16 v114, v58, v2, v114
	;;#ASMEND
	;;#ASMSTART
	v_dot2_f32_f16 v114, v59, v3, v114
	;;#ASMEND
	s_wait_dscnt 0x2
	;;#ASMSTART
	v_dot2_f32_f16 v115, v128, v16, v115
	;;#ASMEND
	;;#ASMSTART
	v_dot2_f32_f16 v115, v129, v17, v115
	;;#ASMEND
	;;#ASMSTART
	v_dot2_f32_f16 v115, v130, v18, v115
	;;#ASMEND
	;;#ASMSTART
	v_dot2_f32_f16 v115, v131, v19, v115
	;;#ASMEND
	;;#ASMSTART
	v_dot2_f32_f16 v116, v128, v12, v116
	;;#ASMEND
	;;#ASMSTART
	v_dot2_f32_f16 v116, v129, v13, v116
	;;#ASMEND
	;;#ASMSTART
	v_dot2_f32_f16 v116, v130, v14, v116
	;;#ASMEND
	;;#ASMSTART
	v_dot2_f32_f16 v116, v131, v15, v116
	;;#ASMEND
	;;#ASMSTART
	v_dot2_f32_f16 v117, v128, v8, v117
	;;#ASMEND
	;;#ASMSTART
	v_dot2_f32_f16 v117, v129, v9, v117
	;;#ASMEND
	;;#ASMSTART
	v_dot2_f32_f16 v117, v130, v10, v117
	;;#ASMEND
	;;#ASMSTART
	v_dot2_f32_f16 v117, v131, v11, v117
	;;#ASMEND
	;;#ASMSTART
	v_dot2_f32_f16 v118, v128, v0, v118
	;;#ASMEND
	;;#ASMSTART
	v_dot2_f32_f16 v118, v129, v1, v118
	;;#ASMEND
	;;#ASMSTART
	v_dot2_f32_f16 v118, v130, v2, v118
	;;#ASMEND
	;;#ASMSTART
	v_dot2_f32_f16 v118, v131, v3, v118
	;;#ASMEND
	s_wait_dscnt 0x1
	;;#ASMSTART
	v_dot2_f32_f16 v119, v20, v16, v119
	;;#ASMEND
	;;#ASMSTART
	v_dot2_f32_f16 v119, v21, v17, v119
	;;#ASMEND
	;; [unrolled: 3-line block ×16, first 2 shown]
	s_wait_dscnt 0x0
	;;#ASMSTART
	v_dot2_f32_f16 v123, v4, v16, v123
	;;#ASMEND
	;;#ASMSTART
	v_dot2_f32_f16 v123, v5, v17, v123
	;;#ASMEND
	;; [unrolled: 3-line block ×16, first 2 shown]
	s_barrier_signal -1
	s_barrier_wait -1
	s_clause 0x3
	global_load_b128 v[0:3], v[48:49], off offset:128
	global_load_b128 v[4:7], v[50:51], off offset:128
	;; [unrolled: 1-line block ×4, first 2 shown]
	v_cndmask_b32_e32 v56, v67, v69, vcc_lo
	v_dual_lshlrev_b32 v109, 2, v61 :: v_dual_lshlrev_b32 v108, 2, v127
	v_lshlrev_b32_e32 v107, 2, v132
	v_add_nc_u64_e32 v[58:59], s[2:3], v[42:43]
	v_add_nc_u64_e32 v[60:61], s[2:3], v[44:45]
	s_wait_loadcnt 0x3
	ds_store_b128 v74, v[0:3]
	s_wait_loadcnt 0x2
	ds_store_b128 v75, v[4:7]
	;; [unrolled: 2-line block ×4, first 2 shown]
	s_wait_dscnt 0x0
	s_barrier_signal -1
	s_barrier_wait -1
	ds_load_b128 v[0:3], v78
	ds_load_b128 v[4:7], v66 offset:128
	ds_load_b128 v[8:11], v66 offset:384
	;; [unrolled: 1-line block ×7, first 2 shown]
	s_wait_dscnt 0x6
	;;#ASMSTART
	v_dot2_f32_f16 v111, v0, v4, v111
	;;#ASMEND
	;;#ASMSTART
	v_dot2_f32_f16 v111, v1, v5, v111
	;;#ASMEND
	;;#ASMSTART
	v_dot2_f32_f16 v111, v2, v6, v111
	;;#ASMEND
	;;#ASMSTART
	v_dot2_f32_f16 v111, v3, v7, v111
	;;#ASMEND
	s_wait_dscnt 0x5
	;;#ASMSTART
	v_dot2_f32_f16 v112, v0, v8, v112
	;;#ASMEND
	;;#ASMSTART
	v_dot2_f32_f16 v112, v1, v9, v112
	;;#ASMEND
	;;#ASMSTART
	v_dot2_f32_f16 v112, v2, v10, v112
	;;#ASMEND
	;;#ASMSTART
	v_dot2_f32_f16 v112, v3, v11, v112
	;;#ASMEND
	;; [unrolled: 13-line block ×5, first 2 shown]
	;;#ASMSTART
	v_dot2_f32_f16 v116, v20, v8, v116
	;;#ASMEND
	;;#ASMSTART
	v_dot2_f32_f16 v116, v21, v9, v116
	;;#ASMEND
	;; [unrolled: 3-line block ×12, first 2 shown]
	s_wait_dscnt 0x1
	;;#ASMSTART
	v_dot2_f32_f16 v119, v48, v4, v119
	;;#ASMEND
	;;#ASMSTART
	v_dot2_f32_f16 v119, v49, v5, v119
	;;#ASMEND
	;; [unrolled: 3-line block ×16, first 2 shown]
	s_wait_dscnt 0x0
	;;#ASMSTART
	v_dot2_f32_f16 v123, v52, v4, v123
	;;#ASMEND
	;;#ASMSTART
	v_dot2_f32_f16 v123, v53, v5, v123
	;;#ASMEND
	;; [unrolled: 3-line block ×16, first 2 shown]
	ds_load_b128 v[0:3], v78 offset:16
	ds_load_b128 v[4:7], v66 offset:144
	;; [unrolled: 1-line block ×8, first 2 shown]
	s_wait_dscnt 0x6
	;;#ASMSTART
	v_dot2_f32_f16 v111, v0, v4, v111
	;;#ASMEND
	;;#ASMSTART
	v_dot2_f32_f16 v111, v1, v5, v111
	;;#ASMEND
	;;#ASMSTART
	v_dot2_f32_f16 v111, v2, v6, v111
	;;#ASMEND
	;;#ASMSTART
	v_dot2_f32_f16 v111, v3, v7, v111
	;;#ASMEND
	s_wait_dscnt 0x5
	;;#ASMSTART
	v_dot2_f32_f16 v112, v0, v8, v112
	;;#ASMEND
	;;#ASMSTART
	v_dot2_f32_f16 v112, v1, v9, v112
	;;#ASMEND
	;;#ASMSTART
	v_dot2_f32_f16 v112, v2, v10, v112
	;;#ASMEND
	;;#ASMSTART
	v_dot2_f32_f16 v112, v3, v11, v112
	;;#ASMEND
	;; [unrolled: 13-line block ×5, first 2 shown]
	;;#ASMSTART
	v_dot2_f32_f16 v116, v20, v8, v116
	;;#ASMEND
	;;#ASMSTART
	v_dot2_f32_f16 v116, v21, v9, v116
	;;#ASMEND
	;;#ASMSTART
	v_dot2_f32_f16 v116, v22, v10, v116
	;;#ASMEND
	;;#ASMSTART
	v_dot2_f32_f16 v116, v23, v11, v116
	;;#ASMEND
	;;#ASMSTART
	v_dot2_f32_f16 v117, v20, v12, v117
	;;#ASMEND
	;;#ASMSTART
	v_dot2_f32_f16 v117, v21, v13, v117
	;;#ASMEND
	;;#ASMSTART
	v_dot2_f32_f16 v117, v22, v14, v117
	;;#ASMEND
	;;#ASMSTART
	v_dot2_f32_f16 v117, v23, v15, v117
	;;#ASMEND
	;;#ASMSTART
	v_dot2_f32_f16 v118, v20, v16, v118
	;;#ASMEND
	;;#ASMSTART
	v_dot2_f32_f16 v118, v21, v17, v118
	;;#ASMEND
	;;#ASMSTART
	v_dot2_f32_f16 v118, v22, v18, v118
	;;#ASMEND
	;;#ASMSTART
	v_dot2_f32_f16 v118, v23, v19, v118
	;;#ASMEND
	s_wait_dscnt 0x1
	;;#ASMSTART
	v_dot2_f32_f16 v119, v48, v4, v119
	;;#ASMEND
	;;#ASMSTART
	v_dot2_f32_f16 v119, v49, v5, v119
	;;#ASMEND
	;; [unrolled: 3-line block ×16, first 2 shown]
	s_wait_dscnt 0x0
	;;#ASMSTART
	v_dot2_f32_f16 v123, v52, v4, v123
	;;#ASMEND
	;;#ASMSTART
	v_dot2_f32_f16 v123, v53, v5, v123
	;;#ASMEND
	;; [unrolled: 3-line block ×16, first 2 shown]
	ds_load_b128 v[0:3], v78 offset:32
	ds_load_b128 v[4:7], v66 offset:160
	;; [unrolled: 1-line block ×8, first 2 shown]
	s_wait_dscnt 0x6
	;;#ASMSTART
	v_dot2_f32_f16 v111, v0, v4, v111
	;;#ASMEND
	;;#ASMSTART
	v_dot2_f32_f16 v111, v1, v5, v111
	;;#ASMEND
	;;#ASMSTART
	v_dot2_f32_f16 v111, v2, v6, v111
	;;#ASMEND
	;;#ASMSTART
	v_dot2_f32_f16 v111, v3, v7, v111
	;;#ASMEND
	s_wait_dscnt 0x5
	;;#ASMSTART
	v_dot2_f32_f16 v112, v0, v8, v112
	;;#ASMEND
	;;#ASMSTART
	v_dot2_f32_f16 v112, v1, v9, v112
	;;#ASMEND
	;;#ASMSTART
	v_dot2_f32_f16 v112, v2, v10, v112
	;;#ASMEND
	;;#ASMSTART
	v_dot2_f32_f16 v112, v3, v11, v112
	;;#ASMEND
	;; [unrolled: 13-line block ×5, first 2 shown]
	;;#ASMSTART
	v_dot2_f32_f16 v116, v20, v8, v116
	;;#ASMEND
	;;#ASMSTART
	v_dot2_f32_f16 v116, v21, v9, v116
	;;#ASMEND
	;; [unrolled: 3-line block ×12, first 2 shown]
	s_wait_dscnt 0x1
	;;#ASMSTART
	v_dot2_f32_f16 v119, v48, v4, v119
	;;#ASMEND
	;;#ASMSTART
	v_dot2_f32_f16 v119, v49, v5, v119
	;;#ASMEND
	;; [unrolled: 3-line block ×16, first 2 shown]
	s_wait_dscnt 0x0
	;;#ASMSTART
	v_dot2_f32_f16 v123, v52, v4, v123
	;;#ASMEND
	;;#ASMSTART
	v_dot2_f32_f16 v123, v53, v5, v123
	;;#ASMEND
	;; [unrolled: 3-line block ×16, first 2 shown]
	ds_load_b128 v[0:3], v78 offset:48
	ds_load_b128 v[4:7], v66 offset:176
	;; [unrolled: 1-line block ×8, first 2 shown]
	s_wait_dscnt 0x6
	;;#ASMSTART
	v_dot2_f32_f16 v111, v0, v4, v111
	;;#ASMEND
	;;#ASMSTART
	v_dot2_f32_f16 v111, v1, v5, v111
	;;#ASMEND
	;;#ASMSTART
	v_dot2_f32_f16 v111, v2, v6, v111
	;;#ASMEND
	;;#ASMSTART
	v_dot2_f32_f16 v111, v3, v7, v111
	;;#ASMEND
	s_wait_dscnt 0x5
	;;#ASMSTART
	v_dot2_f32_f16 v112, v0, v8, v112
	;;#ASMEND
	;;#ASMSTART
	v_dot2_f32_f16 v112, v1, v9, v112
	;;#ASMEND
	;;#ASMSTART
	v_dot2_f32_f16 v112, v2, v10, v112
	;;#ASMEND
	;;#ASMSTART
	v_dot2_f32_f16 v112, v3, v11, v112
	;;#ASMEND
	;; [unrolled: 13-line block ×5, first 2 shown]
	;;#ASMSTART
	v_dot2_f32_f16 v116, v20, v8, v116
	;;#ASMEND
	;;#ASMSTART
	v_dot2_f32_f16 v116, v21, v9, v116
	;;#ASMEND
	;; [unrolled: 3-line block ×12, first 2 shown]
	s_wait_dscnt 0x1
	;;#ASMSTART
	v_dot2_f32_f16 v119, v48, v4, v119
	;;#ASMEND
	;;#ASMSTART
	v_dot2_f32_f16 v119, v49, v5, v119
	;;#ASMEND
	;; [unrolled: 3-line block ×16, first 2 shown]
	s_wait_dscnt 0x0
	;;#ASMSTART
	v_dot2_f32_f16 v123, v52, v4, v123
	;;#ASMEND
	;;#ASMSTART
	v_dot2_f32_f16 v123, v53, v5, v123
	;;#ASMEND
	;;#ASMSTART
	v_dot2_f32_f16 v123, v54, v6, v123
	;;#ASMEND
	;;#ASMSTART
	v_dot2_f32_f16 v123, v55, v7, v123
	;;#ASMEND
	;;#ASMSTART
	v_dot2_f32_f16 v124, v52, v8, v124
	;;#ASMEND
	;;#ASMSTART
	v_dot2_f32_f16 v124, v53, v9, v124
	;;#ASMEND
	;;#ASMSTART
	v_dot2_f32_f16 v124, v54, v10, v124
	;;#ASMEND
	;;#ASMSTART
	v_dot2_f32_f16 v124, v55, v11, v124
	;;#ASMEND
	;;#ASMSTART
	v_dot2_f32_f16 v125, v52, v12, v125
	;;#ASMEND
	;;#ASMSTART
	v_dot2_f32_f16 v125, v53, v13, v125
	;;#ASMEND
	;;#ASMSTART
	v_dot2_f32_f16 v125, v54, v14, v125
	;;#ASMEND
	;;#ASMSTART
	v_dot2_f32_f16 v125, v55, v15, v125
	;;#ASMEND
	;;#ASMSTART
	v_dot2_f32_f16 v126, v52, v16, v126
	;;#ASMEND
	;;#ASMSTART
	v_dot2_f32_f16 v126, v53, v17, v126
	;;#ASMEND
	;;#ASMSTART
	v_dot2_f32_f16 v126, v54, v18, v126
	;;#ASMEND
	;;#ASMSTART
	v_dot2_f32_f16 v126, v55, v19, v126
	;;#ASMEND
	ds_load_b128 v[0:3], v78 offset:64
	ds_load_b128 v[4:7], v66 offset:192
	ds_load_b128 v[8:11], v66 offset:448
	ds_load_b128 v[12:15], v66 offset:704
	ds_load_b128 v[16:19], v66 offset:960
	ds_load_b128 v[20:23], v78 offset:4672
	ds_load_b128 v[48:51], v78 offset:9280
	ds_load_b128 v[52:55], v78 offset:13888
	s_wait_dscnt 0x6
	;;#ASMSTART
	v_dot2_f32_f16 v111, v0, v4, v111
	;;#ASMEND
	;;#ASMSTART
	v_dot2_f32_f16 v111, v1, v5, v111
	;;#ASMEND
	;;#ASMSTART
	v_dot2_f32_f16 v111, v2, v6, v111
	;;#ASMEND
	;;#ASMSTART
	v_dot2_f32_f16 v111, v3, v7, v111
	;;#ASMEND
	s_wait_dscnt 0x5
	;;#ASMSTART
	v_dot2_f32_f16 v112, v0, v8, v112
	;;#ASMEND
	;;#ASMSTART
	v_dot2_f32_f16 v112, v1, v9, v112
	;;#ASMEND
	;;#ASMSTART
	v_dot2_f32_f16 v112, v2, v10, v112
	;;#ASMEND
	;;#ASMSTART
	v_dot2_f32_f16 v112, v3, v11, v112
	;;#ASMEND
	s_wait_dscnt 0x4
	;;#ASMSTART
	v_dot2_f32_f16 v113, v0, v12, v113
	;;#ASMEND
	;;#ASMSTART
	v_dot2_f32_f16 v113, v1, v13, v113
	;;#ASMEND
	;;#ASMSTART
	v_dot2_f32_f16 v113, v2, v14, v113
	;;#ASMEND
	;;#ASMSTART
	v_dot2_f32_f16 v113, v3, v15, v113
	;;#ASMEND
	s_wait_dscnt 0x3
	;;#ASMSTART
	v_dot2_f32_f16 v114, v0, v16, v114
	;;#ASMEND
	;;#ASMSTART
	v_dot2_f32_f16 v114, v1, v17, v114
	;;#ASMEND
	;;#ASMSTART
	v_dot2_f32_f16 v114, v2, v18, v114
	;;#ASMEND
	;;#ASMSTART
	v_dot2_f32_f16 v114, v3, v19, v114
	;;#ASMEND
	s_wait_dscnt 0x2
	;;#ASMSTART
	v_dot2_f32_f16 v115, v20, v4, v115
	;;#ASMEND
	;;#ASMSTART
	v_dot2_f32_f16 v115, v21, v5, v115
	;;#ASMEND
	;;#ASMSTART
	v_dot2_f32_f16 v115, v22, v6, v115
	;;#ASMEND
	;;#ASMSTART
	v_dot2_f32_f16 v115, v23, v7, v115
	;;#ASMEND
	;;#ASMSTART
	v_dot2_f32_f16 v116, v20, v8, v116
	;;#ASMEND
	;;#ASMSTART
	v_dot2_f32_f16 v116, v21, v9, v116
	;;#ASMEND
	;; [unrolled: 3-line block ×12, first 2 shown]
	s_wait_dscnt 0x1
	;;#ASMSTART
	v_dot2_f32_f16 v119, v48, v4, v119
	;;#ASMEND
	;;#ASMSTART
	v_dot2_f32_f16 v119, v49, v5, v119
	;;#ASMEND
	;; [unrolled: 3-line block ×16, first 2 shown]
	s_wait_dscnt 0x0
	;;#ASMSTART
	v_dot2_f32_f16 v123, v52, v4, v123
	;;#ASMEND
	;;#ASMSTART
	v_dot2_f32_f16 v123, v53, v5, v123
	;;#ASMEND
	;; [unrolled: 3-line block ×16, first 2 shown]
	ds_load_b128 v[0:3], v78 offset:80
	ds_load_b128 v[4:7], v66 offset:208
	;; [unrolled: 1-line block ×8, first 2 shown]
	s_wait_dscnt 0x6
	;;#ASMSTART
	v_dot2_f32_f16 v111, v0, v4, v111
	;;#ASMEND
	;;#ASMSTART
	v_dot2_f32_f16 v111, v1, v5, v111
	;;#ASMEND
	;;#ASMSTART
	v_dot2_f32_f16 v111, v2, v6, v111
	;;#ASMEND
	;;#ASMSTART
	v_dot2_f32_f16 v111, v3, v7, v111
	;;#ASMEND
	s_wait_dscnt 0x5
	;;#ASMSTART
	v_dot2_f32_f16 v112, v0, v8, v112
	;;#ASMEND
	;;#ASMSTART
	v_dot2_f32_f16 v112, v1, v9, v112
	;;#ASMEND
	;;#ASMSTART
	v_dot2_f32_f16 v112, v2, v10, v112
	;;#ASMEND
	;;#ASMSTART
	v_dot2_f32_f16 v112, v3, v11, v112
	;;#ASMEND
	;; [unrolled: 13-line block ×5, first 2 shown]
	;;#ASMSTART
	v_dot2_f32_f16 v116, v20, v8, v116
	;;#ASMEND
	;;#ASMSTART
	v_dot2_f32_f16 v116, v21, v9, v116
	;;#ASMEND
	;; [unrolled: 3-line block ×12, first 2 shown]
	s_wait_dscnt 0x1
	;;#ASMSTART
	v_dot2_f32_f16 v119, v48, v4, v119
	;;#ASMEND
	;;#ASMSTART
	v_dot2_f32_f16 v119, v49, v5, v119
	;;#ASMEND
	;; [unrolled: 3-line block ×16, first 2 shown]
	s_wait_dscnt 0x0
	;;#ASMSTART
	v_dot2_f32_f16 v123, v52, v4, v123
	;;#ASMEND
	;;#ASMSTART
	v_dot2_f32_f16 v123, v53, v5, v123
	;;#ASMEND
	;; [unrolled: 3-line block ×16, first 2 shown]
	ds_load_b128 v[0:3], v78 offset:96
	ds_load_b128 v[4:7], v66 offset:224
	;; [unrolled: 1-line block ×8, first 2 shown]
	s_wait_dscnt 0x6
	;;#ASMSTART
	v_dot2_f32_f16 v111, v0, v4, v111
	;;#ASMEND
	;;#ASMSTART
	v_dot2_f32_f16 v111, v1, v5, v111
	;;#ASMEND
	;;#ASMSTART
	v_dot2_f32_f16 v111, v2, v6, v111
	;;#ASMEND
	;;#ASMSTART
	v_dot2_f32_f16 v111, v3, v7, v111
	;;#ASMEND
	s_wait_dscnt 0x5
	;;#ASMSTART
	v_dot2_f32_f16 v112, v0, v8, v112
	;;#ASMEND
	;;#ASMSTART
	v_dot2_f32_f16 v112, v1, v9, v112
	;;#ASMEND
	;;#ASMSTART
	v_dot2_f32_f16 v112, v2, v10, v112
	;;#ASMEND
	;;#ASMSTART
	v_dot2_f32_f16 v112, v3, v11, v112
	;;#ASMEND
	;; [unrolled: 13-line block ×5, first 2 shown]
	;;#ASMSTART
	v_dot2_f32_f16 v116, v20, v8, v116
	;;#ASMEND
	;;#ASMSTART
	v_dot2_f32_f16 v116, v21, v9, v116
	;;#ASMEND
	;; [unrolled: 3-line block ×12, first 2 shown]
	s_wait_dscnt 0x1
	;;#ASMSTART
	v_dot2_f32_f16 v119, v48, v4, v119
	;;#ASMEND
	;;#ASMSTART
	v_dot2_f32_f16 v119, v49, v5, v119
	;;#ASMEND
	;; [unrolled: 3-line block ×16, first 2 shown]
	s_wait_dscnt 0x0
	;;#ASMSTART
	v_dot2_f32_f16 v123, v52, v4, v123
	;;#ASMEND
	;;#ASMSTART
	v_dot2_f32_f16 v123, v53, v5, v123
	;;#ASMEND
	;; [unrolled: 3-line block ×16, first 2 shown]
	ds_load_b128 v[0:3], v78 offset:112
	ds_load_b128 v[4:7], v66 offset:240
	;; [unrolled: 1-line block ×8, first 2 shown]
	s_wait_dscnt 0x6
	;;#ASMSTART
	v_dot2_f32_f16 v111, v0, v4, v111
	;;#ASMEND
	;;#ASMSTART
	v_dot2_f32_f16 v111, v1, v5, v111
	;;#ASMEND
	;;#ASMSTART
	v_dot2_f32_f16 v111, v2, v6, v111
	;;#ASMEND
	;;#ASMSTART
	v_dot2_f32_f16 v111, v3, v7, v111
	;;#ASMEND
	s_wait_dscnt 0x5
	;;#ASMSTART
	v_dot2_f32_f16 v112, v0, v8, v112
	;;#ASMEND
	;;#ASMSTART
	v_dot2_f32_f16 v112, v1, v9, v112
	;;#ASMEND
	;;#ASMSTART
	v_dot2_f32_f16 v112, v2, v10, v112
	;;#ASMEND
	;;#ASMSTART
	v_dot2_f32_f16 v112, v3, v11, v112
	;;#ASMEND
	s_wait_dscnt 0x4
	;;#ASMSTART
	v_dot2_f32_f16 v113, v0, v12, v113
	;;#ASMEND
	;;#ASMSTART
	v_dot2_f32_f16 v113, v1, v13, v113
	;;#ASMEND
	;;#ASMSTART
	v_dot2_f32_f16 v113, v2, v14, v113
	;;#ASMEND
	;;#ASMSTART
	v_dot2_f32_f16 v113, v3, v15, v113
	;;#ASMEND
	s_wait_dscnt 0x3
	;;#ASMSTART
	v_dot2_f32_f16 v114, v0, v16, v114
	;;#ASMEND
	;;#ASMSTART
	v_dot2_f32_f16 v114, v1, v17, v114
	;;#ASMEND
	;;#ASMSTART
	v_dot2_f32_f16 v114, v2, v18, v114
	;;#ASMEND
	;;#ASMSTART
	v_dot2_f32_f16 v114, v3, v19, v114
	;;#ASMEND
	s_wait_dscnt 0x2
	;;#ASMSTART
	v_dot2_f32_f16 v115, v20, v4, v115
	;;#ASMEND
	;;#ASMSTART
	v_dot2_f32_f16 v115, v21, v5, v115
	;;#ASMEND
	;;#ASMSTART
	v_dot2_f32_f16 v115, v22, v6, v115
	;;#ASMEND
	;;#ASMSTART
	v_dot2_f32_f16 v115, v23, v7, v115
	;;#ASMEND
	;;#ASMSTART
	v_dot2_f32_f16 v116, v20, v8, v116
	;;#ASMEND
	;;#ASMSTART
	v_dot2_f32_f16 v116, v21, v9, v116
	;;#ASMEND
	;; [unrolled: 3-line block ×12, first 2 shown]
	s_wait_dscnt 0x1
	;;#ASMSTART
	v_dot2_f32_f16 v119, v48, v4, v119
	;;#ASMEND
	;;#ASMSTART
	v_dot2_f32_f16 v119, v49, v5, v119
	;;#ASMEND
	;; [unrolled: 3-line block ×16, first 2 shown]
	s_wait_dscnt 0x0
	;;#ASMSTART
	v_dot2_f32_f16 v123, v52, v4, v123
	;;#ASMEND
	;;#ASMSTART
	v_dot2_f32_f16 v123, v53, v5, v123
	;;#ASMEND
	;; [unrolled: 3-line block ×6, first 2 shown]
	v_add_nc_u64_e32 v[0:1], s[2:3], v[46:47]
	;;#ASMSTART
	v_dot2_f32_f16 v124, v54, v10, v124
	;;#ASMEND
	;;#ASMSTART
	v_dot2_f32_f16 v124, v55, v11, v124
	;;#ASMEND
	;; [unrolled: 3-line block ×9, first 2 shown]
	v_add_nc_u64_e32 v[128:129], v[0:1], v[40:41]
	;;#ASMSTART
	v_dot2_f32_f16 v126, v55, v19, v126
	;;#ASMEND
	s_clause 0x3
	global_load_u16 v0, v105, s[40:41] scale_offset
	global_load_u16 v1, v105, s[40:41] offset:64 scale_offset
	global_load_u16 v2, v105, s[40:41] offset:128 scale_offset
	;; [unrolled: 1-line block ×3, first 2 shown]
	v_add_nc_u64_e32 v[58:59], v[58:59], v[40:41]
	v_add_nc_u64_e32 v[60:61], v[60:61], v[40:41]
	s_wait_loadcnt 0x0
	s_barrier_signal -1
	s_barrier_wait -1
	v_cvt_f32_f16_e32 v0, v0
	v_cvt_f32_f16_e32 v1, v1
	v_lshlrev_b32_e32 v106, 2, v56
	v_cvt_f32_f16_e32 v2, v2
	v_cvt_f32_f16_e32 v3, v3
	v_dual_add_f32 v4, v111, v0 :: v_dual_add_f32 v8, v112, v0
	v_add_f32_e32 v5, v115, v1
	s_delay_alu instid0(VALU_DEP_4) | instskip(NEXT) | instid1(VALU_DEP_4)
	v_dual_add_f32 v6, v119, v2 :: v_dual_add_f32 v9, v116, v1
	v_dual_add_f32 v7, v123, v3 :: v_dual_add_f32 v10, v120, v2
	;; [unrolled: 1-line block ×6, first 2 shown]
	v_add_f32_e32 v1, 0x40051340, v5
	v_dual_add_f32 v15, v125, v3 :: v_dual_add_f32 v18, v122, v2
	v_dual_add_f32 v2, 0x40051340, v6 :: v_dual_add_f32 v3, 0x40051340, v7
	;; [unrolled: 1-line block ×5, first 2 shown]
	v_add_f32_e32 v50, 0x40051340, v14
	v_max3_num_f32 v0, v101, v0, v1
	v_dual_add_f32 v51, 0x40051340, v15 :: v_dual_add_f32 v52, 0x40051340, v16
	v_max3_num_f32 v1, v102, v20, v21
	v_max3_num_f32 v20, v103, v48, v49
	s_delay_alu instid0(VALU_DEP_4) | instskip(SKIP_1) | instid1(VALU_DEP_4)
	v_max3_num_f32 v0, v0, v2, v3
	v_dual_add_f32 v53, 0x40051340, v17 :: v_dual_add_f32 v54, 0x40051340, v18
	v_max3_num_f32 v1, v1, v22, v23
	s_delay_alu instid0(VALU_DEP_4)
	v_max3_num_f32 v2, v20, v50, v51
	ds_bpermute_b32 v20, v110, v0
	v_add_f32_e32 v55, 0x40051340, v19
	v_max3_num_f32 v21, v104, v52, v53
	v_add_nc_u64_e32 v[56:57], s[2:3], v[38:39]
	ds_bpermute_b32 v22, v110, v2
	v_add_nc_u64_e32 v[56:57], v[56:57], v[40:41]
	s_wait_dscnt 0x1
	v_max_num_f32_e32 v20, v20, v20
	v_max3_num_f32 v3, v21, v54, v55
	ds_bpermute_b32 v21, v110, v1
	s_wait_dscnt 0x1
	v_dual_max_num_f32 v22, v22, v22 :: v_dual_max_num_f32 v0, v0, v20
	ds_bpermute_b32 v23, v110, v3
	v_max_num_f32_e32 v2, v2, v22
	ds_bpermute_b32 v20, v109, v0
	ds_bpermute_b32 v22, v109, v2
	s_wait_dscnt 0x2
	v_dual_max_num_f32 v21, v21, v21 :: v_dual_max_num_f32 v23, v23, v23
	s_wait_dscnt 0x1
	s_delay_alu instid0(VALU_DEP_1) | instskip(NEXT) | instid1(VALU_DEP_2)
	v_dual_max_num_f32 v1, v1, v21 :: v_dual_max_num_f32 v20, v20, v20
	v_max_num_f32_e32 v3, v3, v23
	ds_bpermute_b32 v21, v109, v1
	s_wait_dscnt 0x1
	v_dual_max_num_f32 v22, v22, v22 :: v_dual_max_num_f32 v0, v0, v20
	ds_bpermute_b32 v23, v109, v3
	v_max_num_f32_e32 v2, v2, v22
	ds_bpermute_b32 v20, v108, v0
	ds_bpermute_b32 v22, v108, v2
	s_wait_dscnt 0x2
	v_dual_max_num_f32 v21, v21, v21 :: v_dual_max_num_f32 v23, v23, v23
	s_wait_dscnt 0x1
	s_delay_alu instid0(VALU_DEP_1) | instskip(NEXT) | instid1(VALU_DEP_2)
	v_dual_max_num_f32 v1, v1, v21 :: v_dual_max_num_f32 v20, v20, v20
	v_max_num_f32_e32 v3, v3, v23
	;; [unrolled: 13-line block ×4, first 2 shown]
	ds_bpermute_b32 v21, v106, v1
	s_wait_dscnt 0x1
	v_dual_max_num_f32 v22, v22, v22 :: v_dual_max_num_f32 v0, v0, v20
	ds_bpermute_b32 v23, v106, v3
	v_dual_max_num_f32 v2, v2, v22 :: v_dual_sub_f32 v20, v4, v0
	s_delay_alu instid0(VALU_DEP_1) | instskip(SKIP_2) | instid1(VALU_DEP_3)
	v_dual_sub_f32 v52, v6, v0 :: v_dual_sub_f32 v48, v12, v2
	s_wait_xcnt 0x0
	v_sub_f32_e32 v105, v14, v2
	v_cmp_ngt_f32_e64 s7, 0xc2ce8ed0, v20
	s_delay_alu instid0(VALU_DEP_3) | instskip(SKIP_1) | instid1(VALU_DEP_4)
	v_cmp_ngt_f32_e64 s15, 0xc2ce8ed0, v52
	v_cmp_ngt_f32_e64 s3, 0xc2ce8ed0, v48
	;; [unrolled: 1-line block ×3, first 2 shown]
	s_wait_dscnt 0x0
	v_dual_max_num_f32 v21, v21, v21 :: v_dual_max_num_f32 v23, v23, v23
	s_delay_alu instid0(VALU_DEP_1) | instskip(SKIP_1) | instid1(VALU_DEP_2)
	v_max_num_f32_e32 v1, v1, v21
	v_dual_sub_f32 v21, v5, v0 :: v_dual_sub_f32 v53, v7, v0
	v_dual_max_num_f32 v3, v3, v23 :: v_dual_sub_f32 v22, v8, v1
	v_sub_f32_e32 v49, v13, v2
	v_dual_sub_f32 v23, v9, v1 :: v_dual_sub_f32 v54, v10, v1
	s_delay_alu instid0(VALU_DEP_3) | instskip(NEXT) | instid1(VALU_DEP_3)
	v_dual_sub_f32 v50, v16, v3 :: v_dual_sub_f32 v51, v17, v3
	v_dual_mul_f32 v6, 0x3fb8aa3b, v22 :: v_dual_mul_f32 v9, 0x3fb8aa3b, v49
	s_delay_alu instid0(VALU_DEP_2)
	v_dual_sub_f32 v55, v11, v1 :: v_dual_mul_f32 v10, 0x3fb8aa3b, v50
	v_dual_mul_f32 v13, 0x3fb8aa3b, v53 :: v_dual_mul_f32 v4, 0x3fb8aa3b, v20
	v_dual_mul_f32 v7, 0x3fb8aa3b, v23 :: v_dual_mul_f32 v8, 0x3fb8aa3b, v48
	;; [unrolled: 1-line block ×3, first 2 shown]
	v_fma_f32 v114, 0x3fb8aa3b, v49, -v9
	v_fma_f32 v115, 0x3fb8aa3b, v50, -v10
	v_rndne_f32_e32 v123, v10
	v_dual_sub_f32 v106, v15, v2 :: v_dual_sub_f32 v107, v18, v3
	v_dual_sub_f32 v108, v19, v3 :: v_dual_mul_f32 v5, 0x3fb8aa3b, v21
	v_mul_f32_e32 v15, 0x3fb8aa3b, v55
	v_fma_f32 v109, 0x3fb8aa3b, v20, -v4
	v_fma_f32 v116, 0x3fb8aa3b, v51, -v11
	v_rndne_f32_e32 v117, v4
	v_rndne_f32_e32 v124, v11
	v_fma_f32 v125, 0x3fb8aa3b, v52, -v12
	v_dual_fmac_f32 v114, 0x32a5705f, v49 :: v_dual_fmac_f32 v115, 0x32a5705f, v50
	v_sub_f32_e32 v10, v10, v123
	v_fma_f32 v110, 0x3fb8aa3b, v21, -v5
	v_fma_f32 v111, 0x3fb8aa3b, v22, -v6
	v_rndne_f32_e32 v118, v5
	v_dual_fmac_f32 v109, 0x32a5705f, v20 :: v_dual_sub_f32 v4, v4, v117
	v_rndne_f32_e32 v126, v12
	v_fmac_f32_e32 v125, 0x32a5705f, v52
	v_dual_add_f32 v115, v10, v115 :: v_dual_sub_f32 v10, v11, v124
	v_fmac_f32_e32 v116, 0x32a5705f, v51
	v_dual_mul_f32 v14, 0x3fb8aa3b, v54 :: v_dual_mul_f32 v19, 0x3fb8aa3b, v108
	v_dual_mul_f32 v18, 0x3fb8aa3b, v107 :: v_dual_sub_f32 v5, v5, v118
	v_rndne_f32_e32 v119, v6
	v_dual_fmac_f32 v110, 0x32a5705f, v21 :: v_dual_fmac_f32 v111, 0x32a5705f, v22
	v_add_f32_e32 v4, v4, v109
	v_fma_f32 v109, 0x3fb8aa3b, v53, -v13
	v_dual_add_f32 v116, v10, v116 :: v_dual_sub_f32 v10, v12, v126
	v_rndne_f32_e32 v127, v13
	v_fma_f32 v112, 0x3fb8aa3b, v23, -v7
	v_fma_f32 v113, 0x3fb8aa3b, v48, -v8
	v_rndne_f32_e32 v120, v7
	v_rndne_f32_e32 v121, v8
	;; [unrolled: 1-line block ×3, first 2 shown]
	v_add_f32_e32 v110, v5, v110
	v_fma_f32 v5, 0x3fb8aa3b, v54, -v14
	v_dual_sub_f32 v6, v6, v119 :: v_dual_sub_f32 v7, v7, v120
	v_add_f32_e32 v125, v10, v125
	v_rndne_f32_e32 v130, v14
	v_dual_fmac_f32 v109, 0x32a5705f, v53 :: v_dual_sub_f32 v10, v13, v127
	v_dual_mul_f32 v16, 0x3fb8aa3b, v105 :: v_dual_mul_f32 v17, 0x3fb8aa3b, v106
	v_dual_fmac_f32 v112, 0x32a5705f, v23 :: v_dual_fmac_f32 v113, 0x32a5705f, v48
	v_add_f32_e32 v111, v6, v111
	v_fma_f32 v6, 0x3fb8aa3b, v55, -v15
	v_dual_sub_f32 v8, v8, v121 :: v_dual_sub_f32 v9, v9, v122
	v_add_f32_e32 v109, v10, v109
	v_rndne_f32_e32 v131, v15
	v_sub_f32_e32 v10, v14, v130
	v_rndne_f32_e32 v137, v18
	v_dual_fmac_f32 v5, 0x32a5705f, v54 :: v_dual_add_f32 v112, v7, v112
	v_fma_f32 v7, 0x3fb8aa3b, v105, -v16
	v_dual_add_f32 v113, v8, v113 :: v_dual_add_f32 v114, v9, v114
	v_fma_f32 v9, 0x3fb8aa3b, v107, -v18
	v_rndne_f32_e32 v133, v16
	v_fmac_f32_e32 v6, 0x32a5705f, v55
	v_dual_add_f32 v132, v10, v5 :: v_dual_sub_f32 v5, v15, v131
	v_exp_f32_e32 v110, v110
	v_fma_f32 v8, 0x3fb8aa3b, v106, -v17
	v_rndne_f32_e32 v135, v17
	s_delay_alu instid0(VALU_DEP_3)
	v_dual_fmac_f32 v7, 0x32a5705f, v105 :: v_dual_add_f32 v134, v5, v6
	v_dual_fmac_f32 v9, 0x32a5705f, v107 :: v_dual_sub_f32 v6, v18, v137
	v_rndne_f32_e32 v140, v19
	v_sub_f32_e32 v5, v16, v133
	v_exp_f32_e32 v10, v111
	v_nop
	v_cvt_i32_f32_e32 v111, v118
	v_fmac_f32_e32 v8, 0x32a5705f, v106
	v_cmp_ngt_f32_e32 vcc_lo, 0xc2ce8ed0, v22
	v_dual_add_f32 v139, v6, v9 :: v_dual_sub_f32 v6, v19, v140
	v_add_f32_e32 v136, v5, v7
	v_ldexp_f32 v110, v110, v111
	v_cmp_ngt_f32_e64 s16, 0xc2ce8ed0, v21
	v_sub_f32_e32 v5, v17, v135
	v_exp_f32_e32 v4, v4
	v_exp_f32_e32 v11, v112
	v_cvt_i32_f32_e32 v7, v117
	s_delay_alu instid0(VALU_DEP_2)
	v_dual_cndmask_b32 v110, 0, v110, s16 :: v_dual_add_f32 v138, v5, v8
	v_fma_f32 v5, 0x3fb8aa3b, v108, -v19
	v_exp_f32_e32 v14, v113
	v_exp_f32_e32 v15, v114
	v_cvt_i32_f32_e32 v8, v119
	v_cvt_i32_f32_e32 v9, v120
	v_fmac_f32_e32 v5, 0x32a5705f, v108
	v_exp_f32_e32 v18, v115
	v_exp_f32_e32 v19, v116
	v_cvt_i32_f32_e32 v12, v121
	v_cvt_i32_f32_e32 v13, v122
	;; [unrolled: 1-line block ×4, first 2 shown]
	v_add_f32_e32 v117, v6, v5
	v_ldexp_f32 v141, v4, v7
	global_load_b128 v[4:7], v[56:57], off
	s_wait_xcnt 0x0
	v_ldexp_f32 v56, v10, v8
	v_ldexp_f32 v57, v11, v9
	global_load_b128 v[8:11], v[58:59], off
	s_wait_xcnt 0x0
	v_ldexp_f32 v58, v14, v12
	;; [unrolled: 4-line block ×3, first 2 shown]
	v_ldexp_f32 v61, v19, v17
	global_load_b128 v[16:19], v[128:129], off
	v_cmp_ngt_f32_e64 s2, 0xc2ce8ed0, v23
	v_exp_f32_e32 v121, v125
	v_exp_f32_e32 v109, v109
	;; [unrolled: 1-line block ×4, first 2 shown]
	v_cvt_i32_f32_e32 v112, v126
	v_exp_f32_e32 v122, v132
	v_exp_f32_e32 v124, v136
	v_cmp_ngt_f32_e64 s4, 0xc2ce8ed0, v49
	v_cmp_nlt_f32_e64 s16, 0x42b17218, v21
	v_cndmask_b32_e32 v21, 0, v56, vcc_lo
	v_exp_f32_e32 v126, v139
	s_delay_alu instid0(VALU_DEP_3)
	v_dual_cndmask_b32 v56, 0, v57, s2 :: v_dual_cndmask_b32 v57, 0, v59, s4
	v_cmp_nlt_f32_e64 s2, 0x42b17218, v23
	v_cndmask_b32_e64 v23, 0, v58, s3
	v_exp_f32_e32 v117, v117
	v_cvt_i32_f32_e32 v113, v127
	v_cvt_i32_f32_e32 v115, v131
	;; [unrolled: 1-line block ×7, first 2 shown]
	v_cmp_ngt_f32_e64 s5, 0xc2ce8ed0, v50
	v_cmp_ngt_f32_e64 s6, 0xc2ce8ed0, v51
	v_ldexp_f32 v109, v109, v113
	v_ldexp_f32 v113, v123, v115
	v_cmp_ngt_f32_e64 s10, 0xc2ce8ed0, v55
	v_ldexp_f32 v115, v125, v118
	v_cmp_ngt_f32_e64 s12, 0xc2ce8ed0, v106
	;; [unrolled: 2-line block ×4, first 2 shown]
	v_ldexp_f32 v114, v124, v116
	v_ldexp_f32 v116, v126, v119
	v_cmp_ngt_f32_e64 s13, 0xc2ce8ed0, v107
	v_ldexp_f32 v117, v117, v120
	v_cmp_ngt_f32_e64 s14, 0xc2ce8ed0, v108
	v_cmp_nlt_f32_e32 vcc_lo, 0x42b17218, v22
	v_cmp_nlt_f32_e64 s3, 0x42b17218, v48
	v_cmp_nlt_f32_e64 s4, 0x42b17218, v49
	v_dual_cndmask_b32 v49, 0, v60, s5 :: v_dual_cndmask_b32 v58, 0, v61, s6
	v_cmp_nlt_f32_e64 s5, 0x42b17218, v50
	v_cmp_nlt_f32_e64 s6, 0x42b17218, v51
	v_cndmask_b32_e64 v60, 0, v113, s10
	v_cmp_nlt_f32_e64 s10, 0x42b17218, v55
	v_dual_cndmask_b32 v55, 0, v115, s12 :: v_dual_cndmask_b32 v61, 0, v116, s13
	v_cmp_nlt_f32_e64 s12, 0x42b17218, v106
	v_dual_cndmask_b32 v22, 0, v141, s7 :: v_dual_cndmask_b32 v106, 0, v112, s15
	v_cmp_nlt_f32_e64 s15, 0x42b17218, v20
	v_cndmask_b32_e64 v59, 0, v109, s8
	v_cmp_nlt_f32_e64 s8, 0x42b17218, v53
	v_cndmask_b32_e64 v53, 0, v111, s9
	;; [unrolled: 2-line block ×3, first 2 shown]
	v_cmp_nlt_f32_e64 s11, 0x42b17218, v105
	v_cmp_nlt_f32_e64 s13, 0x42b17218, v107
	v_cndmask_b32_e64 v105, 0, v117, s14
	v_cmp_nlt_f32_e64 s7, 0x42b17218, v108
	v_cmp_nlt_f32_e64 s14, 0x42b17218, v52
	v_cndmask_b32_e64 v20, 0x7f800000, v22, s15
	v_cndmask_b32_e32 v21, 0x7f800000, v21, vcc_lo
	v_cndmask_b32_e64 v22, 0x7f800000, v110, s16
	v_cndmask_b32_e64 v48, 0x7f800000, v23, s3
	;; [unrolled: 1-line block ×14, first 2 shown]
	v_cvt_pk_f16_f32 v61, v48, v49
	v_cvt_pk_f16_f32 v60, v20, v21
	;; [unrolled: 1-line block ×8, first 2 shown]
	ds_store_2addr_b64 v85, v[60:61], v[106:107] offset1:32
	ds_store_2addr_b64 v85, v[108:109], v[110:111] offset0:64 offset1:96
	s_wait_loadcnt 0x3
	ds_store_b128 v79, v[4:7]
	s_wait_loadcnt 0x2
	ds_store_b128 v82, v[8:11]
	;; [unrolled: 2-line block ×4, first 2 shown]
	s_wait_dscnt 0x0
	s_barrier_signal -1
	s_barrier_wait -1
	ds_load_b128 v[8:11], v81
	ds_load_b128 v[4:7], v81 offset:16
	ds_load_b128 v[12:15], v81 offset:32
	;; [unrolled: 1-line block ×4, first 2 shown]
	s_wait_dscnt 0x3
	v_dual_lshrrev_b32 v61, 16, v9 :: v_dual_lshrrev_b32 v115, 16, v4
	v_dual_lshrrev_b32 v116, 16, v5 :: v_dual_lshrrev_b32 v119, 16, v6
	v_and_b32_e32 v117, 0xffff, v4
	v_and_b32_e32 v118, 0xffff, v5
	v_lshrrev_b32_e32 v120, 16, v7
	v_and_b32_e32 v121, 0xffff, v6
	v_and_b32_e32 v122, 0xffff, v7
	ds_load_b128 v[4:7], v81 offset:80
	v_lshrrev_b32_e32 v60, 16, v8
	v_and_b32_e32 v105, 0xffff, v8
	v_and_b32_e32 v110, 0xffff, v9
	v_dual_lshrrev_b32 v111, 16, v10 :: v_dual_lshrrev_b32 v112, 16, v11
	v_and_b32_e32 v113, 0xffff, v10
	v_and_b32_e32 v114, 0xffff, v11
	s_wait_dscnt 0x3
	v_dual_lshrrev_b32 v123, 16, v12 :: v_dual_lshrrev_b32 v124, 16, v13
	v_and_b32_e32 v125, 0xffff, v12
	v_and_b32_e32 v126, 0xffff, v13
	v_dual_lshrrev_b32 v127, 16, v14 :: v_dual_lshrrev_b32 v128, 16, v15
	v_and_b32_e32 v129, 0xffff, v14
	v_and_b32_e32 v130, 0xffff, v15
	v_mul_u32_u24_e32 v15, 0x10001, v60
	s_wait_dscnt 0x2
	v_dual_lshrrev_b32 v131, 16, v16 :: v_dual_lshrrev_b32 v132, 16, v17
	v_and_b32_e32 v16, 0xffff, v16
	s_wait_dscnt 0x0
	v_dual_lshrrev_b32 v139, 16, v4 :: v_dual_lshrrev_b32 v140, 16, v5
	v_and_b32_e32 v141, 0xffff, v4
	v_and_b32_e32 v142, 0xffff, v5
	v_dual_lshrrev_b32 v143, 16, v6 :: v_dual_lshrrev_b32 v144, 16, v7
	v_and_b32_e32 v145, 0xffff, v6
	v_and_b32_e32 v146, 0xffff, v7
	ds_load_b128 v[4:7], v81 offset:96
	ds_load_b128 v[8:11], v81 offset:112
	v_and_b32_e32 v17, 0xffff, v17
	v_dual_lshrrev_b32 v133, 16, v18 :: v_dual_lshrrev_b32 v134, 16, v19
	v_and_b32_e32 v18, 0xffff, v18
	v_mul_u32_u24_e32 v16, 0x10001, v16
	v_and_b32_e32 v19, 0xffff, v19
	v_mul_u32_u24_e32 v17, 0x10001, v17
	v_dual_lshrrev_b32 v135, 16, v106 :: v_dual_lshrrev_b32 v136, 16, v107
	v_mul_u32_u24_e32 v18, 0x10001, v18
	s_delay_alu instid0(VALU_DEP_4)
	v_mul_u32_u24_e32 v19, 0x10001, v19
	v_and_b32_e32 v106, 0xffff, v106
	v_and_b32_e32 v107, 0xffff, v107
	v_dual_lshrrev_b32 v137, 16, v108 :: v_dual_lshrrev_b32 v138, 16, v109
	v_and_b32_e32 v108, 0xffff, v108
	v_and_b32_e32 v109, 0xffff, v109
	s_wait_dscnt 0x1
	v_dual_lshrrev_b32 v147, 16, v4 :: v_dual_lshrrev_b32 v148, 16, v5
	s_wait_dscnt 0x0
	v_dual_lshrrev_b32 v155, 16, v8 :: v_dual_lshrrev_b32 v156, 16, v9
	v_and_b32_e32 v157, 0xffff, v8
	v_sub_f32_e32 v8, v104, v3
	v_and_b32_e32 v158, 0xffff, v9
	v_dual_lshrrev_b32 v159, 16, v10 :: v_dual_lshrrev_b32 v160, 16, v11
	v_and_b32_e32 v161, 0xffff, v10
	s_delay_alu instid0(VALU_DEP_4)
	v_mul_f32_e32 v9, 0x3fb8aa3b, v8
	v_and_b32_e32 v162, 0xffff, v11
	v_and_b32_e32 v149, 0xffff, v4
	;; [unrolled: 1-line block ×3, first 2 shown]
	v_pk_add_f32 v[4:5], v[48:49], v[50:51]
	v_fma_f32 v10, 0x3fb8aa3b, v8, -v9
	v_rndne_f32_e32 v11, v9
	v_dual_lshrrev_b32 v151, 16, v6 :: v_dual_lshrrev_b32 v152, 16, v7
	s_delay_alu instid0(VALU_DEP_4) | instskip(NEXT) | instid1(VALU_DEP_3)
	v_pk_add_f32 v[4:5], v[56:57], v[4:5]
	v_dual_fmac_f32 v10, 0x32a5705f, v8 :: v_dual_sub_f32 v9, v9, v11
	v_cvt_i32_f32_e32 v11, v11
	v_and_b32_e32 v153, 0xffff, v6
	s_delay_alu instid0(VALU_DEP_4)
	v_pk_add_f32 v[4:5], v[54:55], v[4:5]
	v_and_b32_e32 v154, 0xffff, v7
	v_add_f32_e32 v9, v9, v10
	v_sub_f32_e32 v10, v103, v2
	v_cmp_ngt_f32_e32 vcc_lo, 0xc2ce8ed0, v8
	v_pk_add_f32 v[6:7], v[20:21], v[22:23]
	v_mul_u32_u24_e32 v21, 0x10001, v110
	v_exp_f32_e32 v9, v9
	v_cmp_ngt_f32_e64 s2, 0xc2ce8ed0, v10
	v_mul_u32_u24_e32 v23, 0x10001, v61
	v_pk_add_f32 v[6:7], v[52:53], v[6:7]
	v_mul_u32_u24_e32 v49, 0x10001, v120
	v_mul_u32_u24_e32 v50, 0x10001, v121
	;; [unrolled: 1-line block ×3, first 2 shown]
	v_ldexp_f32 v9, v9, v11
	v_mul_f32_e32 v12, 0x3fb8aa3b, v10
	v_pk_add_f32 v[6:7], v[58:59], v[6:7]
	s_delay_alu instid0(VALU_DEP_3) | instskip(NEXT) | instid1(VALU_DEP_3)
	v_cndmask_b32_e32 v9, 0, v9, vcc_lo
	v_fma_f32 v13, 0x3fb8aa3b, v10, -v12
	v_rndne_f32_e32 v14, v12
	v_cmp_nlt_f32_e32 vcc_lo, 0x42b17218, v8
	s_delay_alu instid0(VALU_DEP_3) | instskip(NEXT) | instid1(VALU_DEP_3)
	v_fmac_f32_e32 v13, 0x32a5705f, v10
	v_sub_f32_e32 v12, v12, v14
	v_cvt_i32_f32_e32 v11, v14
	v_cndmask_b32_e32 v9, 0x7f800000, v9, vcc_lo
	s_delay_alu instid0(VALU_DEP_3) | instskip(NEXT) | instid1(VALU_DEP_1)
	v_add_f32_e32 v12, v12, v13
	v_exp_f32_e32 v12, v12
	v_nop
	s_delay_alu instid0(TRANS32_DEP_1) | instskip(NEXT) | instid1(VALU_DEP_1)
	v_ldexp_f32 v11, v12, v11
	v_cndmask_b32_e64 v8, 0, v11, s2
	v_cmp_nlt_f32_e64 s2, 0x42b17218, v10
	s_delay_alu instid0(VALU_DEP_1) | instskip(NEXT) | instid1(VALU_DEP_1)
	v_cndmask_b32_e64 v8, 0x7f800000, v8, s2
	v_pk_fma_f32 v[26:27], v[26:27], v[8:9], v[4:5]
	v_sub_f32_e32 v4, v102, v1
	v_cvt_f16_f32_e32 v8, v8
	s_delay_alu instid0(VALU_DEP_2) | instskip(SKIP_1) | instid1(VALU_DEP_3)
	v_mul_f32_e32 v5, 0x3fb8aa3b, v4
	v_cmp_ngt_f32_e32 vcc_lo, 0xc2ce8ed0, v4
	v_and_b32_e32 v8, 0xffff, v8
	s_delay_alu instid0(VALU_DEP_3) | instskip(SKIP_1) | instid1(VALU_DEP_3)
	v_fma_f32 v10, 0x3fb8aa3b, v4, -v5
	v_rndne_f32_e32 v11, v5
	v_mul_u32_u24_e32 v8, 0x10001, v8
	s_delay_alu instid0(VALU_DEP_2) | instskip(SKIP_1) | instid1(VALU_DEP_2)
	v_dual_fmac_f32 v10, 0x32a5705f, v4 :: v_dual_sub_f32 v5, v5, v11
	v_cvt_i32_f32_e32 v11, v11
	v_add_f32_e32 v5, v5, v10
	v_sub_f32_e32 v10, v101, v0
	s_delay_alu instid0(VALU_DEP_1) | instskip(NEXT) | instid1(VALU_DEP_3)
	v_mul_f32_e32 v12, 0x3fb8aa3b, v10
	v_exp_f32_e32 v5, v5
	v_cmp_ngt_f32_e64 s2, 0xc2ce8ed0, v10
	s_delay_alu instid0(VALU_DEP_2) | instskip(SKIP_1) | instid1(TRANS32_DEP_1)
	v_fma_f32 v13, 0x3fb8aa3b, v10, -v12
	v_rndne_f32_e32 v14, v12
	v_ldexp_f32 v5, v5, v11
	s_delay_alu instid0(VALU_DEP_3) | instskip(NEXT) | instid1(VALU_DEP_3)
	v_fmac_f32_e32 v13, 0x32a5705f, v10
	v_sub_f32_e32 v12, v12, v14
	v_cvt_i32_f32_e32 v11, v14
	s_delay_alu instid0(VALU_DEP_4) | instskip(SKIP_1) | instid1(VALU_DEP_4)
	v_cndmask_b32_e32 v5, 0, v5, vcc_lo
	v_cmp_nlt_f32_e32 vcc_lo, 0x42b17218, v4
	v_add_f32_e32 v12, v12, v13
	v_mul_u32_u24_e32 v13, 0x10001, v105
	s_delay_alu instid0(VALU_DEP_4) | instskip(NEXT) | instid1(VALU_DEP_3)
	v_cndmask_b32_e32 v5, 0x7f800000, v5, vcc_lo
	v_exp_f32_e32 v12, v12
	v_nop
	s_delay_alu instid0(TRANS32_DEP_1) | instskip(NEXT) | instid1(VALU_DEP_1)
	v_ldexp_f32 v11, v12, v11
	v_cndmask_b32_e64 v4, 0, v11, s2
	v_cmp_nlt_f32_e64 s2, 0x42b17218, v10
	v_cvt_f16_f32_e32 v10, v5
	s_delay_alu instid0(VALU_DEP_2) | instskip(NEXT) | instid1(VALU_DEP_2)
	v_cndmask_b32_e64 v4, 0x7f800000, v4, s2
	v_and_b32_e32 v10, 0xffff, v10
	s_or_b32 s2, s18, 64
	s_delay_alu instid0(SALU_CYCLE_1) | instskip(NEXT) | instid1(VALU_DEP_2)
	s_ashr_i32 s3, s2, 31
	v_pk_fma_f32 v[28:29], v[28:29], v[4:5], v[6:7]
	v_cvt_f16_f32_e32 v5, v9
	v_cvt_f16_f32_e32 v4, v4
	v_mul_u32_u24_e32 v10, 0x10001, v10
	s_mul_u64 s[2:3], s[2:3], s[22:23]
	s_delay_alu instid0(VALU_DEP_3) | instskip(NEXT) | instid1(VALU_DEP_3)
	v_and_b32_e32 v5, 0xffff, v5
	v_and_b32_e32 v4, 0xffff, v4
	s_lshl_b64 s[2:3], s[2:3], 2
	s_delay_alu instid0(SALU_CYCLE_1) | instskip(NEXT) | instid1(VALU_DEP_2)
	s_add_nc_u64 s[2:3], s[44:45], s[2:3]
	v_mul_u32_u24_e32 v5, 0x10001, v5
	s_delay_alu instid0(VALU_DEP_2) | instskip(NEXT) | instid1(VALU_DEP_2)
	v_mul_u32_u24_e32 v12, 0x10001, v4
	v_pk_mul_f16 v9, v93, v5
	v_pk_mul_f16 v11, v94, v5
	ds_load_2addr_b64 v[4:7], v65 offset1:32
	s_wait_dscnt 0x0
	v_pk_mul_f16 v14, v4, v13
	v_pk_mul_f16 v20, v4, v15
	;; [unrolled: 1-line block ×3, first 2 shown]
	v_pk_fma_f16 v4, v4, v23, v9
	v_pk_fma_f16 v9, v5, v23, v11
	;; [unrolled: 1-line block ×3, first 2 shown]
	v_pk_mul_f16 v12, v100, v12
	v_pk_fma_f16 v20, v98, v10, v20
	v_pk_mul_f16 v10, v97, v10
	v_pk_fma_f16 v22, v96, v8, v22
	v_pk_mul_f16 v8, v95, v8
	v_pk_fma_f16 v11, v5, v13, v12
	s_delay_alu instid0(VALU_DEP_4) | instskip(NEXT) | instid1(VALU_DEP_3)
	v_pk_fma_f16 v10, v5, v15, v10
	v_pk_fma_f16 v5, v5, v21, v8
	v_mul_u32_u24_e32 v8, 0x10001, v112
	v_mul_u32_u24_e32 v21, 0x10001, v117
	s_delay_alu instid0(VALU_DEP_2) | instskip(SKIP_2) | instid1(VALU_DEP_2)
	v_pk_fma_f16 v12, v6, v8, v4
	v_mul_u32_u24_e32 v4, 0x10001, v113
	v_pk_fma_f16 v8, v7, v8, v9
	v_pk_fma_f16 v9, v7, v4, v11
	;; [unrolled: 1-line block ×3, first 2 shown]
	v_mul_u32_u24_e32 v4, 0x10001, v111
	s_delay_alu instid0(VALU_DEP_1) | instskip(SKIP_3) | instid1(VALU_DEP_2)
	v_pk_fma_f16 v10, v7, v4, v10
	v_pk_fma_f16 v13, v6, v4, v20
	v_mul_u32_u24_e32 v4, 0x10001, v114
	v_mul_u32_u24_e32 v20, 0x10001, v116
	v_pk_fma_f16 v14, v7, v4, v5
	v_pk_fma_f16 v15, v6, v4, v22
	ds_load_2addr_b64 v[4:7], v65 offset0:64 offset1:96
	v_mul_u32_u24_e32 v22, 0x10001, v115
	s_wait_dscnt 0x0
	v_pk_fma_f16 v12, v4, v20, v12
	v_pk_fma_f16 v23, v5, v21, v9
	s_delay_alu instid0(VALU_DEP_3)
	v_pk_fma_f16 v48, v5, v22, v10
	v_pk_fma_f16 v20, v5, v20, v8
	;; [unrolled: 1-line block ×4, first 2 shown]
	v_mul_u32_u24_e32 v22, 0x10001, v118
	ds_load_b128 v[8:11], v81 offset:128
	v_pk_fma_f16 v20, v7, v49, v20
	v_pk_fma_f16 v23, v7, v50, v23
	;; [unrolled: 1-line block ×7, first 2 shown]
	ds_load_b128 v[12:15], v81 offset:144
	v_mul_u32_u24_e32 v50, 0x10001, v122
	v_pk_fma_f16 v48, v7, v51, v48
	s_delay_alu instid0(VALU_DEP_2)
	v_pk_fma_f16 v51, v7, v50, v5
	v_pk_fma_f16 v50, v6, v50, v4
	ds_load_2addr_b64 v[4:7], v65 offset0:128 offset1:160
	s_wait_dscnt 0x2
	v_lshrrev_b32_e32 v52, 16, v8
	v_and_b32_e32 v54, 0xffff, v8
	v_lshrrev_b32_e32 v56, 16, v10
	v_and_b32_e32 v58, 0xffff, v10
	v_mul_u32_u24_e32 v8, 0x10001, v124
	v_mul_u32_u24_e32 v10, 0x10001, v125
	v_dual_lshrrev_b32 v53, 16, v9 :: v_dual_lshrrev_b32 v57, 16, v11
	s_wait_dscnt 0x1
	v_dual_lshrrev_b32 v60, 16, v12 :: v_dual_lshrrev_b32 v61, 16, v13
	v_and_b32_e32 v93, 0xffff, v12
	v_dual_lshrrev_b32 v95, 16, v14 :: v_dual_lshrrev_b32 v96, 16, v15
	v_and_b32_e32 v97, 0xffff, v14
	v_mul_u32_u24_e32 v12, 0x10001, v123
	v_mul_u32_u24_e32 v14, 0x10001, v126
	v_and_b32_e32 v55, 0xffff, v9
	v_and_b32_e32 v59, 0xffff, v11
	;; [unrolled: 1-line block ×3, first 2 shown]
	s_wait_dscnt 0x0
	v_pk_fma_f16 v9, v4, v8, v22
	v_pk_fma_f16 v8, v5, v8, v20
	;; [unrolled: 1-line block ×8, first 2 shown]
	v_mul_u32_u24_e32 v14, 0x10001, v128
	v_and_b32_e32 v98, 0xffff, v15
	v_mul_u32_u24_e32 v20, 0x10001, v132
	v_mul_u32_u24_e32 v21, 0x10001, v131
	;; [unrolled: 1-line block ×3, first 2 shown]
	v_pk_fma_f16 v9, v6, v14, v9
	v_pk_fma_f16 v8, v7, v14, v8
	v_mul_u32_u24_e32 v14, 0x10001, v129
	s_delay_alu instid0(VALU_DEP_1) | instskip(SKIP_2) | instid1(VALU_DEP_1)
	v_pk_fma_f16 v11, v7, v14, v11
	v_pk_fma_f16 v10, v6, v14, v10
	v_mul_u32_u24_e32 v14, 0x10001, v127
	v_pk_fma_f16 v13, v7, v14, v13
	v_pk_fma_f16 v12, v6, v14, v12
	v_mul_u32_u24_e32 v14, 0x10001, v130
	s_delay_alu instid0(VALU_DEP_1)
	v_pk_fma_f16 v15, v7, v14, v5
	v_pk_fma_f16 v14, v6, v14, v4
	ds_load_2addr_b64 v[4:7], v65 offset0:192 offset1:224
	s_wait_dscnt 0x0
	v_pk_fma_f16 v22, v4, v20, v9
	v_pk_fma_f16 v23, v5, v16, v11
	;; [unrolled: 1-line block ×6, first 2 shown]
	v_mul_u32_u24_e32 v21, 0x10001, v134
	ds_load_b128 v[8:11], v81 offset:160
	v_pk_fma_f16 v5, v5, v17, v15
	v_pk_fma_f16 v4, v4, v17, v14
	;; [unrolled: 1-line block ×8, first 2 shown]
	ds_load_b128 v[12:15], v81 offset:176
	v_pk_fma_f16 v23, v7, v19, v5
	v_pk_fma_f16 v19, v6, v19, v4
	ds_load_2addr_b64 v[4:7], v86 offset1:32
	s_wait_dscnt 0x2
	v_dual_lshrrev_b32 v48, 16, v8 :: v_dual_lshrrev_b32 v49, 16, v9
	v_and_b32_e32 v50, 0xffff, v8
	v_dual_lshrrev_b32 v99, 16, v10 :: v_dual_lshrrev_b32 v100, 16, v11
	v_and_b32_e32 v101, 0xffff, v10
	v_mul_u32_u24_e32 v8, 0x10001, v136
	v_mul_u32_u24_e32 v10, 0x10001, v106
	v_and_b32_e32 v51, 0xffff, v9
	s_wait_dscnt 0x1
	v_dual_lshrrev_b32 v103, 16, v12 :: v_dual_lshrrev_b32 v104, 16, v13
	v_and_b32_e32 v105, 0xffff, v12
	v_dual_lshrrev_b32 v111, 16, v14 :: v_dual_lshrrev_b32 v112, 16, v15
	v_and_b32_e32 v113, 0xffff, v14
	v_mul_u32_u24_e32 v12, 0x10001, v135
	v_mul_u32_u24_e32 v14, 0x10001, v107
	v_and_b32_e32 v102, 0xffff, v11
	v_and_b32_e32 v110, 0xffff, v13
	s_wait_dscnt 0x0
	v_pk_fma_f16 v9, v4, v8, v17
	v_pk_fma_f16 v8, v5, v8, v20
	v_pk_fma_f16 v11, v5, v10, v21
	v_pk_fma_f16 v10, v4, v10, v16
	v_pk_fma_f16 v13, v5, v12, v22
	v_pk_fma_f16 v12, v4, v12, v18
	v_pk_fma_f16 v5, v5, v14, v23
	v_pk_fma_f16 v4, v4, v14, v19
	v_mul_u32_u24_e32 v14, 0x10001, v138
	v_and_b32_e32 v114, 0xffff, v15
	v_mul_u32_u24_e32 v16, 0x10001, v140
	v_mul_u32_u24_e32 v17, 0x10001, v141
	;; [unrolled: 1-line block ×3, first 2 shown]
	v_pk_fma_f16 v9, v6, v14, v9
	v_pk_fma_f16 v8, v7, v14, v8
	v_mul_u32_u24_e32 v14, 0x10001, v108
	v_mul_u32_u24_e32 v21, 0x10001, v144
	;; [unrolled: 1-line block ×4, first 2 shown]
	s_delay_alu instid0(VALU_DEP_4) | instskip(SKIP_2) | instid1(VALU_DEP_1)
	v_pk_fma_f16 v11, v7, v14, v11
	v_pk_fma_f16 v10, v6, v14, v10
	v_mul_u32_u24_e32 v14, 0x10001, v137
	v_pk_fma_f16 v13, v7, v14, v13
	v_pk_fma_f16 v12, v6, v14, v12
	v_mul_u32_u24_e32 v14, 0x10001, v109
	s_delay_alu instid0(VALU_DEP_1)
	v_pk_fma_f16 v15, v7, v14, v5
	v_pk_fma_f16 v14, v6, v14, v4
	ds_load_2addr_b64 v[4:7], v86 offset0:64 offset1:96
	s_wait_dscnt 0x0
	v_pk_fma_f16 v19, v4, v16, v9
	v_pk_fma_f16 v20, v5, v17, v11
	;; [unrolled: 1-line block ×6, first 2 shown]
	v_mul_u32_u24_e32 v18, 0x10001, v142
	ds_load_b128 v[8:11], v81 offset:192
	v_pk_fma_f16 v16, v7, v21, v16
	v_pk_fma_f16 v17, v6, v22, v17
	;; [unrolled: 1-line block ×8, first 2 shown]
	ds_load_b128 v[12:15], v81 offset:208
	v_mul_u32_u24_e32 v22, 0x10001, v146
	s_delay_alu instid0(VALU_DEP_1)
	v_pk_fma_f16 v23, v7, v22, v5
	v_pk_fma_f16 v22, v6, v22, v4
	ds_load_2addr_b64 v[4:7], v86 offset0:128 offset1:160
	s_wait_dscnt 0x2
	v_dual_lshrrev_b32 v106, 16, v8 :: v_dual_lshrrev_b32 v107, 16, v9
	v_and_b32_e32 v108, 0xffff, v8
	v_dual_lshrrev_b32 v115, 16, v10 :: v_dual_lshrrev_b32 v116, 16, v11
	v_and_b32_e32 v117, 0xffff, v10
	v_mul_u32_u24_e32 v8, 0x10001, v148
	v_mul_u32_u24_e32 v10, 0x10001, v149
	v_and_b32_e32 v109, 0xffff, v9
	v_and_b32_e32 v118, 0xffff, v11
	s_wait_dscnt 0x1
	v_dual_lshrrev_b32 v119, 16, v12 :: v_dual_lshrrev_b32 v120, 16, v13
	v_and_b32_e32 v121, 0xffff, v12
	v_dual_lshrrev_b32 v123, 16, v14 :: v_dual_lshrrev_b32 v124, 16, v15
	v_and_b32_e32 v125, 0xffff, v14
	v_mul_u32_u24_e32 v12, 0x10001, v147
	v_mul_u32_u24_e32 v14, 0x10001, v150
	v_and_b32_e32 v122, 0xffff, v13
	s_wait_dscnt 0x0
	v_pk_fma_f16 v9, v4, v8, v18
	v_pk_fma_f16 v8, v5, v8, v16
	;; [unrolled: 1-line block ×8, first 2 shown]
	v_mul_u32_u24_e32 v14, 0x10001, v152
	v_and_b32_e32 v126, 0xffff, v15
	v_mul_u32_u24_e32 v16, 0x10001, v156
	v_mul_u32_u24_e32 v17, 0x10001, v157
	;; [unrolled: 1-line block ×3, first 2 shown]
	v_pk_fma_f16 v9, v6, v14, v9
	v_pk_fma_f16 v8, v7, v14, v8
	v_mul_u32_u24_e32 v14, 0x10001, v153
	v_mul_u32_u24_e32 v21, 0x10001, v160
	;; [unrolled: 1-line block ×4, first 2 shown]
	s_delay_alu instid0(VALU_DEP_4) | instskip(SKIP_2) | instid1(VALU_DEP_1)
	v_pk_fma_f16 v11, v7, v14, v11
	v_pk_fma_f16 v10, v6, v14, v10
	v_mul_u32_u24_e32 v14, 0x10001, v151
	v_pk_fma_f16 v13, v7, v14, v13
	v_pk_fma_f16 v12, v6, v14, v12
	v_mul_u32_u24_e32 v14, 0x10001, v154
	s_delay_alu instid0(VALU_DEP_1)
	v_pk_fma_f16 v15, v7, v14, v5
	v_pk_fma_f16 v14, v6, v14, v4
	ds_load_2addr_b64 v[4:7], v86 offset0:192 offset1:224
	s_wait_dscnt 0x0
	v_pk_fma_f16 v19, v4, v16, v9
	v_pk_fma_f16 v20, v5, v17, v11
	;; [unrolled: 1-line block ×6, first 2 shown]
	v_mul_u32_u24_e32 v18, 0x10001, v158
	ds_load_b128 v[8:11], v81 offset:224
	v_pk_fma_f16 v16, v7, v21, v16
	v_pk_fma_f16 v17, v6, v22, v17
	;; [unrolled: 1-line block ×8, first 2 shown]
	ds_load_b128 v[12:15], v81 offset:240
	v_mul_u32_u24_e32 v22, 0x10001, v162
	s_delay_alu instid0(VALU_DEP_1)
	v_pk_fma_f16 v23, v7, v22, v5
	v_pk_fma_f16 v22, v6, v22, v4
	ds_load_2addr_b64 v[4:7], v87 offset1:32
	s_wait_dscnt 0x2
	v_dual_lshrrev_b32 v127, 16, v8 :: v_dual_lshrrev_b32 v128, 16, v9
	v_and_b32_e32 v129, 0xffff, v8
	v_dual_lshrrev_b32 v131, 16, v10 :: v_dual_lshrrev_b32 v132, 16, v11
	v_and_b32_e32 v133, 0xffff, v10
	v_mul_u32_u24_e32 v8, 0x10001, v53
	v_mul_u32_u24_e32 v10, 0x10001, v54
	v_and_b32_e32 v130, 0xffff, v9
	v_and_b32_e32 v134, 0xffff, v11
	s_wait_dscnt 0x1
	v_dual_lshrrev_b32 v135, 16, v12 :: v_dual_lshrrev_b32 v136, 16, v13
	v_and_b32_e32 v137, 0xffff, v12
	v_dual_lshrrev_b32 v139, 16, v14 :: v_dual_lshrrev_b32 v140, 16, v15
	v_and_b32_e32 v141, 0xffff, v14
	v_mul_u32_u24_e32 v12, 0x10001, v52
	v_mul_u32_u24_e32 v14, 0x10001, v55
	v_and_b32_e32 v138, 0xffff, v13
	s_wait_dscnt 0x0
	v_pk_fma_f16 v9, v4, v8, v18
	v_pk_fma_f16 v8, v5, v8, v16
	v_pk_fma_f16 v11, v5, v10, v19
	v_pk_fma_f16 v10, v4, v10, v17
	v_pk_fma_f16 v13, v5, v12, v20
	v_pk_fma_f16 v12, v4, v12, v21
	v_pk_fma_f16 v5, v5, v14, v23
	v_pk_fma_f16 v4, v4, v14, v22
	v_mul_u32_u24_e32 v14, 0x10001, v57
	v_and_b32_e32 v142, 0xffff, v15
	v_mul_u32_u24_e32 v16, 0x10001, v61
	v_mul_u32_u24_e32 v17, 0x10001, v93
	v_mul_u32_u24_e32 v18, 0x10001, v60
	v_pk_fma_f16 v9, v6, v14, v9
	v_pk_fma_f16 v8, v7, v14, v8
	v_mul_u32_u24_e32 v14, 0x10001, v58
	v_mul_u32_u24_e32 v21, 0x10001, v96
	;; [unrolled: 1-line block ×4, first 2 shown]
	s_delay_alu instid0(VALU_DEP_4) | instskip(SKIP_2) | instid1(VALU_DEP_1)
	v_pk_fma_f16 v11, v7, v14, v11
	v_pk_fma_f16 v10, v6, v14, v10
	v_mul_u32_u24_e32 v14, 0x10001, v56
	v_pk_fma_f16 v13, v7, v14, v13
	v_pk_fma_f16 v12, v6, v14, v12
	v_mul_u32_u24_e32 v14, 0x10001, v59
	s_delay_alu instid0(VALU_DEP_1)
	v_pk_fma_f16 v15, v7, v14, v5
	v_pk_fma_f16 v14, v6, v14, v4
	ds_load_2addr_b64 v[4:7], v87 offset0:64 offset1:96
	s_wait_dscnt 0x0
	v_pk_fma_f16 v19, v4, v16, v9
	v_pk_fma_f16 v20, v5, v17, v11
	;; [unrolled: 1-line block ×6, first 2 shown]
	v_mul_u32_u24_e32 v18, 0x10001, v94
	ds_load_b128 v[8:11], v81 offset:256
	v_pk_fma_f16 v16, v7, v21, v16
	v_pk_fma_f16 v17, v6, v22, v17
	;; [unrolled: 1-line block ×8, first 2 shown]
	ds_load_b128 v[12:15], v81 offset:272
	v_mul_u32_u24_e32 v22, 0x10001, v98
	s_delay_alu instid0(VALU_DEP_1)
	v_pk_fma_f16 v23, v7, v22, v5
	v_pk_fma_f16 v22, v6, v22, v4
	ds_load_2addr_b64 v[4:7], v87 offset0:128 offset1:160
	s_wait_dscnt 0x2
	v_dual_lshrrev_b32 v52, 16, v8 :: v_dual_lshrrev_b32 v53, 16, v9
	v_and_b32_e32 v54, 0xffff, v8
	v_dual_lshrrev_b32 v56, 16, v10 :: v_dual_lshrrev_b32 v57, 16, v11
	v_and_b32_e32 v58, 0xffff, v10
	v_mul_u32_u24_e32 v8, 0x10001, v49
	v_mul_u32_u24_e32 v10, 0x10001, v50
	v_and_b32_e32 v55, 0xffff, v9
	v_and_b32_e32 v59, 0xffff, v11
	s_wait_dscnt 0x1
	v_dual_lshrrev_b32 v60, 16, v12 :: v_dual_lshrrev_b32 v61, 16, v13
	v_and_b32_e32 v93, 0xffff, v12
	v_dual_lshrrev_b32 v95, 16, v14 :: v_dual_lshrrev_b32 v96, 16, v15
	v_and_b32_e32 v97, 0xffff, v14
	v_mul_u32_u24_e32 v12, 0x10001, v48
	v_mul_u32_u24_e32 v14, 0x10001, v51
	v_and_b32_e32 v94, 0xffff, v13
	s_wait_dscnt 0x0
	v_pk_fma_f16 v9, v4, v8, v18
	v_pk_fma_f16 v8, v5, v8, v16
	;; [unrolled: 1-line block ×8, first 2 shown]
	v_mul_u32_u24_e32 v14, 0x10001, v100
	v_and_b32_e32 v98, 0xffff, v15
	v_mul_u32_u24_e32 v16, 0x10001, v104
	v_mul_u32_u24_e32 v17, 0x10001, v105
	;; [unrolled: 1-line block ×3, first 2 shown]
	v_pk_fma_f16 v9, v6, v14, v9
	v_pk_fma_f16 v8, v7, v14, v8
	v_mul_u32_u24_e32 v14, 0x10001, v101
	v_mul_u32_u24_e32 v21, 0x10001, v112
	v_mul_u32_u24_e32 v22, 0x10001, v113
	v_mul_u32_u24_e32 v23, 0x10001, v111
	s_delay_alu instid0(VALU_DEP_4) | instskip(SKIP_2) | instid1(VALU_DEP_1)
	v_pk_fma_f16 v11, v7, v14, v11
	v_pk_fma_f16 v10, v6, v14, v10
	v_mul_u32_u24_e32 v14, 0x10001, v99
	v_pk_fma_f16 v13, v7, v14, v13
	v_pk_fma_f16 v12, v6, v14, v12
	v_mul_u32_u24_e32 v14, 0x10001, v102
	s_delay_alu instid0(VALU_DEP_1)
	v_pk_fma_f16 v15, v7, v14, v5
	v_pk_fma_f16 v14, v6, v14, v4
	ds_load_2addr_b64 v[4:7], v87 offset0:192 offset1:224
	s_wait_dscnt 0x0
	v_pk_fma_f16 v19, v4, v16, v9
	v_pk_fma_f16 v20, v5, v17, v11
	;; [unrolled: 1-line block ×6, first 2 shown]
	v_mul_u32_u24_e32 v18, 0x10001, v110
	ds_load_b128 v[8:11], v81 offset:288
	v_pk_fma_f16 v16, v7, v21, v16
	v_pk_fma_f16 v17, v6, v22, v17
	v_pk_fma_f16 v5, v5, v18, v15
	v_pk_fma_f16 v4, v4, v18, v14
	v_pk_fma_f16 v18, v6, v21, v19
	v_pk_fma_f16 v19, v7, v22, v20
	v_pk_fma_f16 v20, v7, v23, v13
	v_pk_fma_f16 v21, v6, v23, v12
	ds_load_b128 v[12:15], v81 offset:304
	v_mul_u32_u24_e32 v22, 0x10001, v114
	s_delay_alu instid0(VALU_DEP_1)
	v_pk_fma_f16 v23, v7, v22, v5
	v_pk_fma_f16 v22, v6, v22, v4
	ds_load_2addr_b64 v[4:7], v88 offset1:32
	s_wait_dscnt 0x2
	v_dual_lshrrev_b32 v48, 16, v8 :: v_dual_lshrrev_b32 v49, 16, v9
	v_and_b32_e32 v50, 0xffff, v8
	v_dual_lshrrev_b32 v99, 16, v10 :: v_dual_lshrrev_b32 v100, 16, v11
	v_and_b32_e32 v101, 0xffff, v10
	v_mul_u32_u24_e32 v8, 0x10001, v107
	v_mul_u32_u24_e32 v10, 0x10001, v108
	v_and_b32_e32 v51, 0xffff, v9
	v_and_b32_e32 v102, 0xffff, v11
	s_wait_dscnt 0x1
	v_dual_lshrrev_b32 v103, 16, v12 :: v_dual_lshrrev_b32 v104, 16, v13
	v_and_b32_e32 v105, 0xffff, v12
	v_dual_lshrrev_b32 v111, 16, v14 :: v_dual_lshrrev_b32 v112, 16, v15
	v_and_b32_e32 v113, 0xffff, v14
	v_mul_u32_u24_e32 v12, 0x10001, v106
	v_mul_u32_u24_e32 v14, 0x10001, v109
	v_and_b32_e32 v110, 0xffff, v13
	s_wait_dscnt 0x0
	v_pk_fma_f16 v9, v4, v8, v18
	v_pk_fma_f16 v8, v5, v8, v16
	;; [unrolled: 1-line block ×8, first 2 shown]
	v_mul_u32_u24_e32 v14, 0x10001, v116
	v_and_b32_e32 v114, 0xffff, v15
	v_mul_u32_u24_e32 v16, 0x10001, v120
	v_mul_u32_u24_e32 v17, 0x10001, v121
	;; [unrolled: 1-line block ×3, first 2 shown]
	v_pk_fma_f16 v9, v6, v14, v9
	v_pk_fma_f16 v8, v7, v14, v8
	v_mul_u32_u24_e32 v14, 0x10001, v117
	v_mul_u32_u24_e32 v21, 0x10001, v124
	;; [unrolled: 1-line block ×4, first 2 shown]
	s_delay_alu instid0(VALU_DEP_4) | instskip(SKIP_2) | instid1(VALU_DEP_1)
	v_pk_fma_f16 v11, v7, v14, v11
	v_pk_fma_f16 v10, v6, v14, v10
	v_mul_u32_u24_e32 v14, 0x10001, v115
	v_pk_fma_f16 v13, v7, v14, v13
	v_pk_fma_f16 v12, v6, v14, v12
	v_mul_u32_u24_e32 v14, 0x10001, v118
	s_delay_alu instid0(VALU_DEP_1)
	v_pk_fma_f16 v15, v7, v14, v5
	v_pk_fma_f16 v14, v6, v14, v4
	ds_load_2addr_b64 v[4:7], v88 offset0:64 offset1:96
	s_wait_dscnt 0x0
	v_pk_fma_f16 v19, v4, v16, v9
	v_pk_fma_f16 v20, v5, v17, v11
	;; [unrolled: 1-line block ×6, first 2 shown]
	v_mul_u32_u24_e32 v18, 0x10001, v122
	ds_load_b128 v[8:11], v81 offset:320
	v_pk_fma_f16 v16, v7, v21, v16
	v_pk_fma_f16 v17, v6, v22, v17
	;; [unrolled: 1-line block ×8, first 2 shown]
	ds_load_b128 v[12:15], v81 offset:336
	v_mul_u32_u24_e32 v22, 0x10001, v126
	s_delay_alu instid0(VALU_DEP_1)
	v_pk_fma_f16 v23, v7, v22, v5
	v_pk_fma_f16 v22, v6, v22, v4
	ds_load_2addr_b64 v[4:7], v88 offset0:128 offset1:160
	s_wait_dscnt 0x2
	v_dual_lshrrev_b32 v106, 16, v8 :: v_dual_lshrrev_b32 v107, 16, v9
	v_and_b32_e32 v108, 0xffff, v8
	v_dual_lshrrev_b32 v115, 16, v10 :: v_dual_lshrrev_b32 v116, 16, v11
	v_and_b32_e32 v117, 0xffff, v10
	v_mul_u32_u24_e32 v8, 0x10001, v128
	v_mul_u32_u24_e32 v10, 0x10001, v129
	v_and_b32_e32 v109, 0xffff, v9
	v_and_b32_e32 v118, 0xffff, v11
	s_wait_dscnt 0x1
	v_dual_lshrrev_b32 v119, 16, v12 :: v_dual_lshrrev_b32 v120, 16, v13
	v_and_b32_e32 v121, 0xffff, v12
	v_dual_lshrrev_b32 v123, 16, v14 :: v_dual_lshrrev_b32 v124, 16, v15
	v_and_b32_e32 v125, 0xffff, v14
	v_mul_u32_u24_e32 v12, 0x10001, v127
	v_mul_u32_u24_e32 v14, 0x10001, v130
	v_and_b32_e32 v122, 0xffff, v13
	s_wait_dscnt 0x0
	v_pk_fma_f16 v9, v4, v8, v18
	v_pk_fma_f16 v8, v5, v8, v16
	;; [unrolled: 1-line block ×8, first 2 shown]
	v_mul_u32_u24_e32 v14, 0x10001, v132
	v_and_b32_e32 v126, 0xffff, v15
	v_mul_u32_u24_e32 v16, 0x10001, v136
	v_mul_u32_u24_e32 v17, 0x10001, v137
	;; [unrolled: 1-line block ×3, first 2 shown]
	v_pk_fma_f16 v9, v6, v14, v9
	v_pk_fma_f16 v8, v7, v14, v8
	v_mul_u32_u24_e32 v14, 0x10001, v133
	v_mul_u32_u24_e32 v21, 0x10001, v140
	;; [unrolled: 1-line block ×4, first 2 shown]
	s_delay_alu instid0(VALU_DEP_4) | instskip(SKIP_2) | instid1(VALU_DEP_1)
	v_pk_fma_f16 v11, v7, v14, v11
	v_pk_fma_f16 v10, v6, v14, v10
	v_mul_u32_u24_e32 v14, 0x10001, v131
	v_pk_fma_f16 v13, v7, v14, v13
	v_pk_fma_f16 v12, v6, v14, v12
	v_mul_u32_u24_e32 v14, 0x10001, v134
	s_delay_alu instid0(VALU_DEP_1)
	v_pk_fma_f16 v15, v7, v14, v5
	v_pk_fma_f16 v14, v6, v14, v4
	ds_load_2addr_b64 v[4:7], v88 offset0:192 offset1:224
	s_wait_dscnt 0x0
	v_pk_fma_f16 v19, v4, v16, v9
	v_pk_fma_f16 v20, v5, v17, v11
	;; [unrolled: 1-line block ×6, first 2 shown]
	v_mul_u32_u24_e32 v18, 0x10001, v138
	ds_load_b128 v[8:11], v81 offset:352
	v_pk_fma_f16 v16, v7, v21, v16
	v_pk_fma_f16 v17, v6, v22, v17
	;; [unrolled: 1-line block ×8, first 2 shown]
	ds_load_b128 v[12:15], v81 offset:368
	v_mul_u32_u24_e32 v22, 0x10001, v142
	s_delay_alu instid0(VALU_DEP_1)
	v_pk_fma_f16 v23, v7, v22, v5
	v_pk_fma_f16 v22, v6, v22, v4
	ds_load_2addr_b64 v[4:7], v89 offset1:32
	s_wait_dscnt 0x2
	v_dual_lshrrev_b32 v127, 16, v8 :: v_dual_lshrrev_b32 v128, 16, v9
	v_and_b32_e32 v129, 0xffff, v8
	v_dual_lshrrev_b32 v131, 16, v10 :: v_dual_lshrrev_b32 v132, 16, v11
	v_and_b32_e32 v133, 0xffff, v10
	v_mul_u32_u24_e32 v8, 0x10001, v53
	v_mul_u32_u24_e32 v10, 0x10001, v54
	v_and_b32_e32 v130, 0xffff, v9
	v_and_b32_e32 v134, 0xffff, v11
	s_wait_dscnt 0x1
	v_dual_lshrrev_b32 v135, 16, v12 :: v_dual_lshrrev_b32 v136, 16, v13
	v_and_b32_e32 v137, 0xffff, v12
	v_dual_lshrrev_b32 v139, 16, v14 :: v_dual_lshrrev_b32 v140, 16, v15
	v_and_b32_e32 v141, 0xffff, v14
	v_mul_u32_u24_e32 v12, 0x10001, v52
	v_mul_u32_u24_e32 v14, 0x10001, v55
	v_and_b32_e32 v138, 0xffff, v13
	s_wait_dscnt 0x0
	v_pk_fma_f16 v9, v4, v8, v18
	v_pk_fma_f16 v8, v5, v8, v16
	;; [unrolled: 1-line block ×8, first 2 shown]
	v_mul_u32_u24_e32 v14, 0x10001, v57
	v_and_b32_e32 v142, 0xffff, v15
	v_mul_u32_u24_e32 v16, 0x10001, v61
	v_mul_u32_u24_e32 v17, 0x10001, v93
	;; [unrolled: 1-line block ×3, first 2 shown]
	v_pk_fma_f16 v9, v6, v14, v9
	v_pk_fma_f16 v8, v7, v14, v8
	v_mul_u32_u24_e32 v14, 0x10001, v58
	v_mul_u32_u24_e32 v21, 0x10001, v96
	;; [unrolled: 1-line block ×4, first 2 shown]
	s_delay_alu instid0(VALU_DEP_4) | instskip(SKIP_2) | instid1(VALU_DEP_1)
	v_pk_fma_f16 v11, v7, v14, v11
	v_pk_fma_f16 v10, v6, v14, v10
	v_mul_u32_u24_e32 v14, 0x10001, v56
	v_pk_fma_f16 v13, v7, v14, v13
	v_pk_fma_f16 v12, v6, v14, v12
	v_mul_u32_u24_e32 v14, 0x10001, v59
	s_delay_alu instid0(VALU_DEP_1)
	v_pk_fma_f16 v15, v7, v14, v5
	v_pk_fma_f16 v14, v6, v14, v4
	ds_load_2addr_b64 v[4:7], v89 offset0:64 offset1:96
	s_wait_dscnt 0x0
	v_pk_fma_f16 v19, v4, v16, v9
	v_pk_fma_f16 v20, v5, v17, v11
	;; [unrolled: 1-line block ×6, first 2 shown]
	v_mul_u32_u24_e32 v18, 0x10001, v94
	ds_load_b128 v[8:11], v81 offset:384
	v_pk_fma_f16 v16, v7, v21, v16
	v_pk_fma_f16 v17, v6, v22, v17
	;; [unrolled: 1-line block ×8, first 2 shown]
	ds_load_b128 v[12:15], v81 offset:400
	v_mul_u32_u24_e32 v22, 0x10001, v98
	s_delay_alu instid0(VALU_DEP_1)
	v_pk_fma_f16 v23, v7, v22, v5
	v_pk_fma_f16 v22, v6, v22, v4
	ds_load_2addr_b64 v[4:7], v89 offset0:128 offset1:160
	s_wait_dscnt 0x2
	v_dual_lshrrev_b32 v52, 16, v8 :: v_dual_lshrrev_b32 v53, 16, v9
	v_and_b32_e32 v54, 0xffff, v8
	v_dual_lshrrev_b32 v56, 16, v10 :: v_dual_lshrrev_b32 v57, 16, v11
	v_and_b32_e32 v58, 0xffff, v10
	v_mul_u32_u24_e32 v8, 0x10001, v49
	v_mul_u32_u24_e32 v10, 0x10001, v50
	v_and_b32_e32 v55, 0xffff, v9
	v_and_b32_e32 v59, 0xffff, v11
	s_wait_dscnt 0x1
	v_dual_lshrrev_b32 v60, 16, v12 :: v_dual_lshrrev_b32 v61, 16, v13
	v_and_b32_e32 v93, 0xffff, v12
	v_dual_lshrrev_b32 v95, 16, v14 :: v_dual_lshrrev_b32 v96, 16, v15
	v_and_b32_e32 v97, 0xffff, v14
	v_mul_u32_u24_e32 v12, 0x10001, v48
	v_mul_u32_u24_e32 v14, 0x10001, v51
	v_and_b32_e32 v94, 0xffff, v13
	s_wait_dscnt 0x0
	v_pk_fma_f16 v9, v4, v8, v18
	v_pk_fma_f16 v8, v5, v8, v16
	;; [unrolled: 1-line block ×8, first 2 shown]
	v_mul_u32_u24_e32 v14, 0x10001, v100
	v_and_b32_e32 v98, 0xffff, v15
	v_mul_u32_u24_e32 v16, 0x10001, v104
	v_mul_u32_u24_e32 v17, 0x10001, v105
	;; [unrolled: 1-line block ×3, first 2 shown]
	v_pk_fma_f16 v9, v6, v14, v9
	v_pk_fma_f16 v8, v7, v14, v8
	v_mul_u32_u24_e32 v14, 0x10001, v101
	v_mul_u32_u24_e32 v21, 0x10001, v112
	v_mul_u32_u24_e32 v22, 0x10001, v113
	v_mul_u32_u24_e32 v23, 0x10001, v111
	s_delay_alu instid0(VALU_DEP_4) | instskip(SKIP_2) | instid1(VALU_DEP_1)
	v_pk_fma_f16 v11, v7, v14, v11
	v_pk_fma_f16 v10, v6, v14, v10
	v_mul_u32_u24_e32 v14, 0x10001, v99
	v_pk_fma_f16 v13, v7, v14, v13
	v_pk_fma_f16 v12, v6, v14, v12
	v_mul_u32_u24_e32 v14, 0x10001, v102
	s_delay_alu instid0(VALU_DEP_1)
	v_pk_fma_f16 v15, v7, v14, v5
	v_pk_fma_f16 v14, v6, v14, v4
	ds_load_2addr_b64 v[4:7], v89 offset0:192 offset1:224
	s_wait_dscnt 0x0
	v_pk_fma_f16 v19, v4, v16, v9
	v_pk_fma_f16 v20, v5, v17, v11
	;; [unrolled: 1-line block ×6, first 2 shown]
	v_mul_u32_u24_e32 v18, 0x10001, v110
	ds_load_b128 v[8:11], v81 offset:416
	v_pk_fma_f16 v16, v7, v21, v16
	v_pk_fma_f16 v17, v6, v22, v17
	;; [unrolled: 1-line block ×8, first 2 shown]
	ds_load_b128 v[12:15], v81 offset:432
	v_mul_u32_u24_e32 v22, 0x10001, v114
	s_delay_alu instid0(VALU_DEP_1)
	v_pk_fma_f16 v23, v7, v22, v5
	v_pk_fma_f16 v22, v6, v22, v4
	ds_load_2addr_b64 v[4:7], v90 offset1:32
	s_wait_dscnt 0x2
	v_dual_lshrrev_b32 v48, 16, v8 :: v_dual_lshrrev_b32 v49, 16, v9
	v_and_b32_e32 v50, 0xffff, v8
	v_dual_lshrrev_b32 v100, 16, v10 :: v_dual_lshrrev_b32 v101, 16, v11
	v_and_b32_e32 v102, 0xffff, v10
	v_mul_u32_u24_e32 v8, 0x10001, v107
	v_mul_u32_u24_e32 v10, 0x10001, v108
	v_and_b32_e32 v99, 0xffff, v9
	v_and_b32_e32 v103, 0xffff, v11
	s_wait_dscnt 0x1
	v_dual_lshrrev_b32 v104, 16, v12 :: v_dual_lshrrev_b32 v105, 16, v13
	v_and_b32_e32 v110, 0xffff, v12
	v_dual_lshrrev_b32 v112, 16, v14 :: v_dual_lshrrev_b32 v113, 16, v15
	v_and_b32_e32 v114, 0xffff, v14
	v_mul_u32_u24_e32 v12, 0x10001, v106
	v_mul_u32_u24_e32 v14, 0x10001, v109
	v_and_b32_e32 v111, 0xffff, v13
	s_wait_dscnt 0x0
	v_pk_fma_f16 v9, v4, v8, v18
	v_pk_fma_f16 v8, v5, v8, v16
	;; [unrolled: 1-line block ×8, first 2 shown]
	v_mul_u32_u24_e32 v14, 0x10001, v116
	v_and_b32_e32 v143, 0xffff, v15
	v_mul_u32_u24_e32 v16, 0x10001, v120
	v_mul_u32_u24_e32 v17, 0x10001, v121
	;; [unrolled: 1-line block ×3, first 2 shown]
	v_pk_fma_f16 v9, v6, v14, v9
	v_pk_fma_f16 v8, v7, v14, v8
	v_mul_u32_u24_e32 v14, 0x10001, v117
	v_mul_u32_u24_e32 v21, 0x10001, v124
	;; [unrolled: 1-line block ×5, first 2 shown]
	v_pk_fma_f16 v11, v7, v14, v11
	v_pk_fma_f16 v10, v6, v14, v10
	v_mul_u32_u24_e32 v14, 0x10001, v115
	s_delay_alu instid0(VALU_DEP_1) | instskip(SKIP_2) | instid1(VALU_DEP_1)
	v_pk_fma_f16 v13, v7, v14, v13
	v_pk_fma_f16 v12, v6, v14, v12
	v_mul_u32_u24_e32 v14, 0x10001, v118
	v_pk_fma_f16 v15, v7, v14, v5
	v_pk_fma_f16 v14, v6, v14, v4
	ds_load_2addr_b64 v[4:7], v90 offset0:64 offset1:96
	s_wait_dscnt 0x0
	v_pk_fma_f16 v19, v4, v16, v9
	v_pk_fma_f16 v20, v5, v17, v11
	;; [unrolled: 1-line block ×6, first 2 shown]
	v_mul_u32_u24_e32 v18, 0x10001, v122
	ds_load_b128 v[8:11], v81 offset:448
	v_pk_fma_f16 v16, v7, v21, v16
	v_pk_fma_f16 v17, v6, v22, v17
	v_pk_fma_f16 v5, v5, v18, v15
	v_pk_fma_f16 v4, v4, v18, v14
	v_pk_fma_f16 v18, v6, v21, v19
	v_pk_fma_f16 v19, v7, v22, v20
	v_pk_fma_f16 v20, v7, v23, v13
	v_pk_fma_f16 v21, v6, v23, v12
	ds_load_b128 v[12:15], v81 offset:464
	v_mul_u32_u24_e32 v22, 0x10001, v126
	s_delay_alu instid0(VALU_DEP_1)
	v_pk_fma_f16 v23, v7, v22, v5
	v_pk_fma_f16 v22, v6, v22, v4
	ds_load_2addr_b64 v[4:7], v90 offset0:128 offset1:160
	s_wait_dscnt 0x2
	v_dual_lshrrev_b32 v106, 16, v8 :: v_dual_lshrrev_b32 v107, 16, v9
	v_and_b32_e32 v108, 0xffff, v8
	v_dual_lshrrev_b32 v115, 16, v10 :: v_dual_lshrrev_b32 v116, 16, v11
	v_and_b32_e32 v117, 0xffff, v10
	v_mul_u32_u24_e32 v8, 0x10001, v128
	v_mul_u32_u24_e32 v10, 0x10001, v129
	v_and_b32_e32 v109, 0xffff, v9
	v_and_b32_e32 v118, 0xffff, v11
	s_wait_dscnt 0x1
	v_dual_lshrrev_b32 v119, 16, v12 :: v_dual_lshrrev_b32 v120, 16, v13
	v_and_b32_e32 v121, 0xffff, v12
	v_dual_lshrrev_b32 v123, 16, v14 :: v_dual_lshrrev_b32 v124, 16, v15
	v_and_b32_e32 v125, 0xffff, v14
	v_mul_u32_u24_e32 v12, 0x10001, v127
	v_mul_u32_u24_e32 v14, 0x10001, v130
	v_and_b32_e32 v122, 0xffff, v13
	s_wait_dscnt 0x0
	v_pk_fma_f16 v9, v4, v8, v18
	v_pk_fma_f16 v8, v5, v8, v16
	;; [unrolled: 1-line block ×8, first 2 shown]
	v_mul_u32_u24_e32 v14, 0x10001, v132
	v_and_b32_e32 v126, 0xffff, v15
	v_mul_u32_u24_e32 v16, 0x10001, v136
	v_mul_u32_u24_e32 v17, 0x10001, v137
	;; [unrolled: 1-line block ×3, first 2 shown]
	v_pk_fma_f16 v9, v6, v14, v9
	v_pk_fma_f16 v8, v7, v14, v8
	v_mul_u32_u24_e32 v14, 0x10001, v133
	v_mul_u32_u24_e32 v21, 0x10001, v140
	;; [unrolled: 1-line block ×4, first 2 shown]
	s_delay_alu instid0(VALU_DEP_4) | instskip(SKIP_2) | instid1(VALU_DEP_1)
	v_pk_fma_f16 v11, v7, v14, v11
	v_pk_fma_f16 v10, v6, v14, v10
	v_mul_u32_u24_e32 v14, 0x10001, v131
	v_pk_fma_f16 v13, v7, v14, v13
	v_pk_fma_f16 v12, v6, v14, v12
	v_mul_u32_u24_e32 v14, 0x10001, v134
	s_delay_alu instid0(VALU_DEP_1)
	v_pk_fma_f16 v15, v7, v14, v5
	v_pk_fma_f16 v14, v6, v14, v4
	ds_load_2addr_b64 v[4:7], v90 offset0:192 offset1:224
	s_wait_dscnt 0x0
	v_pk_fma_f16 v19, v4, v16, v9
	v_pk_fma_f16 v20, v5, v17, v11
	;; [unrolled: 1-line block ×6, first 2 shown]
	v_mul_u32_u24_e32 v18, 0x10001, v138
	ds_load_b128 v[8:11], v81 offset:480
	v_pk_fma_f16 v20, v7, v22, v20
	v_pk_fma_f16 v13, v7, v23, v13
	;; [unrolled: 1-line block ×8, first 2 shown]
	v_mul_u32_u24_e32 v22, 0x10001, v142
	ds_load_b128 v[16:19], v81 offset:496
	v_pk_fma_f16 v23, v7, v22, v5
	v_pk_fma_f16 v22, v6, v22, v4
	ds_load_2addr_b64 v[4:7], v91 offset1:32
	s_wait_dscnt 0x2
	v_dual_lshrrev_b32 v127, 16, v8 :: v_dual_lshrrev_b32 v128, 16, v9
	v_and_b32_e32 v129, 0xffff, v8
	v_mul_u32_u24_e32 v8, 0x10001, v53
	v_and_b32_e32 v130, 0xffff, v9
	v_dual_lshrrev_b32 v131, 16, v10 :: v_dual_lshrrev_b32 v132, 16, v11
	v_and_b32_e32 v133, 0xffff, v10
	v_mul_u32_u24_e32 v10, 0x10001, v54
	v_and_b32_e32 v134, 0xffff, v11
	s_wait_dscnt 0x1
	v_and_b32_e32 v136, 0xffff, v19
	s_wait_dscnt 0x0
	v_pk_fma_f16 v9, v4, v8, v14
	v_mul_u32_u24_e32 v14, 0x10001, v52
	v_pk_fma_f16 v11, v5, v10, v20
	v_pk_fma_f16 v10, v4, v10, v21
	v_mul_u32_u24_e32 v21, 0x10001, v56
	v_pk_fma_f16 v8, v5, v8, v15
	v_pk_fma_f16 v13, v5, v14, v13
	v_pk_fma_f16 v12, v4, v14, v12
	v_mul_u32_u24_e32 v14, 0x10001, v55
	v_mul_u32_u24_e32 v15, 0x10001, v57
	;; [unrolled: 1-line block ×3, first 2 shown]
	s_delay_alu instid0(VALU_DEP_3)
	v_pk_fma_f16 v5, v5, v14, v23
	v_pk_fma_f16 v4, v4, v14, v22
	;; [unrolled: 1-line block ×4, first 2 shown]
	v_mul_u32_u24_e32 v12, 0x10001, v59
	v_pk_fma_f16 v14, v6, v15, v9
	v_pk_fma_f16 v15, v7, v15, v8
	;; [unrolled: 1-line block ×6, first 2 shown]
	ds_load_2addr_b64 v[4:7], v91 offset0:64 offset1:96
	v_mul_u32_u24_e32 v12, 0x10001, v61
	v_add_nc_u64_e32 v[8:9], s[2:3], v[38:39]
	v_add_nc_u64_e32 v[10:11], s[2:3], v[42:43]
	s_delay_alu instid0(VALU_DEP_2) | instskip(NEXT) | instid1(VALU_DEP_2)
	v_add_nc_u64_e32 v[52:53], v[8:9], v[40:41]
	v_add_nc_u64_e32 v[56:57], v[10:11], v[40:41]
	v_mul_u32_u24_e32 v8, 0x10001, v94
	v_mul_u32_u24_e32 v9, 0x10001, v96
	;; [unrolled: 1-line block ×7, first 2 shown]
	v_and_b32_e32 v104, 0xffff, v17
	v_mul_u32_u24_e32 v113, 0x10001, v121
	s_wait_dscnt 0x0
	v_pk_fma_f16 v55, v4, v12, v14
	v_pk_fma_f16 v135, v5, v12, v15
	v_mul_u32_u24_e32 v14, 0x10001, v93
	v_mul_u32_u24_e32 v15, 0x10001, v60
	v_add_nc_u64_e32 v[12:13], s[2:3], v[44:45]
	v_mul_u32_u24_e32 v93, 0x10001, v102
	v_mul_u32_u24_e32 v121, 0x10001, v129
	v_pk_fma_f16 v22, v5, v14, v22
	v_pk_fma_f16 v23, v5, v15, v23
	;; [unrolled: 1-line block ×4, first 2 shown]
	v_add_nc_u64_e32 v[14:15], s[2:3], v[46:47]
	v_add_nc_u64_e32 v[58:59], v[12:13], v[40:41]
	v_pk_fma_f16 v5, v5, v8, v51
	v_pk_fma_f16 v4, v4, v8, v54
	;; [unrolled: 1-line block ×5, first 2 shown]
	v_add_nc_u64_e32 v[60:61], v[14:15], v[40:41]
	v_pk_fma_f16 v14, v7, v10, v22
	v_pk_fma_f16 v15, v7, v11, v23
	;; [unrolled: 1-line block ×3, first 2 shown]
	ds_load_2addr_b64 v[8:11], v91 offset0:128 offset1:160
	v_mul_u32_u24_e32 v20, 0x10001, v98
	v_mul_u32_u24_e32 v55, 0x10001, v101
	;; [unrolled: 1-line block ×3, first 2 shown]
	v_and_b32_e32 v135, 0xffff, v18
	s_delay_alu instid0(VALU_DEP_4)
	v_pk_fma_f16 v5, v7, v20, v5
	v_pk_fma_f16 v4, v6, v20, v4
	ds_load_2addr_b64 v[20:23], v91 offset0:192 offset1:224
	v_mul_u32_u24_e32 v6, 0x10001, v49
	v_mul_u32_u24_e32 v7, 0x10001, v50
	s_wait_dscnt 0x1
	s_delay_alu instid0(VALU_DEP_2) | instskip(SKIP_1) | instid1(VALU_DEP_3)
	v_pk_fma_f16 v12, v8, v6, v12
	v_pk_fma_f16 v6, v9, v6, v13
	;; [unrolled: 1-line block ×5, first 2 shown]
	v_mul_u32_u24_e32 v54, 0x10001, v99
	v_pk_fma_f16 v7, v8, v7, v51
	ds_load_2addr_b64 v[48:51], v92 offset1:32
	v_pk_fma_f16 v6, v11, v55, v6
	v_pk_fma_f16 v95, v11, v94, v14
	;; [unrolled: 1-line block ×4, first 2 shown]
	v_mul_u32_u24_e32 v8, 0x10001, v103
	v_pk_fma_f16 v54, v10, v55, v12
	v_pk_fma_f16 v55, v11, v93, v13
	;; [unrolled: 1-line block ×6, first 2 shown]
	v_mul_u32_u24_e32 v4, 0x10001, v105
	v_mul_u32_u24_e32 v5, 0x10001, v110
	s_wait_dscnt 0x1
	v_pk_fma_f16 v95, v21, v97, v95
	v_pk_fma_f16 v93, v20, v97, v93
	v_mul_u32_u24_e32 v97, 0x10001, v111
	v_pk_fma_f16 v54, v20, v4, v54
	v_pk_fma_f16 v98, v21, v5, v55
	;; [unrolled: 1-line block ×8, first 2 shown]
	v_mul_u32_u24_e32 v97, 0x10001, v114
	v_mul_u32_u24_e32 v100, 0x10001, v112
	v_pk_fma_f16 v102, v23, v101, v21
	v_pk_fma_f16 v101, v22, v101, v20
	v_mul_u32_u24_e32 v20, 0x10001, v107
	ds_load_2addr_b64 v[12:15], v92 offset0:64 offset1:96
	ds_load_2addr_b64 v[8:11], v92 offset0:128 offset1:160
	;; [unrolled: 1-line block ×3, first 2 shown]
	s_wait_dscnt 0x0
	s_barrier_signal -1
	s_barrier_wait -1
	global_load_b128 v[52:55], v[52:53], off
	v_pk_fma_f16 v98, v23, v97, v98
	v_pk_fma_f16 v97, v22, v97, v99
	v_lshrrev_b32_e32 v99, 16, v16
	v_pk_fma_f16 v95, v23, v100, v95
	v_pk_fma_f16 v93, v22, v100, v93
	v_lshrrev_b32_e32 v100, 16, v17
	v_and_b32_e32 v103, 0xffff, v16
	v_dual_lshrrev_b32 v105, 16, v18 :: v_dual_lshrrev_b32 v112, 16, v19
	global_load_b128 v[16:19], v[56:57], off
	s_wait_xcnt 0x0
	v_mul_u32_u24_e32 v56, 0x10001, v108
	v_mul_u32_u24_e32 v57, 0x10001, v106
	v_pk_fma_f16 v94, v48, v20, v94
	v_pk_fma_f16 v96, v49, v20, v96
	global_load_b128 v[20:23], v[58:59], off
	v_pk_fma_f16 v98, v49, v56, v98
	v_pk_fma_f16 v95, v49, v57, v95
	;; [unrolled: 1-line block ×4, first 2 shown]
	global_load_b128 v[56:59], v[60:61], off
	s_wait_xcnt 0x0
	v_mul_u32_u24_e32 v60, 0x10001, v109
	v_mul_u32_u24_e32 v61, 0x10001, v116
	;; [unrolled: 1-line block ×5, first 2 shown]
	v_pk_fma_f16 v49, v49, v60, v102
	v_mul_u32_u24_e32 v109, 0x10001, v120
	v_mul_u32_u24_e32 v114, 0x10001, v119
	;; [unrolled: 1-line block ×3, first 2 shown]
	v_pk_fma_f16 v48, v48, v60, v101
	v_pk_fma_f16 v60, v50, v61, v94
	;; [unrolled: 1-line block ×8, first 2 shown]
	v_mul_u32_u24_e32 v116, 0x10001, v124
	v_mul_u32_u24_e32 v117, 0x10001, v125
	v_mul_u32_u24_e32 v118, 0x10001, v123
	v_mul_u32_u24_e32 v119, 0x10001, v126
	v_pk_fma_f16 v97, v50, v108, v48
	s_wait_loadcnt 0x3
	ds_store_b128 v79, v[52:55]
	s_wait_loadcnt 0x2
	ds_store_b128 v82, v[16:19]
	;; [unrolled: 2-line block ×4, first 2 shown]
	v_pk_fma_f16 v60, v12, v109, v60
	v_pk_fma_f16 v61, v13, v109, v61
	;; [unrolled: 1-line block ×5, first 2 shown]
	s_wait_dscnt 0x0
	s_barrier_signal -1
	s_barrier_wait -1
	ds_load_b128 v[16:19], v81 offset:512
	ds_load_b128 v[20:23], v81 offset:528
	;; [unrolled: 1-line block ×6, first 2 shown]
	v_pk_fma_f16 v96, v12, v113, v96
	v_pk_fma_f16 v93, v12, v114, v93
	v_mul_u32_u24_e32 v120, 0x10001, v128
	v_mul_u32_u24_e32 v122, 0x10001, v127
	;; [unrolled: 1-line block ×3, first 2 shown]
	v_pk_fma_f16 v12, v12, v115, v97
	v_pk_fma_f16 v60, v14, v116, v60
	;; [unrolled: 1-line block ×8, first 2 shown]
	v_mul_u32_u24_e32 v124, 0x10001, v132
	v_mul_u32_u24_e32 v125, 0x10001, v133
	;; [unrolled: 1-line block ×3, first 2 shown]
	v_pk_fma_f16 v12, v14, v119, v12
	v_pk_fma_f16 v14, v8, v120, v60
	;; [unrolled: 1-line block ×8, first 2 shown]
	v_mul_u32_u24_e32 v127, 0x10001, v134
	v_pk_fma_f16 v8, v8, v123, v12
	v_pk_fma_f16 v12, v10, v124, v14
	;; [unrolled: 1-line block ×7, first 2 shown]
	s_wait_dscnt 0x5
	v_dual_lshrrev_b32 v94, 16, v16 :: v_dual_lshrrev_b32 v95, 16, v17
	v_and_b32_e32 v96, 0xffff, v16
	v_and_b32_e32 v101, 0xffff, v17
	v_dual_lshrrev_b32 v116, 16, v18 :: v_dual_lshrrev_b32 v117, 16, v19
	v_and_b32_e32 v120, 0xffff, v18
	v_mul_u32_u24_e32 v16, 0x10001, v100
	v_mul_u32_u24_e32 v17, 0x10001, v103
	v_mul_u32_u24_e32 v18, 0x10001, v99
	v_pk_fma_f16 v9, v11, v127, v9
	v_and_b32_e32 v121, 0xffff, v19
	s_wait_dscnt 0x2
	v_dual_lshrrev_b32 v141, 16, v52 :: v_dual_lshrrev_b32 v142, 16, v53
	v_and_b32_e32 v144, 0xffff, v53
	v_dual_lshrrev_b32 v145, 16, v54 :: v_dual_lshrrev_b32 v146, 16, v55
	v_and_b32_e32 v147, 0xffff, v54
	v_and_b32_e32 v11, 0xffff, v55
	v_pk_fma_f16 v12, v4, v16, v12
	v_pk_fma_f16 v14, v5, v16, v14
	;; [unrolled: 1-line block ×6, first 2 shown]
	ds_load_b128 v[16:19], v81 offset:608
	v_pk_fma_f16 v10, v10, v127, v8
	v_dual_lshrrev_b32 v124, 16, v20 :: v_dual_lshrrev_b32 v125, 16, v21
	v_and_b32_e32 v126, 0xffff, v20
	v_and_b32_e32 v127, 0xffff, v21
	v_dual_lshrrev_b32 v138, 16, v50 :: v_dual_lshrrev_b32 v139, 16, v51
	v_and_b32_e32 v140, 0xffff, v50
	v_mul_u32_u24_e32 v20, 0x10001, v104
	v_mul_u32_u24_e32 v21, 0x10001, v112
	;; [unrolled: 1-line block ×3, first 2 shown]
	s_wait_dscnt 0x2
	v_dual_lshrrev_b32 v114, 16, v56 :: v_dual_lshrrev_b32 v123, 16, v57
	v_and_b32_e32 v122, 0xffff, v56
	v_and_b32_e32 v118, 0xffff, v57
	v_pk_fma_f16 v5, v5, v20, v9
	v_pk_fma_f16 v4, v4, v20, v10
	;; [unrolled: 1-line block ×6, first 2 shown]
	ds_load_b128 v[54:57], v81 offset:624
	s_wait_dscnt 0x1
	v_dual_lshrrev_b32 v60, 16, v18 :: v_dual_lshrrev_b32 v103, 16, v19
	v_and_b32_e32 v99, 0xffff, v18
	v_and_b32_e32 v61, 0xffff, v19
	ds_load_2addr_b64 v[18:21], v65 offset1:32
	v_dual_lshrrev_b32 v132, 16, v48 :: v_dual_lshrrev_b32 v133, 16, v49
	v_and_b32_e32 v137, 0xffff, v49
	v_and_b32_e32 v143, 0xffff, v52
	v_mul_u32_u24_e32 v49, 0x10001, v135
	v_mul_u32_u24_e32 v52, 0x10001, v136
	v_dual_lshrrev_b32 v98, 16, v58 :: v_dual_lshrrev_b32 v113, 16, v59
	v_and_b32_e32 v106, 0xffff, v58
	s_delay_alu instid0(VALU_DEP_4) | instskip(NEXT) | instid1(VALU_DEP_4)
	v_pk_fma_f16 v93, v7, v49, v53
	v_pk_fma_f16 v5, v7, v52, v5
	v_mul_u32_u24_e32 v7, 0x10001, v95
	v_pk_fma_f16 v13, v6, v49, v13
	v_pk_fma_f16 v6, v6, v52, v4
	s_wait_dscnt 0x1
	v_dual_lshrrev_b32 v49, 16, v54 :: v_dual_lshrrev_b32 v52, 16, v55
	v_and_b32_e32 v53, 0xffff, v54
	v_and_b32_e32 v9, 0xffff, v55
	v_lshrrev_b32_e32 v58, 16, v108
	s_wait_dscnt 0x0
	v_pk_fma_f16 v10, v18, v7, v10
	v_pk_fma_f16 v7, v19, v7, v14
	v_mul_u32_u24_e32 v14, 0x10001, v96
	v_and_b32_e32 v97, 0xffff, v108
	v_dual_lshrrev_b32 v107, 16, v16 :: v_dual_lshrrev_b32 v119, 16, v17
	v_and_b32_e32 v115, 0xffff, v16
	s_delay_alu instid0(VALU_DEP_4)
	v_pk_fma_f16 v54, v19, v14, v93
	v_pk_fma_f16 v13, v18, v14, v13
	v_mul_u32_u24_e32 v14, 0x10001, v94
	v_and_b32_e32 v108, 0xffff, v17
	v_dual_lshrrev_b32 v12, 16, v56 :: v_dual_lshrrev_b32 v16, 16, v57
	v_and_b32_e32 v17, 0xffff, v56
	s_delay_alu instid0(VALU_DEP_4)
	v_pk_fma_f16 v55, v19, v14, v100
	v_pk_fma_f16 v14, v18, v14, v50
	v_mul_u32_u24_e32 v50, 0x10001, v101
	v_and_b32_e32 v4, 0xffff, v57
	v_mul_u32_u24_e32 v56, 0x10001, v126
	v_mul_u32_u24_e32 v57, 0x10001, v124
	;; [unrolled: 1-line block ×3, first 2 shown]
	v_pk_fma_f16 v6, v18, v50, v6
	v_mul_u32_u24_e32 v18, 0x10001, v117
	v_pk_fma_f16 v5, v19, v50, v5
	v_dual_lshrrev_b32 v128, 16, v22 :: v_dual_lshrrev_b32 v129, 16, v23
	v_and_b32_e32 v130, 0xffff, v22
	s_delay_alu instid0(VALU_DEP_4)
	v_pk_fma_f16 v10, v20, v18, v10
	v_pk_fma_f16 v7, v21, v18, v7
	v_mul_u32_u24_e32 v18, 0x10001, v120
	v_and_b32_e32 v131, 0xffff, v23
	v_mul_u32_u24_e32 v95, 0x10001, v129
	v_mul_u32_u24_e32 v96, 0x10001, v130
	;; [unrolled: 1-line block ×3, first 2 shown]
	v_pk_fma_f16 v50, v21, v18, v54
	v_pk_fma_f16 v13, v20, v18, v13
	v_mul_u32_u24_e32 v18, 0x10001, v116
	v_and_b32_e32 v134, 0xffff, v48
	v_and_b32_e32 v102, 0xffff, v59
	v_lshrrev_b32_e32 v59, 16, v109
	v_and_b32_e32 v15, 0xffff, v109
	v_pk_fma_f16 v54, v21, v18, v55
	v_pk_fma_f16 v14, v20, v18, v14
	v_mul_u32_u24_e32 v18, 0x10001, v121
	v_mul_u32_u24_e32 v55, 0x10001, v125
	ds_load_b128 v[124:127], v81 offset:656
	v_dual_lshrrev_b32 v22, 16, v110 :: v_dual_lshrrev_b32 v23, 16, v111
	v_pk_fma_f16 v5, v21, v18, v5
	v_pk_fma_f16 v6, v20, v18, v6
	ds_load_2addr_b64 v[18:21], v65 offset0:64 offset1:96
	v_and_b32_e32 v48, 0xffff, v110
	v_and_b32_e32 v51, 0xffff, v51
	v_mul_u32_u24_e32 v11, 0x10001, v11
	v_mul_u32_u24_e32 v123, 0x10001, v123
	;; [unrolled: 1-line block ×6, first 2 shown]
	v_and_b32_e32 v8, 0xffff, v111
	v_mul_u32_u24_e32 v113, 0x10001, v113
	v_mul_u32_u24_e32 v106, 0x10001, v106
	;; [unrolled: 1-line block ×10, first 2 shown]
	s_wait_dscnt 0x0
	v_pk_fma_f16 v10, v18, v55, v10
	v_pk_fma_f16 v7, v19, v55, v7
	;; [unrolled: 1-line block ×6, first 2 shown]
	ds_load_b128 v[54:57], v81 offset:640
	v_pk_fma_f16 v5, v19, v94, v5
	v_pk_fma_f16 v6, v18, v94, v6
	;; [unrolled: 1-line block ×3, first 2 shown]
	v_mul_u32_u24_e32 v10, 0x10001, v131
	v_pk_fma_f16 v7, v21, v95, v7
	v_pk_fma_f16 v95, v21, v96, v50
	;; [unrolled: 1-line block ×6, first 2 shown]
	v_lshrrev_b32_e32 v50, 16, v124
	v_and_b32_e32 v10, 0xffff, v125
	v_dual_lshrrev_b32 v13, 16, v126 :: v_dual_lshrrev_b32 v18, 16, v127
	v_and_b32_e32 v19, 0xffff, v126
	v_and_b32_e32 v5, 0xffff, v127
	v_pk_fma_f16 v14, v20, v100, v14
	v_mul_u32_u24_e32 v20, 0x10001, v133
	ds_load_b128 v[128:131], v81 offset:672
	s_wait_dscnt 0x1
	v_dual_lshrrev_b32 v109, 16, v54 :: v_dual_lshrrev_b32 v120, 16, v55
	v_and_b32_e32 v116, 0xffff, v54
	v_and_b32_e32 v110, 0xffff, v55
	v_lshrrev_b32_e32 v54, 16, v125
	v_and_b32_e32 v55, 0xffff, v124
	ds_load_2addr_b64 v[124:127], v65 offset0:128 offset1:160
	v_dual_lshrrev_b32 v93, 16, v56 :: v_dual_lshrrev_b32 v104, 16, v57
	v_and_b32_e32 v100, 0xffff, v56
	v_and_b32_e32 v94, 0xffff, v57
	v_mul_u32_u24_e32 v22, 0x10001, v22
	v_mul_u32_u24_e32 v119, 0x10001, v119
	;; [unrolled: 1-line block ×15, first 2 shown]
	s_wait_dscnt 0x0
	v_pk_fma_f16 v56, v124, v20, v101
	v_pk_fma_f16 v7, v125, v20, v7
	v_mul_u32_u24_e32 v20, 0x10001, v134
	v_mul_u32_u24_e32 v101, 0x10001, v141
	;; [unrolled: 1-line block ×5, first 2 shown]
	v_pk_fma_f16 v57, v125, v20, v95
	v_mul_u32_u24_e32 v95, 0x10001, v132
	v_pk_fma_f16 v20, v124, v20, v96
	ds_load_b128 v[132:135], v81 offset:688
	v_dual_lshrrev_b32 v111, 16, v128 :: v_dual_lshrrev_b32 v121, 16, v129
	v_pk_fma_f16 v96, v125, v95, v105
	v_pk_fma_f16 v14, v124, v95, v14
	v_mul_u32_u24_e32 v95, 0x10001, v137
	v_mul_u32_u24_e32 v105, 0x10001, v145
	v_and_b32_e32 v117, 0xffff, v128
	v_and_b32_e32 v112, 0xffff, v129
	v_mul_u32_u24_e32 v116, 0x10001, v116
	v_pk_fma_f16 v21, v125, v95, v21
	v_pk_fma_f16 v6, v124, v95, v6
	v_mul_u32_u24_e32 v95, 0x10001, v139
	v_mul_u32_u24_e32 v109, 0x10001, v109
	;; [unrolled: 1-line block ×3, first 2 shown]
	v_pk_fma_f16 v21, v127, v51, v21
	v_pk_fma_f16 v6, v126, v51, v6
	;; [unrolled: 1-line block ×4, first 2 shown]
	v_mul_u32_u24_e32 v95, 0x10001, v140
	v_mul_u32_u24_e32 v51, 0x10001, v142
	;; [unrolled: 1-line block ×5, first 2 shown]
	v_pk_fma_f16 v57, v127, v95, v57
	v_pk_fma_f16 v20, v126, v95, v20
	v_mul_u32_u24_e32 v95, 0x10001, v138
	v_mul_u32_u24_e32 v94, 0x10001, v94
	;; [unrolled: 1-line block ×5, first 2 shown]
	v_pk_fma_f16 v96, v127, v95, v96
	v_pk_fma_f16 v14, v126, v95, v14
	ds_load_2addr_b64 v[124:127], v65 offset0:192 offset1:224
	v_mul_u32_u24_e32 v95, 0x10001, v143
	v_mul_u32_u24_e32 v10, 0x10001, v10
	;; [unrolled: 1-line block ×10, first 2 shown]
	s_wait_dscnt 0x0
	v_pk_fma_f16 v56, v124, v51, v56
	v_pk_fma_f16 v7, v125, v51, v7
	;; [unrolled: 1-line block ×4, first 2 shown]
	v_mul_u32_u24_e32 v95, 0x10001, v144
	v_pk_fma_f16 v57, v125, v101, v96
	v_pk_fma_f16 v14, v124, v101, v14
	v_mul_u32_u24_e32 v96, 0x10001, v146
	v_mul_u32_u24_e32 v101, 0x10001, v147
	v_pk_fma_f16 v21, v125, v95, v21
	v_pk_fma_f16 v6, v124, v95, v6
	;; [unrolled: 1-line block ×10, first 2 shown]
	ds_load_2addr_b64 v[124:127], v86 offset1:32
	v_dual_lshrrev_b32 v14, 16, v134 :: v_dual_lshrrev_b32 v20, 16, v135
	v_and_b32_e32 v21, 0xffff, v134
	v_dual_lshrrev_b32 v95, 16, v130 :: v_dual_lshrrev_b32 v105, 16, v131
	v_and_b32_e32 v101, 0xffff, v130
	v_and_b32_e32 v96, 0xffff, v131
	v_dual_lshrrev_b32 v51, 16, v132 :: v_dual_lshrrev_b32 v56, 16, v133
	v_and_b32_e32 v57, 0xffff, v132
	v_and_b32_e32 v11, 0xffff, v133
	;; [unrolled: 1-line block ×3, first 2 shown]
	ds_load_b128 v[130:133], v81 offset:720
	v_mul_u32_u24_e32 v105, 0x10001, v105
	v_mul_u32_u24_e32 v101, 0x10001, v101
	;; [unrolled: 1-line block ×6, first 2 shown]
	s_wait_dscnt 0x1
	v_pk_fma_f16 v128, v124, v123, v136
	v_pk_fma_f16 v7, v125, v123, v7
	;; [unrolled: 1-line block ×15, first 2 shown]
	ds_load_2addr_b64 v[122:125], v86 offset0:64 offset1:96
	v_pk_fma_f16 v102, v126, v102, v118
	v_mul_u32_u24_e32 v57, 0x10001, v57
	v_mul_u32_u24_e32 v11, 0x10001, v11
	;; [unrolled: 1-line block ×6, first 2 shown]
	s_wait_dscnt 0x0
	v_pk_fma_f16 v118, v122, v59, v128
	v_pk_fma_f16 v7, v123, v59, v7
	;; [unrolled: 1-line block ×4, first 2 shown]
	ds_load_b128 v[126:129], v81 offset:704
	v_pk_fma_f16 v97, v122, v97, v106
	v_pk_fma_f16 v58, v122, v58, v98
	v_pk_fma_f16 v98, v123, v15, v114
	v_pk_fma_f16 v15, v122, v15, v102
	v_pk_fma_f16 v134, v125, v23, v7
	v_mul_u32_u24_e32 v7, 0x10001, v8
	v_pk_fma_f16 v123, v124, v23, v118
	v_pk_fma_f16 v135, v125, v48, v59
	;; [unrolled: 1-line block ×7, first 2 shown]
	v_dual_lshrrev_b32 v48, 16, v130 :: v_dual_lshrrev_b32 v58, 16, v131
	v_and_b32_e32 v59, 0xffff, v130
	v_and_b32_e32 v8, 0xffff, v131
	v_dual_lshrrev_b32 v15, 16, v132 :: v_dual_lshrrev_b32 v22, 16, v133
	s_wait_dscnt 0x0
	v_dual_lshrrev_b32 v113, 16, v126 :: v_dual_lshrrev_b32 v122, 16, v127
	v_and_b32_e32 v118, 0xffff, v126
	v_and_b32_e32 v114, 0xffff, v127
	ds_load_2addr_b64 v[124:127], v86 offset0:128 offset1:160
	v_dual_lshrrev_b32 v97, 16, v128 :: v_dual_lshrrev_b32 v106, 16, v129
	v_and_b32_e32 v102, 0xffff, v128
	v_and_b32_e32 v98, 0xffff, v129
	;; [unrolled: 1-line block ×4, first 2 shown]
	v_mul_u32_u24_e32 v118, 0x10001, v118
	v_mul_u32_u24_e32 v113, 0x10001, v113
	v_mul_u32_u24_e32 v114, 0x10001, v114
	v_mul_u32_u24_e32 v106, 0x10001, v106
	v_mul_u32_u24_e32 v102, 0x10001, v102
	v_mul_u32_u24_e32 v97, 0x10001, v97
	v_mul_u32_u24_e32 v98, 0x10001, v98
	v_mul_u32_u24_e32 v58, 0x10001, v58
	v_mul_u32_u24_e32 v59, 0x10001, v59
	v_mul_u32_u24_e32 v48, 0x10001, v48
	v_mul_u32_u24_e32 v8, 0x10001, v8
	v_mul_u32_u24_e32 v22, 0x10001, v22
	v_mul_u32_u24_e32 v23, 0x10001, v23
	s_wait_dscnt 0x0
	v_pk_fma_f16 v123, v124, v119, v123
	v_pk_fma_f16 v119, v125, v119, v134
	;; [unrolled: 1-line block ×16, first 2 shown]
	ds_load_2addr_b64 v[124:127], v86 offset0:192 offset1:224
	ds_load_b128 v[128:131], v81 offset:736
	ds_load_b128 v[132:135], v81 offset:752
	v_mul_u32_u24_e32 v15, 0x10001, v15
	v_mul_u32_u24_e32 v7, 0x10001, v7
	s_wait_dscnt 0x2
	v_pk_fma_f16 v108, v124, v52, v123
	v_pk_fma_f16 v52, v125, v52, v103
	;; [unrolled: 1-line block ×16, first 2 shown]
	ds_load_2addr_b64 v[124:127], v87 offset1:32
	s_wait_dscnt 0x2
	v_dual_lshrrev_b32 v107, 16, v128 :: v_dual_lshrrev_b32 v119, 16, v129
	v_and_b32_e32 v115, 0xffff, v128
	v_and_b32_e32 v108, 0xffff, v129
	v_dual_lshrrev_b32 v60, 16, v130 :: v_dual_lshrrev_b32 v103, 16, v131
	v_and_b32_e32 v99, 0xffff, v130
	v_and_b32_e32 v61, 0xffff, v131
	s_wait_dscnt 0x1
	v_dual_lshrrev_b32 v49, 16, v132 :: v_dual_lshrrev_b32 v52, 16, v133
	v_and_b32_e32 v53, 0xffff, v132
	v_and_b32_e32 v9, 0xffff, v133
	v_dual_lshrrev_b32 v12, 16, v134 :: v_dual_lshrrev_b32 v16, 16, v135
	v_and_b32_e32 v17, 0xffff, v134
	v_and_b32_e32 v4, 0xffff, v135
	ds_load_b128 v[132:135], v81 offset:784
	v_mul_u32_u24_e32 v119, 0x10001, v119
	v_mul_u32_u24_e32 v115, 0x10001, v115
	s_wait_dscnt 0x1
	v_pk_fma_f16 v123, v124, v120, v123
	v_pk_fma_f16 v120, v125, v120, v136
	;; [unrolled: 1-line block ×16, first 2 shown]
	ds_load_2addr_b64 v[124:127], v87 offset0:64 offset1:96
	ds_load_b128 v[128:131], v81 offset:768
	v_mul_u32_u24_e32 v107, 0x10001, v107
	v_mul_u32_u24_e32 v108, 0x10001, v108
	;; [unrolled: 1-line block ×14, first 2 shown]
	s_wait_dscnt 0x1
	v_pk_fma_f16 v110, v124, v54, v123
	v_pk_fma_f16 v54, v125, v54, v104
	;; [unrolled: 1-line block ×16, first 2 shown]
	ds_load_2addr_b64 v[124:127], v87 offset0:128 offset1:160
	s_wait_dscnt 0x1
	v_dual_lshrrev_b32 v109, 16, v128 :: v_dual_lshrrev_b32 v120, 16, v129
	v_and_b32_e32 v116, 0xffff, v128
	v_and_b32_e32 v110, 0xffff, v129
	v_dual_lshrrev_b32 v93, 16, v130 :: v_dual_lshrrev_b32 v104, 16, v131
	v_and_b32_e32 v100, 0xffff, v130
	v_and_b32_e32 v94, 0xffff, v131
	v_dual_lshrrev_b32 v50, 16, v132 :: v_dual_lshrrev_b32 v54, 16, v133
	v_and_b32_e32 v55, 0xffff, v132
	v_and_b32_e32 v10, 0xffff, v133
	v_dual_lshrrev_b32 v13, 16, v134 :: v_dual_lshrrev_b32 v18, 16, v135
	v_and_b32_e32 v19, 0xffff, v134
	v_and_b32_e32 v5, 0xffff, v135
	ds_load_b128 v[132:135], v81 offset:816
	v_mul_u32_u24_e32 v120, 0x10001, v120
	v_mul_u32_u24_e32 v116, 0x10001, v116
	s_wait_dscnt 0x1
	v_pk_fma_f16 v123, v124, v121, v123
	v_pk_fma_f16 v121, v125, v121, v136
	;; [unrolled: 1-line block ×16, first 2 shown]
	ds_load_2addr_b64 v[124:127], v87 offset0:192 offset1:224
	ds_load_b128 v[128:131], v81 offset:800
	v_mul_u32_u24_e32 v109, 0x10001, v109
	v_mul_u32_u24_e32 v110, 0x10001, v110
	v_mul_u32_u24_e32 v104, 0x10001, v104
	v_mul_u32_u24_e32 v100, 0x10001, v100
	v_mul_u32_u24_e32 v93, 0x10001, v93
	v_mul_u32_u24_e32 v94, 0x10001, v94
	v_mul_u32_u24_e32 v54, 0x10001, v54
	v_mul_u32_u24_e32 v55, 0x10001, v55
	v_mul_u32_u24_e32 v50, 0x10001, v50
	v_mul_u32_u24_e32 v10, 0x10001, v10
	v_mul_u32_u24_e32 v18, 0x10001, v18
	v_mul_u32_u24_e32 v19, 0x10001, v19
	v_mul_u32_u24_e32 v13, 0x10001, v13
	v_mul_u32_u24_e32 v5, 0x10001, v5
	s_wait_dscnt 0x1
	v_pk_fma_f16 v117, v125, v51, v117
	v_pk_fma_f16 v112, v124, v56, v123
	;; [unrolled: 1-line block ×9, first 2 shown]
	s_wait_dscnt 0x0
	v_dual_lshrrev_b32 v111, 16, v128 :: v_dual_lshrrev_b32 v121, 16, v129
	v_and_b32_e32 v117, 0xffff, v128
	v_mul_u32_u24_e32 v128, 0x10001, v122
	ds_load_2addr_b64 v[122:125], v88 offset1:32
	v_pk_fma_f16 v136, v126, v20, v112
	v_pk_fma_f16 v137, v127, v20, v56
	;; [unrolled: 1-line block ×7, first 2 shown]
	v_and_b32_e32 v112, 0xffff, v129
	v_dual_lshrrev_b32 v95, 16, v130 :: v_dual_lshrrev_b32 v105, 16, v131
	v_and_b32_e32 v101, 0xffff, v130
	v_and_b32_e32 v96, 0xffff, v131
	v_dual_lshrrev_b32 v51, 16, v132 :: v_dual_lshrrev_b32 v56, 16, v133
	v_and_b32_e32 v57, 0xffff, v132
	;; [unrolled: 3-line block ×3, first 2 shown]
	s_wait_dscnt 0x0
	v_pk_fma_f16 v129, v122, v128, v136
	v_pk_fma_f16 v128, v123, v128, v137
	;; [unrolled: 1-line block ×16, first 2 shown]
	ds_load_2addr_b64 v[122:125], v88 offset0:64 offset1:96
	v_and_b32_e32 v6, 0xffff, v135
	ds_load_b128 v[130:133], v81 offset:848
	v_mul_u32_u24_e32 v121, 0x10001, v121
	v_mul_u32_u24_e32 v117, 0x10001, v117
	;; [unrolled: 1-line block ×16, first 2 shown]
	s_wait_dscnt 0x1
	v_pk_fma_f16 v114, v122, v58, v126
	v_pk_fma_f16 v58, v123, v58, v106
	;; [unrolled: 1-line block ×3, first 2 shown]
	ds_load_b128 v[126:129], v81 offset:832
	v_pk_fma_f16 v118, v123, v48, v118
	v_pk_fma_f16 v59, v122, v59, v102
	;; [unrolled: 1-line block ×13, first 2 shown]
	s_wait_dscnt 0x1
	v_dual_lshrrev_b32 v48, 16, v130 :: v_dual_lshrrev_b32 v58, 16, v131
	v_and_b32_e32 v59, 0xffff, v130
	v_and_b32_e32 v8, 0xffff, v131
	v_dual_lshrrev_b32 v15, 16, v132 :: v_dual_lshrrev_b32 v22, 16, v133
	s_wait_dscnt 0x0
	v_dual_lshrrev_b32 v113, 16, v126 :: v_dual_lshrrev_b32 v122, 16, v127
	v_and_b32_e32 v118, 0xffff, v126
	v_and_b32_e32 v114, 0xffff, v127
	ds_load_2addr_b64 v[124:127], v88 offset0:128 offset1:160
	v_dual_lshrrev_b32 v97, 16, v128 :: v_dual_lshrrev_b32 v106, 16, v129
	v_and_b32_e32 v102, 0xffff, v128
	v_and_b32_e32 v98, 0xffff, v129
	;; [unrolled: 1-line block ×4, first 2 shown]
	v_mul_u32_u24_e32 v48, 0x10001, v48
	v_mul_u32_u24_e32 v8, 0x10001, v8
	;; [unrolled: 1-line block ×6, first 2 shown]
	s_wait_dscnt 0x0
	v_pk_fma_f16 v123, v124, v119, v123
	v_pk_fma_f16 v119, v125, v119, v134
	;; [unrolled: 1-line block ×16, first 2 shown]
	ds_load_2addr_b64 v[124:127], v88 offset0:192 offset1:224
	ds_load_b128 v[128:131], v81 offset:864
	ds_load_b128 v[132:135], v81 offset:880
	s_wait_dscnt 0x2
	v_pk_fma_f16 v108, v124, v52, v123
	v_pk_fma_f16 v52, v125, v52, v103
	v_pk_fma_f16 v103, v125, v53, v119
	v_pk_fma_f16 v115, v125, v49, v115
	v_pk_fma_f16 v53, v124, v53, v99
	v_pk_fma_f16 v49, v124, v49, v60
	v_pk_fma_f16 v60, v125, v9, v107
	v_pk_fma_f16 v9, v124, v9, v61
	v_pk_fma_f16 v123, v126, v16, v108
	v_pk_fma_f16 v136, v127, v16, v52
	v_pk_fma_f16 v137, v127, v17, v103
	v_pk_fma_f16 v138, v127, v12, v115
	v_pk_fma_f16 v139, v126, v17, v53
	v_pk_fma_f16 v140, v126, v12, v49
	v_pk_fma_f16 v141, v127, v4, v60
	v_pk_fma_f16 v142, v126, v4, v9
	ds_load_2addr_b64 v[124:127], v89 offset1:32
	s_wait_dscnt 0x2
	v_dual_lshrrev_b32 v107, 16, v128 :: v_dual_lshrrev_b32 v119, 16, v129
	v_and_b32_e32 v115, 0xffff, v128
	v_and_b32_e32 v108, 0xffff, v129
	v_dual_lshrrev_b32 v60, 16, v130 :: v_dual_lshrrev_b32 v103, 16, v131
	v_and_b32_e32 v99, 0xffff, v130
	v_and_b32_e32 v61, 0xffff, v131
	s_wait_dscnt 0x1
	v_dual_lshrrev_b32 v49, 16, v132 :: v_dual_lshrrev_b32 v52, 16, v133
	v_and_b32_e32 v53, 0xffff, v132
	v_and_b32_e32 v9, 0xffff, v133
	v_dual_lshrrev_b32 v12, 16, v134 :: v_dual_lshrrev_b32 v16, 16, v135
	v_and_b32_e32 v17, 0xffff, v134
	v_and_b32_e32 v4, 0xffff, v135
	ds_load_b128 v[132:135], v81 offset:912
	v_mul_u32_u24_e32 v52, 0x10001, v52
	v_mul_u32_u24_e32 v53, 0x10001, v53
	s_wait_dscnt 0x1
	v_pk_fma_f16 v123, v124, v120, v123
	v_pk_fma_f16 v120, v125, v120, v136
	;; [unrolled: 1-line block ×16, first 2 shown]
	ds_load_2addr_b64 v[124:127], v89 offset0:64 offset1:96
	ds_load_b128 v[128:131], v81 offset:896
	v_mul_u32_u24_e32 v49, 0x10001, v49
	v_mul_u32_u24_e32 v9, 0x10001, v9
	;; [unrolled: 1-line block ×6, first 2 shown]
	s_wait_dscnt 0x1
	v_pk_fma_f16 v110, v124, v54, v123
	v_pk_fma_f16 v54, v125, v54, v104
	;; [unrolled: 1-line block ×16, first 2 shown]
	ds_load_2addr_b64 v[124:127], v89 offset0:128 offset1:160
	s_wait_dscnt 0x1
	v_dual_lshrrev_b32 v109, 16, v128 :: v_dual_lshrrev_b32 v120, 16, v129
	v_and_b32_e32 v116, 0xffff, v128
	v_and_b32_e32 v110, 0xffff, v129
	v_dual_lshrrev_b32 v50, 16, v130 :: v_dual_lshrrev_b32 v104, 16, v131
	v_and_b32_e32 v100, 0xffff, v130
	v_and_b32_e32 v54, 0xffff, v131
	;; [unrolled: 3-line block ×3, first 2 shown]
	v_dual_lshrrev_b32 v55, 16, v134 :: v_dual_lshrrev_b32 v93, 16, v135
	s_delay_alu instid0(VALU_DEP_4) | instskip(NEXT) | instid1(VALU_DEP_4)
	v_mul_u32_u24_e32 v18, 0x10001, v18
	v_mul_u32_u24_e32 v19, 0x10001, v19
	;; [unrolled: 1-line block ×3, first 2 shown]
	v_and_b32_e32 v94, 0xffff, v134
	v_and_b32_e32 v10, 0xffff, v135
	s_wait_dscnt 0x0
	v_pk_fma_f16 v123, v124, v121, v123
	v_pk_fma_f16 v121, v125, v121, v136
	;; [unrolled: 1-line block ×16, first 2 shown]
	ds_load_2addr_b64 v[124:127], v89 offset0:192 offset1:224
	ds_load_b128 v[128:131], v81 offset:928
	ds_load_b128 v[132:135], v81 offset:944
	v_mul_u32_u24_e32 v5, 0x10001, v5
	v_mul_u32_u24_e32 v10, 0x10001, v10
	s_wait_dscnt 0x2
	v_pk_fma_f16 v117, v125, v51, v117
	v_pk_fma_f16 v51, v124, v51, v95
	;; [unrolled: 1-line block ×12, first 2 shown]
	v_mul_u32_u24_e32 v11, 0x10001, v122
	ds_load_2addr_b64 v[122:125], v90 offset1:32
	v_pk_fma_f16 v96, v126, v20, v112
	v_pk_fma_f16 v20, v127, v20, v56
	;; [unrolled: 1-line block ×4, first 2 shown]
	s_wait_dscnt 0x2
	v_dual_lshrrev_b32 v95, 16, v128 :: v_dual_lshrrev_b32 v105, 16, v129
	v_and_b32_e32 v111, 0xffff, v128
	v_and_b32_e32 v112, 0xffff, v129
	v_dual_lshrrev_b32 v117, 16, v130 :: v_dual_lshrrev_b32 v121, 16, v131
	v_and_b32_e32 v126, 0xffff, v130
	v_and_b32_e32 v127, 0xffff, v131
	s_wait_dscnt 0x1
	v_dual_lshrrev_b32 v128, 16, v132 :: v_dual_lshrrev_b32 v129, 16, v133
	v_and_b32_e32 v130, 0xffff, v132
	v_and_b32_e32 v131, 0xffff, v133
	v_dual_lshrrev_b32 v132, 16, v134 :: v_dual_lshrrev_b32 v133, 16, v135
	v_and_b32_e32 v134, 0xffff, v134
	s_wait_dscnt 0x0
	v_pk_fma_f16 v57, v122, v11, v96
	v_pk_fma_f16 v11, v123, v11, v20
	v_mul_u32_u24_e32 v20, 0x10001, v118
	v_and_b32_e32 v135, 0xffff, v135
	s_delay_alu instid0(VALU_DEP_2) | instskip(SKIP_2) | instid1(VALU_DEP_1)
	v_pk_fma_f16 v56, v123, v20, v56
	v_pk_fma_f16 v20, v122, v20, v21
	v_mul_u32_u24_e32 v21, 0x10001, v113
	v_pk_fma_f16 v96, v123, v21, v101
	v_pk_fma_f16 v14, v122, v21, v14
	v_mul_u32_u24_e32 v21, 0x10001, v114
	s_delay_alu instid0(VALU_DEP_1) | instskip(SKIP_2) | instid1(VALU_DEP_1)
	v_pk_fma_f16 v51, v123, v21, v51
	v_pk_fma_f16 v6, v122, v21, v6
	v_mul_u32_u24_e32 v21, 0x10001, v106
	v_pk_fma_f16 v57, v124, v21, v57
	v_pk_fma_f16 v11, v125, v21, v11
	v_mul_u32_u24_e32 v21, 0x10001, v102
	s_delay_alu instid0(VALU_DEP_1) | instskip(SKIP_2) | instid1(VALU_DEP_1)
	v_pk_fma_f16 v56, v125, v21, v56
	v_pk_fma_f16 v20, v124, v21, v20
	v_mul_u32_u24_e32 v21, 0x10001, v97
	v_pk_fma_f16 v96, v125, v21, v96
	v_pk_fma_f16 v14, v124, v21, v14
	v_mul_u32_u24_e32 v21, 0x10001, v98
	s_delay_alu instid0(VALU_DEP_1)
	v_pk_fma_f16 v51, v125, v21, v51
	v_pk_fma_f16 v6, v124, v21, v6
	ds_load_2addr_b64 v[122:125], v90 offset0:64 offset1:96
	v_mul_u32_u24_e32 v21, 0x10001, v58
	v_mul_u32_u24_e32 v58, 0x10001, v59
	s_wait_dscnt 0x0
	s_delay_alu instid0(VALU_DEP_2) | instskip(SKIP_1) | instid1(VALU_DEP_3)
	v_pk_fma_f16 v97, v122, v21, v57
	v_pk_fma_f16 v11, v123, v21, v11
	;; [unrolled: 1-line block ×6, first 2 shown]
	ds_load_b128 v[56:59], v81 offset:960
	v_pk_fma_f16 v48, v123, v8, v51
	v_pk_fma_f16 v6, v122, v8, v6
	;; [unrolled: 1-line block ×6, first 2 shown]
	ds_load_b128 v[20:23], v81 offset:976
	v_pk_fma_f16 v96, v125, v15, v96
	v_pk_fma_f16 v14, v124, v15, v14
	v_pk_fma_f16 v15, v125, v7, v48
	v_pk_fma_f16 v6, v124, v7, v6
	v_mul_u32_u24_e32 v7, 0x10001, v119
	s_wait_dscnt 0x1
	v_dual_lshrrev_b32 v48, 16, v56 :: v_dual_lshrrev_b32 v98, 16, v57
	v_and_b32_e32 v101, 0xffff, v56
	v_mul_u32_u24_e32 v56, 0x10001, v107
	v_and_b32_e32 v102, 0xffff, v57
	v_dual_lshrrev_b32 v106, 16, v58 :: v_dual_lshrrev_b32 v113, 16, v59
	s_wait_dscnt 0x0
	v_dual_lshrrev_b32 v122, 16, v20 :: v_dual_lshrrev_b32 v123, 16, v21
	v_and_b32_e32 v124, 0xffff, v20
	v_and_b32_e32 v125, 0xffff, v21
	v_dual_lshrrev_b32 v136, 16, v22 :: v_dual_lshrrev_b32 v137, 16, v23
	v_and_b32_e32 v138, 0xffff, v22
	v_and_b32_e32 v139, 0xffff, v23
	ds_load_2addr_b64 v[20:23], v90 offset0:128 offset1:160
	v_and_b32_e32 v114, 0xffff, v58
	v_and_b32_e32 v118, 0xffff, v59
	v_mul_u32_u24_e32 v98, 0x10001, v98
	v_mul_u32_u24_e32 v101, 0x10001, v101
	;; [unrolled: 1-line block ×7, first 2 shown]
	s_wait_dscnt 0x0
	v_pk_fma_f16 v8, v20, v7, v8
	v_pk_fma_f16 v7, v21, v7, v11
	v_mul_u32_u24_e32 v11, 0x10001, v115
	v_pk_fma_f16 v57, v21, v56, v96
	v_pk_fma_f16 v14, v20, v56, v14
	v_mul_u32_u24_e32 v56, 0x10001, v108
	s_delay_alu instid0(VALU_DEP_4) | instskip(SKIP_1) | instid1(VALU_DEP_3)
	v_pk_fma_f16 v51, v21, v11, v51
	v_pk_fma_f16 v11, v20, v11, v97
	;; [unrolled: 1-line block ×3, first 2 shown]
	v_mul_u32_u24_e32 v20, 0x10001, v103
	v_pk_fma_f16 v15, v21, v56, v15
	s_delay_alu instid0(VALU_DEP_2) | instskip(SKIP_2) | instid1(VALU_DEP_1)
	v_pk_fma_f16 v8, v22, v20, v8
	v_pk_fma_f16 v7, v23, v20, v7
	v_mul_u32_u24_e32 v20, 0x10001, v99
	v_pk_fma_f16 v51, v23, v20, v51
	v_pk_fma_f16 v11, v22, v20, v11
	v_mul_u32_u24_e32 v20, 0x10001, v60
	s_delay_alu instid0(VALU_DEP_1) | instskip(SKIP_2) | instid1(VALU_DEP_1)
	v_pk_fma_f16 v56, v23, v20, v57
	v_pk_fma_f16 v14, v22, v20, v14
	v_mul_u32_u24_e32 v20, 0x10001, v61
	v_pk_fma_f16 v15, v23, v20, v15
	v_pk_fma_f16 v6, v22, v20, v6
	ds_load_2addr_b64 v[20:23], v90 offset0:192 offset1:224
	s_wait_dscnt 0x0
	v_pk_fma_f16 v8, v20, v52, v8
	v_pk_fma_f16 v7, v21, v52, v7
	;; [unrolled: 1-line block ×6, first 2 shown]
	ds_load_b128 v[56:59], v81 offset:992
	v_pk_fma_f16 v15, v21, v9, v15
	v_pk_fma_f16 v20, v20, v9, v6
	;; [unrolled: 1-line block ×4, first 2 shown]
	ds_load_b128 v[6:9], v81 offset:1008
	v_pk_fma_f16 v49, v23, v17, v51
	v_pk_fma_f16 v51, v23, v12, v52
	v_pk_fma_f16 v12, v22, v12, v14
	v_pk_fma_f16 v14, v23, v4, v15
	v_mul_u32_u24_e32 v15, 0x10001, v120
	v_pk_fma_f16 v11, v22, v17, v11
	v_pk_fma_f16 v4, v22, v4, v20
	v_mul_u32_u24_e32 v22, 0x10001, v93
	v_mul_u32_u24_e32 v23, 0x10001, v94
	;; [unrolled: 1-line block ×7, first 2 shown]
	s_wait_dscnt 0x1
	v_dual_lshrrev_b32 v52, 16, v56 :: v_dual_lshrrev_b32 v53, 16, v57
	v_and_b32_e32 v56, 0xffff, v56
	v_and_b32_e32 v57, 0xffff, v57
	v_mul_u32_u24_e32 v124, 0x10001, v138
	s_wait_dscnt 0x0
	v_dual_lshrrev_b32 v96, 16, v6 :: v_dual_lshrrev_b32 v97, 16, v7
	v_and_b32_e32 v99, 0xffff, v6
	v_and_b32_e32 v103, 0xffff, v7
	v_dual_lshrrev_b32 v107, 16, v8 :: v_dual_lshrrev_b32 v108, 16, v9
	v_and_b32_e32 v115, 0xffff, v8
	v_and_b32_e32 v119, 0xffff, v9
	ds_load_2addr_b64 v[6:9], v91 offset1:32
	v_mul_u32_u24_e32 v125, 0x10001, v136
	v_mul_u32_u24_e32 v126, 0x10001, v139
	v_dual_lshrrev_b32 v60, 16, v58 :: v_dual_lshrrev_b32 v61, 16, v59
	v_and_b32_e32 v58, 0xffff, v58
	v_and_b32_e32 v59, 0xffff, v59
	v_mul_u32_u24_e32 v53, 0x10001, v53
	v_mul_u32_u24_e32 v56, 0x10001, v56
	;; [unrolled: 1-line block ×13, first 2 shown]
	s_wait_dscnt 0x0
	v_pk_fma_f16 v17, v6, v15, v21
	v_pk_fma_f16 v15, v7, v15, v16
	v_mul_u32_u24_e32 v16, 0x10001, v116
	v_mul_u32_u24_e32 v116, 0x10001, v135
	;; [unrolled: 1-line block ×5, first 2 shown]
	v_pk_fma_f16 v20, v7, v16, v49
	v_pk_fma_f16 v11, v6, v16, v11
	v_mul_u32_u24_e32 v16, 0x10001, v109
	v_mul_u32_u24_e32 v49, 0x10001, v55
	v_mul_u32_u24_e32 v109, 0x10001, v131
	s_delay_alu instid0(VALU_DEP_3)
	v_pk_fma_f16 v21, v7, v16, v51
	v_pk_fma_f16 v12, v6, v16, v12
	v_mul_u32_u24_e32 v16, 0x10001, v110
	v_mul_u32_u24_e32 v51, 0x10001, v95
	;; [unrolled: 1-line block ×5, first 2 shown]
	v_pk_fma_f16 v4, v6, v16, v4
	v_mul_u32_u24_e32 v6, 0x10001, v104
	v_pk_fma_f16 v7, v7, v16, v14
	v_mul_u32_u24_e32 v104, 0x10001, v130
	v_mul_u32_u24_e32 v118, 0x10001, v123
	;; [unrolled: 1-line block ×3, first 2 shown]
	v_pk_fma_f16 v14, v8, v6, v17
	v_pk_fma_f16 v15, v9, v6, v15
	v_mul_u32_u24_e32 v6, 0x10001, v100
	v_mul_u32_u24_e32 v100, 0x10001, v129
	s_delay_alu instid0(VALU_DEP_2) | instskip(SKIP_2) | instid1(VALU_DEP_1)
	v_pk_fma_f16 v16, v9, v6, v20
	v_pk_fma_f16 v11, v8, v6, v11
	v_mul_u32_u24_e32 v6, 0x10001, v50
	v_pk_fma_f16 v17, v9, v6, v21
	v_pk_fma_f16 v12, v8, v6, v12
	v_mul_u32_u24_e32 v6, 0x10001, v54
	s_delay_alu instid0(VALU_DEP_1)
	v_pk_fma_f16 v20, v9, v6, v7
	v_pk_fma_f16 v4, v8, v6, v4
	ds_load_2addr_b64 v[6:9], v91 offset0:64 offset1:96
	s_wait_dscnt 0x0
	v_pk_fma_f16 v21, v6, v18, v14
	v_pk_fma_f16 v18, v7, v18, v15
	;; [unrolled: 1-line block ×6, first 2 shown]
	ds_load_2addr_b64 v[12:15], v91 offset0:128 offset1:160
	v_pk_fma_f16 v50, v6, v5, v4
	v_pk_fma_f16 v20, v7, v5, v20
	;; [unrolled: 1-line block ×8, first 2 shown]
	ds_load_2addr_b64 v[4:7], v91 offset0:192 offset1:224
	v_pk_fma_f16 v23, v8, v10, v50
	v_mul_u32_u24_e32 v49, 0x10001, v105
	v_mul_u32_u24_e32 v50, 0x10001, v111
	v_pk_fma_f16 v20, v9, v10, v20
	ds_load_2addr_b64 v[8:11], v92 offset1:32
	v_mul_u32_u24_e32 v105, 0x10001, v128
	v_mul_u32_u24_e32 v111, 0x10001, v134
	s_wait_dscnt 0x2
	v_pk_fma_f16 v21, v12, v49, v21
	v_pk_fma_f16 v49, v13, v49, v18
	;; [unrolled: 1-line block ×6, first 2 shown]
	v_mul_u32_u24_e32 v51, 0x10001, v112
	v_pk_fma_f16 v49, v15, v93, v49
	v_pk_fma_f16 v54, v15, v94, v54
	;; [unrolled: 1-line block ×8, first 2 shown]
	v_mul_u32_u24_e32 v94, 0x10001, v127
	ds_load_2addr_b64 v[16:19], v92 offset0:64 offset1:96
	v_mul_u32_u24_e32 v112, 0x10001, v132
	s_wait_dscnt 0x2
	v_pk_fma_f16 v51, v4, v100, v51
	v_pk_fma_f16 v49, v5, v100, v49
	;; [unrolled: 1-line block ×18, first 2 shown]
	ds_load_2addr_b64 v[20:23], v92 offset0:128 offset1:160
	s_wait_dscnt 0x2
	v_pk_fma_f16 v6, v8, v98, v51
	v_pk_fma_f16 v49, v9, v98, v49
	;; [unrolled: 1-line block ×16, first 2 shown]
	ds_load_2addr_b64 v[12:15], v92 offset0:192 offset1:224
	s_wait_dscnt 0x2
	v_pk_fma_f16 v6, v16, v118, v6
	v_pk_fma_f16 v10, v17, v120, v48
	;; [unrolled: 1-line block ×8, first 2 shown]
	s_wait_dscnt 0x0
	s_barrier_signal -1
	s_barrier_wait -1
	s_load_b32 s2, s[46:47], 0x4
	v_pk_fma_f16 v6, v18, v123, v6
	v_pk_fma_f16 v10, v19, v124, v10
	;; [unrolled: 1-line block ×32, first 2 shown]
	s_wait_kmcnt 0x0
	s_lshl_b32 s2, s2, 7
	v_pk_fma_f16 v93, v14, v108, v6
	v_pk_fma_f16 v100, v15, v115, v10
	;; [unrolled: 1-line block ×8, first 2 shown]
	s_add_co_i32 s18, s2, s18
	s_delay_alu instid0(SALU_CYCLE_1)
	s_cmp_ge_i32 s18, s38
	s_cbranch_scc0 .LBB21_9
; %bb.10:
	v_mov_b32_e32 v4, v67
.LBB21_11:
	v_cmp_lt_i32_e32 vcc_lo, v73, v68
	s_cmp_lg_u64 s[20:21], 0
	s_cselect_b32 s2, -1, 0
	s_cmp_eq_u32 s33, 0
	v_cndmask_b32_e32 v5, v4, v73, vcc_lo
	v_cmp_lt_i32_e32 vcc_lo, v72, v68
	s_cselect_b32 s3, -1, 0
	s_delay_alu instid0(SALU_CYCLE_1) | instskip(NEXT) | instid1(VALU_DEP_2)
	s_and_b32 s2, s3, s2
	v_lshlrev_b32_e32 v5, 2, v5
	ds_bpermute_b32 v6, v5, v28
	ds_bpermute_b32 v7, v5, v29
	;; [unrolled: 1-line block ×4, first 2 shown]
	v_cndmask_b32_e32 v5, v4, v72, vcc_lo
	v_cmp_lt_i32_e32 vcc_lo, v71, v68
	s_delay_alu instid0(VALU_DEP_2)
	v_lshlrev_b32_e32 v5, 2, v5
	s_wait_dscnt 0x2
	v_pk_add_f32 v[6:7], v[28:29], v[6:7]
	s_wait_dscnt 0x0
	v_pk_add_f32 v[8:9], v[26:27], v[8:9]
	ds_bpermute_b32 v10, v5, v6
	ds_bpermute_b32 v11, v5, v7
	;; [unrolled: 1-line block ×4, first 2 shown]
	v_cndmask_b32_e32 v5, v4, v71, vcc_lo
	v_cmp_lt_i32_e32 vcc_lo, v70, v68
	s_delay_alu instid0(VALU_DEP_2)
	v_lshlrev_b32_e32 v5, 2, v5
	s_wait_dscnt 0x2
	v_pk_add_f32 v[6:7], v[6:7], v[10:11]
	s_wait_dscnt 0x0
	v_pk_add_f32 v[8:9], v[8:9], v[12:13]
	ds_bpermute_b32 v10, v5, v6
	ds_bpermute_b32 v11, v5, v7
	;; [unrolled: 1-line block ×4, first 2 shown]
	v_cndmask_b32_e32 v5, v4, v70, vcc_lo
	v_cmp_lt_i32_e32 vcc_lo, v69, v68
	s_delay_alu instid0(VALU_DEP_2) | instskip(SKIP_2) | instid1(VALU_DEP_1)
	v_lshlrev_b32_e32 v5, 2, v5
	v_cndmask_b32_e32 v4, v4, v69, vcc_lo
	s_and_b32 vcc_lo, exec_lo, s2
	v_lshlrev_b32_e32 v14, 2, v4
	s_wait_dscnt 0x2
	v_pk_add_f32 v[6:7], v[6:7], v[10:11]
	s_wait_dscnt 0x0
	v_pk_add_f32 v[8:9], v[8:9], v[12:13]
	ds_bpermute_b32 v10, v5, v6
	ds_bpermute_b32 v11, v5, v7
	;; [unrolled: 1-line block ×4, first 2 shown]
	s_wait_dscnt 0x2
	v_pk_add_f32 v[4:5], v[6:7], v[10:11]
	s_wait_dscnt 0x0
	v_pk_add_f32 v[8:9], v[8:9], v[12:13]
	ds_bpermute_b32 v6, v14, v4
	ds_bpermute_b32 v7, v14, v5
	ds_bpermute_b32 v10, v14, v8
	ds_bpermute_b32 v11, v14, v9
	s_wait_dscnt 0x2
	v_pk_add_f32 v[6:7], v[4:5], v[6:7]
	s_wait_dscnt 0x0
	v_pk_add_f32 v[4:5], v[8:9], v[10:11]
	s_cbranch_vccz .LBB21_13
; %bb.12:
	s_ashr_i32 s37, s36, 31
	v_dual_mov_b32 v8, 0 :: v_dual_max_num_f32 v12, v0, v0
	s_lshl_b64 s[2:3], s[36:37], 2
	v_dual_max_num_f32 v13, v1, v1 :: v_dual_max_num_f32 v14, v2, v2
	s_add_nc_u64 s[2:3], s[20:21], s[2:3]
	v_max_num_f32_e32 v16, v3, v3
	global_load_b128 v[8:11], v8, s[2:3]
	s_wait_loadcnt 0x0
	v_dual_max_num_f32 v15, v8, v8 :: v_dual_max_num_f32 v17, v9, v9
	v_dual_max_num_f32 v18, v10, v10 :: v_dual_max_num_f32 v19, v11, v11
	s_delay_alu instid0(VALU_DEP_2) | instskip(NEXT) | instid1(VALU_DEP_2)
	v_dual_max_num_f32 v12, v12, v15 :: v_dual_max_num_f32 v13, v13, v17
	v_dual_max_num_f32 v14, v14, v18 :: v_dual_max_num_f32 v15, v16, v19
	s_delay_alu instid0(VALU_DEP_2) | instskip(NEXT) | instid1(VALU_DEP_2)
	v_dual_sub_f32 v0, v0, v12 :: v_dual_sub_f32 v9, v9, v13
	v_dual_sub_f32 v8, v8, v12 :: v_dual_sub_f32 v16, v2, v14
	s_delay_alu instid0(VALU_DEP_3) | instskip(NEXT) | instid1(VALU_DEP_3)
	v_dual_sub_f32 v1, v1, v13 :: v_dual_sub_f32 v11, v11, v15
	v_mul_f32_e32 v2, 0x3fb8aa3b, v0
	v_dual_sub_f32 v10, v10, v14 :: v_dual_sub_f32 v17, v3, v15
	s_delay_alu instid0(VALU_DEP_3) | instskip(SKIP_1) | instid1(VALU_DEP_4)
	v_dual_mul_f32 v3, 0x3fb8aa3b, v8 :: v_dual_mul_f32 v18, 0x3fb8aa3b, v1
	v_dual_mul_f32 v19, 0x3fb8aa3b, v9 :: v_dual_mul_f32 v20, 0x3fb8aa3b, v16
	v_fma_f32 v24, 0x3fb8aa3b, v0, -v2
	v_rndne_f32_e32 v25, v2
	v_mul_f32_e32 v23, 0x3fb8aa3b, v11
	v_fma_f32 v26, 0x3fb8aa3b, v8, -v3
	v_rndne_f32_e32 v27, v3
	v_fma_f32 v30, 0x3fb8aa3b, v9, -v19
	v_rndne_f32_e32 v31, v19
	v_rndne_f32_e32 v33, v20
	s_delay_alu instid0(VALU_DEP_4) | instskip(SKIP_4) | instid1(VALU_DEP_4)
	v_dual_fmac_f32 v24, 0x32a5705f, v0 :: v_dual_sub_f32 v3, v3, v27
	v_sub_f32_e32 v2, v2, v25
	v_fma_f32 v32, 0x3fb8aa3b, v16, -v20
	v_dual_fmac_f32 v26, 0x32a5705f, v8 :: v_dual_sub_f32 v19, v19, v31
	v_fmac_f32_e32 v30, 0x32a5705f, v9
	v_dual_sub_f32 v20, v20, v33 :: v_dual_add_f32 v2, v2, v24
	v_dual_mul_f32 v21, 0x3fb8aa3b, v10 :: v_dual_mul_f32 v22, 0x3fb8aa3b, v17
	v_fma_f32 v28, 0x3fb8aa3b, v1, -v18
	v_rndne_f32_e32 v29, v18
	v_dual_add_f32 v3, v3, v26 :: v_dual_fmac_f32 v32, 0x32a5705f, v16
	v_add_f32_e32 v19, v19, v30
	v_exp_f32_e32 v2, v2
	v_rndne_f32_e32 v35, v21
	v_rndne_f32_e32 v39, v23
	v_cvt_i32_f32_e32 v25, v25
	v_fmac_f32_e32 v28, 0x32a5705f, v1
	v_sub_f32_e32 v18, v18, v29
	v_exp_f32_e32 v3, v3
	v_exp_f32_e32 v19, v19
	v_fma_f32 v34, 0x3fb8aa3b, v10, -v21
	v_fma_f32 v38, 0x3fb8aa3b, v11, -v23
	v_cvt_i32_f32_e32 v27, v27
	v_cvt_i32_f32_e32 v31, v31
	v_sub_f32_e32 v21, v21, v35
	v_dual_sub_f32 v23, v23, v39 :: v_dual_add_f32 v18, v18, v28
	v_ldexp_f32 v2, v2, v25
	v_cmp_ngt_f32_e32 vcc_lo, 0xc2ce8ed0, v0
	v_fma_f32 v36, 0x3fb8aa3b, v17, -v22
	v_rndne_f32_e32 v37, v22
	v_exp_f32_e32 v18, v18
	v_ldexp_f32 v3, v3, v27
	v_ldexp_f32 v19, v19, v31
	v_cndmask_b32_e32 v2, 0, v2, vcc_lo
	v_cmp_ngt_f32_e32 vcc_lo, 0xc2ce8ed0, v8
	v_cvt_i32_f32_e32 v29, v29
	v_fmac_f32_e32 v34, 0x32a5705f, v10
	v_dual_sub_f32 v22, v22, v37 :: v_dual_add_f32 v20, v20, v32
	v_dual_cndmask_b32 v3, 0, v3 :: v_dual_fmac_f32 v36, 0x32a5705f, v17
	s_delay_alu instid0(VALU_DEP_3)
	v_add_f32_e32 v21, v21, v34
	v_ldexp_f32 v18, v18, v29
	v_cmp_ngt_f32_e32 vcc_lo, 0xc2ce8ed0, v1
	v_exp_f32_e32 v20, v20
	v_add_f32_e32 v22, v22, v36
	v_cvt_i32_f32_e32 v33, v33
	v_exp_f32_e32 v21, v21
	v_cndmask_b32_e32 v18, 0, v18, vcc_lo
	v_cmp_ngt_f32_e32 vcc_lo, 0xc2ce8ed0, v9
	v_exp_f32_e32 v22, v22
	v_cvt_i32_f32_e32 v35, v35
	v_cvt_i32_f32_e32 v37, v37
	v_ldexp_f32 v20, v20, v33
	v_cndmask_b32_e32 v19, 0, v19, vcc_lo
	v_cmp_ngt_f32_e32 vcc_lo, 0xc2ce8ed0, v16
	v_ldexp_f32 v21, v21, v35
	v_ldexp_f32 v22, v22, v37
	v_cvt_i32_f32_e32 v39, v39
	v_cndmask_b32_e32 v20, 0, v20, vcc_lo
	v_cmp_ngt_f32_e32 vcc_lo, 0xc2ce8ed0, v10
	v_dual_fmac_f32 v38, 0x32a5705f, v11 :: v_dual_cndmask_b32 v21, 0, v21
	s_delay_alu instid0(VALU_DEP_1) | instskip(SKIP_1) | instid1(VALU_DEP_2)
	v_add_f32_e32 v23, v23, v38
	v_cmp_ngt_f32_e32 vcc_lo, 0xc2ce8ed0, v17
	v_exp_f32_e32 v23, v23
	v_cndmask_b32_e32 v22, 0, v22, vcc_lo
	v_cmp_ngt_f32_e32 vcc_lo, 0xc2ce8ed0, v11
	s_delay_alu instid0(TRANS32_DEP_1) | instskip(NEXT) | instid1(VALU_DEP_1)
	v_ldexp_f32 v23, v23, v39
	v_cndmask_b32_e32 v23, 0, v23, vcc_lo
	v_cmp_nlt_f32_e32 vcc_lo, 0x42b17218, v0
	v_cndmask_b32_e32 v0, 0x7f800000, v2, vcc_lo
	v_cmp_nlt_f32_e32 vcc_lo, 0x42b17218, v8
	;; [unrolled: 2-line block ×5, first 2 shown]
	v_cvt_f16_f32_e32 v16, v0
	s_delay_alu instid0(VALU_DEP_3) | instskip(SKIP_2) | instid1(VALU_DEP_4)
	v_pk_fma_f32 v[6:7], v[6:7], v[0:1], v[2:3]
	v_cndmask_b32_e32 v8, 0x7f800000, v20, vcc_lo
	v_cmp_nlt_f32_e32 vcc_lo, 0x42b17218, v10
	v_and_b32_e32 v16, 0xffff, v16
	s_delay_alu instid0(VALU_DEP_3)
	v_cvt_f16_f32_e32 v18, v8
	v_cndmask_b32_e32 v10, 0x7f800000, v21, vcc_lo
	v_cmp_nlt_f32_e32 vcc_lo, 0x42b17218, v17
	v_cvt_f16_f32_e32 v17, v1
	v_mul_u32_u24_e32 v3, 0x10001, v16
	v_and_b32_e32 v1, 0xffff, v18
	v_cndmask_b32_e32 v9, 0x7f800000, v22, vcc_lo
	s_delay_alu instid0(VALU_DEP_4) | instskip(SKIP_1) | instid1(VALU_DEP_4)
	v_and_b32_e32 v0, 0xffff, v17
	v_cmp_nlt_f32_e32 vcc_lo, 0x42b17218, v11
	v_mul_u32_u24_e32 v1, 0x10001, v1
	v_pk_mul_f16 v99, v99, v3
	v_cvt_f16_f32_e32 v19, v9
	v_mul_u32_u24_e32 v0, 0x10001, v0
	v_cndmask_b32_e32 v11, 0x7f800000, v23, vcc_lo
	v_pk_mul_f16 v100, v100, v3
	v_pk_mul_f16 v96, v96, v1
	v_and_b32_e32 v2, 0xffff, v19
	v_pk_mul_f16 v98, v98, v0
	v_pk_mul_f16 v97, v97, v0
	;; [unrolled: 1-line block ×3, first 2 shown]
	v_pk_fma_f32 v[4:5], v[4:5], v[8:9], v[10:11]
	v_mul_u32_u24_e32 v2, 0x10001, v2
	s_delay_alu instid0(VALU_DEP_1)
	v_pk_mul_f16 v93, v93, v2
	v_pk_mul_f16 v94, v94, v2
	v_mov_b64_e32 v[0:1], v[12:13]
	v_mov_b64_e32 v[2:3], v[14:15]
.LBB21_13:
	s_mov_b32 s2, exec_lo
	v_cmpx_gt_i32_e64 s30, v63
	s_cbranch_execz .LBB21_30
; %bb.14:
	s_load_b32 s0, s[0:1], 0xd4
	v_mov_b32_e32 v8, 1.0
	s_wait_kmcnt 0x0
	s_cmp_lg_u32 s0, 1
	s_cselect_b32 s1, -1, 0
	s_cmp_eq_u32 s0, 1
	s_cselect_b32 s2, -1, 0
	s_and_b32 vcc_lo, exec_lo, s1
	s_cbranch_vccnz .LBB21_16
; %bb.15:
	v_div_scale_f32 v8, null, v6, v6, 1.0
	s_delay_alu instid0(VALU_DEP_1) | instskip(SKIP_1) | instid1(TRANS32_DEP_1)
	v_rcp_f32_e32 v9, v8
	v_nop
	v_fma_f32 v10, -v8, v9, 1.0
	s_delay_alu instid0(VALU_DEP_1) | instskip(SKIP_1) | instid1(VALU_DEP_1)
	v_fmac_f32_e32 v9, v10, v9
	v_div_scale_f32 v10, vcc_lo, 1.0, v6, 1.0
	v_mul_f32_e32 v11, v10, v9
	s_delay_alu instid0(VALU_DEP_1) | instskip(NEXT) | instid1(VALU_DEP_1)
	v_fma_f32 v12, -v8, v11, v10
	v_fmac_f32_e32 v11, v12, v9
	s_delay_alu instid0(VALU_DEP_1) | instskip(NEXT) | instid1(VALU_DEP_1)
	v_fma_f32 v8, -v8, v11, v10
	v_div_fmas_f32 v8, v8, v9, v11
	s_delay_alu instid0(VALU_DEP_1)
	v_div_fixup_f32 v8, v8, v6, 1.0
.LBB21_16:
	v_mad_u32 v9, s34, s30, v63
	v_dual_lshrrev_b32 v11, 16, v99 :: v_dual_mov_b32 v13, 0
	v_lshrrev_b32_e32 v15, 16, v100
	v_cvt_f32_f16_e32 v10, v99
	v_cvt_f32_f16_e32 v14, v100
	s_delay_alu instid0(VALU_DEP_4) | instskip(SKIP_4) | instid1(VALU_DEP_1)
	v_cvt_f32_f16_e32 v11, v11
	v_cmp_eq_u32_e32 vcc_lo, 0, v62
	v_cvt_f32_f16_e32 v15, v15
	v_mad_u32 v9, v9, s31, s36
	s_and_b32 s1, vcc_lo, s1
	v_mad_u32 v9, s0, v9, s33
	s_delay_alu instid0(VALU_DEP_1) | instskip(SKIP_1) | instid1(VALU_DEP_2)
	v_lshl_add_u32 v12, v9, 7, v64
	v_pk_mul_f32 v[10:11], v[8:9], v[10:11] op_sel_hi:[0,1]
	v_lshl_add_u64 v[16:17], v[12:13], 2, s[24:25]
	v_pk_mul_f32 v[12:13], v[8:9], v[14:15] op_sel_hi:[0,1]
	global_store_b128 v[16:17], v[10:13], off
	s_wait_xcnt 0x0
	s_and_saveexec_b32 s3, s1
	s_cbranch_execz .LBB21_18
; %bb.17:
	v_dual_mov_b32 v10, v0 :: v_dual_mov_b32 v11, v6
	global_store_b64 v9, v[10:11], s[26:27] scale_offset
.LBB21_18:
	s_wait_xcnt 0x0
	s_or_b32 exec_lo, exec_lo, s3
	v_cndmask_b32_e64 v8, 0, 1, s2
	v_mov_b32_e32 v0, 1.0
	s_and_not1_b32 vcc_lo, exec_lo, s2
	s_cbranch_vccnz .LBB21_20
; %bb.19:
	v_div_scale_f32 v0, null, v7, v7, 1.0
	s_delay_alu instid0(VALU_DEP_1) | instskip(SKIP_1) | instid1(TRANS32_DEP_1)
	v_rcp_f32_e32 v6, v0
	v_nop
	v_fma_f32 v10, -v0, v6, 1.0
	s_delay_alu instid0(VALU_DEP_1) | instskip(SKIP_1) | instid1(VALU_DEP_1)
	v_fmac_f32_e32 v6, v10, v6
	v_div_scale_f32 v10, vcc_lo, 1.0, v7, 1.0
	v_mul_f32_e32 v11, v10, v6
	s_delay_alu instid0(VALU_DEP_1) | instskip(NEXT) | instid1(VALU_DEP_1)
	v_fma_f32 v12, -v0, v11, v10
	v_fmac_f32_e32 v11, v12, v6
	s_delay_alu instid0(VALU_DEP_1) | instskip(NEXT) | instid1(VALU_DEP_1)
	v_fma_f32 v0, -v0, v11, v10
	v_div_fmas_f32 v0, v0, v6, v11
	s_delay_alu instid0(VALU_DEP_1)
	v_div_fixup_f32 v0, v0, v7, 1.0
.LBB21_20:
	v_dual_add_nc_u32 v9, s0, v9 :: v_dual_lshrrev_b32 v6, 16, v98
	v_dual_mov_b32 v11, 0 :: v_dual_lshrrev_b32 v15, 16, v97
	v_cvt_f32_f16_e32 v12, v98
	s_delay_alu instid0(VALU_DEP_3) | instskip(NEXT) | instid1(VALU_DEP_4)
	v_lshl_add_u32 v10, v9, 7, v64
	v_cvt_f32_f16_e32 v13, v6
	v_cvt_f32_f16_e32 v14, v97
	;; [unrolled: 1-line block ×3, first 2 shown]
	s_delay_alu instid0(VALU_DEP_4) | instskip(NEXT) | instid1(VALU_DEP_4)
	v_lshl_add_u64 v[16:17], v[10:11], 2, s[24:25]
	v_pk_mul_f32 v[10:11], v[0:1], v[12:13] op_sel_hi:[0,1]
	s_delay_alu instid0(VALU_DEP_3)
	v_pk_mul_f32 v[12:13], v[0:1], v[14:15] op_sel_hi:[0,1]
	global_store_b128 v[16:17], v[10:13], off
	s_wait_xcnt 0x0
	s_and_saveexec_b32 s2, s1
	s_cbranch_execz .LBB21_22
; %bb.21:
	v_mov_b32_e32 v6, v1
	global_store_b64 v9, v[6:7], s[26:27] scale_offset
.LBB21_22:
	s_wait_xcnt 0x0
	s_or_b32 exec_lo, exec_lo, s2
	v_cmp_ne_u32_e32 vcc_lo, 1, v8
	v_mov_b32_e32 v0, 1.0
	s_cbranch_vccnz .LBB21_24
; %bb.23:
	v_div_scale_f32 v0, null, v4, v4, 1.0
	s_delay_alu instid0(VALU_DEP_1) | instskip(SKIP_1) | instid1(TRANS32_DEP_1)
	v_rcp_f32_e32 v1, v0
	v_nop
	v_fma_f32 v6, -v0, v1, 1.0
	s_delay_alu instid0(VALU_DEP_1) | instskip(SKIP_1) | instid1(VALU_DEP_1)
	v_fmac_f32_e32 v1, v6, v1
	v_div_scale_f32 v6, vcc_lo, 1.0, v4, 1.0
	v_mul_f32_e32 v7, v6, v1
	s_delay_alu instid0(VALU_DEP_1) | instskip(NEXT) | instid1(VALU_DEP_1)
	v_fma_f32 v10, -v0, v7, v6
	v_fmac_f32_e32 v7, v10, v1
	s_delay_alu instid0(VALU_DEP_1) | instskip(NEXT) | instid1(VALU_DEP_1)
	v_fma_f32 v0, -v0, v7, v6
	v_div_fmas_f32 v0, v0, v1, v7
	s_delay_alu instid0(VALU_DEP_1)
	v_div_fixup_f32 v0, v0, v4, 1.0
.LBB21_24:
	v_dual_add_nc_u32 v1, s0, v9 :: v_dual_lshrrev_b32 v9, 16, v96
	v_dual_mov_b32 v7, 0 :: v_dual_lshrrev_b32 v13, 16, v95
	v_cvt_f32_f16_e32 v10, v96
	s_delay_alu instid0(VALU_DEP_3) | instskip(NEXT) | instid1(VALU_DEP_4)
	v_lshl_add_u32 v6, v1, 7, v64
	v_cvt_f32_f16_e32 v11, v9
	v_cvt_f32_f16_e32 v12, v95
	;; [unrolled: 1-line block ×3, first 2 shown]
	s_delay_alu instid0(VALU_DEP_4) | instskip(NEXT) | instid1(VALU_DEP_4)
	v_lshl_add_u64 v[6:7], v[6:7], 2, s[24:25]
	v_pk_mul_f32 v[10:11], v[0:1], v[10:11] op_sel_hi:[0,1]
	s_delay_alu instid0(VALU_DEP_3)
	v_pk_mul_f32 v[12:13], v[0:1], v[12:13] op_sel_hi:[0,1]
	global_store_b128 v[6:7], v[10:13], off
	s_wait_xcnt 0x0
	s_and_saveexec_b32 s2, s1
	s_cbranch_execz .LBB21_26
; %bb.25:
	v_dual_mov_b32 v6, v2 :: v_dual_mov_b32 v7, v4
	global_store_b64 v1, v[6:7], s[26:27] scale_offset
.LBB21_26:
	s_wait_xcnt 0x0
	s_or_b32 exec_lo, exec_lo, s2
	v_cmp_ne_u32_e32 vcc_lo, 1, v8
	v_mov_b32_e32 v0, 1.0
	s_cbranch_vccnz .LBB21_28
; %bb.27:
	v_div_scale_f32 v0, null, v5, v5, 1.0
	s_delay_alu instid0(VALU_DEP_1) | instskip(SKIP_1) | instid1(TRANS32_DEP_1)
	v_rcp_f32_e32 v2, v0
	v_nop
	v_fma_f32 v4, -v0, v2, 1.0
	s_delay_alu instid0(VALU_DEP_1) | instskip(SKIP_1) | instid1(VALU_DEP_1)
	v_fmac_f32_e32 v2, v4, v2
	v_div_scale_f32 v4, vcc_lo, 1.0, v5, 1.0
	v_mul_f32_e32 v6, v4, v2
	s_delay_alu instid0(VALU_DEP_1) | instskip(NEXT) | instid1(VALU_DEP_1)
	v_fma_f32 v7, -v0, v6, v4
	v_fmac_f32_e32 v6, v7, v2
	s_delay_alu instid0(VALU_DEP_1) | instskip(NEXT) | instid1(VALU_DEP_1)
	v_fma_f32 v0, -v0, v6, v4
	v_div_fmas_f32 v0, v0, v2, v6
	s_delay_alu instid0(VALU_DEP_1)
	v_div_fixup_f32 v0, v0, v5, 1.0
.LBB21_28:
	v_dual_add_nc_u32 v1, s0, v1 :: v_dual_mov_b32 v7, 0
	v_dual_lshrrev_b32 v2, 16, v93 :: v_dual_lshrrev_b32 v4, 16, v94
	v_cvt_f32_f16_e32 v8, v93
	s_delay_alu instid0(VALU_DEP_3) | instskip(SKIP_1) | instid1(VALU_DEP_4)
	v_lshl_add_u32 v6, v1, 7, v64
	v_cvt_f32_f16_e32 v10, v94
	v_cvt_f32_f16_e32 v9, v2
	;; [unrolled: 1-line block ×3, first 2 shown]
	s_delay_alu instid0(VALU_DEP_4) | instskip(NEXT) | instid1(VALU_DEP_3)
	v_lshl_add_u64 v[12:13], v[6:7], 2, s[24:25]
	v_pk_mul_f32 v[6:7], v[0:1], v[8:9] op_sel_hi:[0,1]
	s_delay_alu instid0(VALU_DEP_3)
	v_pk_mul_f32 v[8:9], v[0:1], v[10:11] op_sel_hi:[0,1]
	global_store_b128 v[12:13], v[6:9], off
	s_wait_xcnt 0x0
	s_and_b32 exec_lo, exec_lo, s1
	s_cbranch_execz .LBB21_30
; %bb.29:
	v_mov_b32_e32 v4, v3
	global_store_b64 v1, v[4:5], s[26:27] scale_offset
.LBB21_30:
	s_sendmsg sendmsg(MSG_DEALLOC_VGPRS)
	s_endpgm
	.section	.rodata,"a",@progbits
	.p2align	6, 0x0
	.amdhsa_kernel _ZL15flash_attn_tileILi128ELi128ELi8ELi4ELb0EEvPKcS1_S1_S1_S1_PKiPfP15HIP_vector_typeIfLj2EEffffjfiS5_IjLj3EEiiiiiiiiiiiliiliiiiil
		.amdhsa_group_segment_fixed_size 34816
		.amdhsa_private_segment_fixed_size 0
		.amdhsa_kernarg_size 464
		.amdhsa_user_sgpr_count 2
		.amdhsa_user_sgpr_dispatch_ptr 0
		.amdhsa_user_sgpr_queue_ptr 0
		.amdhsa_user_sgpr_kernarg_segment_ptr 1
		.amdhsa_user_sgpr_dispatch_id 0
		.amdhsa_user_sgpr_kernarg_preload_length 0
		.amdhsa_user_sgpr_kernarg_preload_offset 0
		.amdhsa_user_sgpr_private_segment_size 0
		.amdhsa_wavefront_size32 1
		.amdhsa_uses_dynamic_stack 0
		.amdhsa_enable_private_segment 0
		.amdhsa_system_sgpr_workgroup_id_x 1
		.amdhsa_system_sgpr_workgroup_id_y 1
		.amdhsa_system_sgpr_workgroup_id_z 1
		.amdhsa_system_sgpr_workgroup_info 0
		.amdhsa_system_vgpr_workitem_id 1
		.amdhsa_next_free_vgpr 163
		.amdhsa_next_free_sgpr 48
		.amdhsa_named_barrier_count 0
		.amdhsa_reserve_vcc 1
		.amdhsa_float_round_mode_32 0
		.amdhsa_float_round_mode_16_64 0
		.amdhsa_float_denorm_mode_32 3
		.amdhsa_float_denorm_mode_16_64 3
		.amdhsa_fp16_overflow 0
		.amdhsa_memory_ordered 1
		.amdhsa_forward_progress 1
		.amdhsa_inst_pref_size 217
		.amdhsa_round_robin_scheduling 0
		.amdhsa_exception_fp_ieee_invalid_op 0
		.amdhsa_exception_fp_denorm_src 0
		.amdhsa_exception_fp_ieee_div_zero 0
		.amdhsa_exception_fp_ieee_overflow 0
		.amdhsa_exception_fp_ieee_underflow 0
		.amdhsa_exception_fp_ieee_inexact 0
		.amdhsa_exception_int_div_zero 0
	.end_amdhsa_kernel
	.section	.text._ZL15flash_attn_tileILi128ELi128ELi8ELi4ELb0EEvPKcS1_S1_S1_S1_PKiPfP15HIP_vector_typeIfLj2EEffffjfiS5_IjLj3EEiiiiiiiiiiiliiliiiiil,"axG",@progbits,_ZL15flash_attn_tileILi128ELi128ELi8ELi4ELb0EEvPKcS1_S1_S1_S1_PKiPfP15HIP_vector_typeIfLj2EEffffjfiS5_IjLj3EEiiiiiiiiiiiliiliiiiil,comdat
.Lfunc_end21:
	.size	_ZL15flash_attn_tileILi128ELi128ELi8ELi4ELb0EEvPKcS1_S1_S1_S1_PKiPfP15HIP_vector_typeIfLj2EEffffjfiS5_IjLj3EEiiiiiiiiiiiliiliiiiil, .Lfunc_end21-_ZL15flash_attn_tileILi128ELi128ELi8ELi4ELb0EEvPKcS1_S1_S1_S1_PKiPfP15HIP_vector_typeIfLj2EEffffjfiS5_IjLj3EEiiiiiiiiiiiliiliiiiil
                                        ; -- End function
	.set _ZL15flash_attn_tileILi128ELi128ELi8ELi4ELb0EEvPKcS1_S1_S1_S1_PKiPfP15HIP_vector_typeIfLj2EEffffjfiS5_IjLj3EEiiiiiiiiiiiliiliiiiil.num_vgpr, 163
	.set _ZL15flash_attn_tileILi128ELi128ELi8ELi4ELb0EEvPKcS1_S1_S1_S1_PKiPfP15HIP_vector_typeIfLj2EEffffjfiS5_IjLj3EEiiiiiiiiiiiliiliiiiil.num_agpr, 0
	.set _ZL15flash_attn_tileILi128ELi128ELi8ELi4ELb0EEvPKcS1_S1_S1_S1_PKiPfP15HIP_vector_typeIfLj2EEffffjfiS5_IjLj3EEiiiiiiiiiiiliiliiiiil.numbered_sgpr, 48
	.set _ZL15flash_attn_tileILi128ELi128ELi8ELi4ELb0EEvPKcS1_S1_S1_S1_PKiPfP15HIP_vector_typeIfLj2EEffffjfiS5_IjLj3EEiiiiiiiiiiiliiliiiiil.num_named_barrier, 0
	.set _ZL15flash_attn_tileILi128ELi128ELi8ELi4ELb0EEvPKcS1_S1_S1_S1_PKiPfP15HIP_vector_typeIfLj2EEffffjfiS5_IjLj3EEiiiiiiiiiiiliiliiiiil.private_seg_size, 0
	.set _ZL15flash_attn_tileILi128ELi128ELi8ELi4ELb0EEvPKcS1_S1_S1_S1_PKiPfP15HIP_vector_typeIfLj2EEffffjfiS5_IjLj3EEiiiiiiiiiiiliiliiiiil.uses_vcc, 1
	.set _ZL15flash_attn_tileILi128ELi128ELi8ELi4ELb0EEvPKcS1_S1_S1_S1_PKiPfP15HIP_vector_typeIfLj2EEffffjfiS5_IjLj3EEiiiiiiiiiiiliiliiiiil.uses_flat_scratch, 0
	.set _ZL15flash_attn_tileILi128ELi128ELi8ELi4ELb0EEvPKcS1_S1_S1_S1_PKiPfP15HIP_vector_typeIfLj2EEffffjfiS5_IjLj3EEiiiiiiiiiiiliiliiiiil.has_dyn_sized_stack, 0
	.set _ZL15flash_attn_tileILi128ELi128ELi8ELi4ELb0EEvPKcS1_S1_S1_S1_PKiPfP15HIP_vector_typeIfLj2EEffffjfiS5_IjLj3EEiiiiiiiiiiiliiliiiiil.has_recursion, 0
	.set _ZL15flash_attn_tileILi128ELi128ELi8ELi4ELb0EEvPKcS1_S1_S1_S1_PKiPfP15HIP_vector_typeIfLj2EEffffjfiS5_IjLj3EEiiiiiiiiiiiliiliiiiil.has_indirect_call, 0
	.section	.AMDGPU.csdata,"",@progbits
; Kernel info:
; codeLenInByte = 27708
; TotalNumSgprs: 50
; NumVgprs: 163
; ScratchSize: 0
; MemoryBound: 0
; FloatMode: 240
; IeeeMode: 1
; LDSByteSize: 34816 bytes/workgroup (compile time only)
; SGPRBlocks: 0
; VGPRBlocks: 10
; NumSGPRsForWavesPerEU: 50
; NumVGPRsForWavesPerEU: 163
; NamedBarCnt: 0
; Occupancy: 5
; WaveLimiterHint : 1
; COMPUTE_PGM_RSRC2:SCRATCH_EN: 0
; COMPUTE_PGM_RSRC2:USER_SGPR: 2
; COMPUTE_PGM_RSRC2:TRAP_HANDLER: 0
; COMPUTE_PGM_RSRC2:TGID_X_EN: 1
; COMPUTE_PGM_RSRC2:TGID_Y_EN: 1
; COMPUTE_PGM_RSRC2:TGID_Z_EN: 1
; COMPUTE_PGM_RSRC2:TIDIG_COMP_CNT: 1
	.section	.text._ZL33flash_attn_stream_k_fixup_uniformILi128ELi8ELi4EEvPfPK15HIP_vector_typeIfLj2EEiiiiiiS1_IjLj3EES5_S5_,"axG",@progbits,_ZL33flash_attn_stream_k_fixup_uniformILi128ELi8ELi4EEvPfPK15HIP_vector_typeIfLj2EEiiiiiiS1_IjLj3EES5_S5_,comdat
	.globl	_ZL33flash_attn_stream_k_fixup_uniformILi128ELi8ELi4EEvPfPK15HIP_vector_typeIfLj2EEiiiiiiS1_IjLj3EES5_S5_ ; -- Begin function _ZL33flash_attn_stream_k_fixup_uniformILi128ELi8ELi4EEvPfPK15HIP_vector_typeIfLj2EEiiiiiiS1_IjLj3EES5_S5_
	.p2align	8
	.type	_ZL33flash_attn_stream_k_fixup_uniformILi128ELi8ELi4EEvPfPK15HIP_vector_typeIfLj2EEiiiiiiS1_IjLj3EES5_S5_,@function
_ZL33flash_attn_stream_k_fixup_uniformILi128ELi8ELi4EEvPfPK15HIP_vector_typeIfLj2EEiiiiiiS1_IjLj3EES5_S5_: ; @_ZL33flash_attn_stream_k_fixup_uniformILi128ELi8ELi4EEvPfPK15HIP_vector_typeIfLj2EEiiiiiiS1_IjLj3EES5_S5_
; %bb.0:
	s_load_b256 s[4:11], s[0:1], 0x1c
	s_bfe_u32 s2, ttmp6, 0x40014
	s_lshr_b32 s3, ttmp7, 16
	s_add_co_i32 s2, s2, 1
	s_bfe_u32 s13, ttmp6, 0x40010
	s_mul_i32 s2, s3, s2
	s_bfe_u32 s12, ttmp6, 0x40008
	s_and_b32 s15, ttmp7, 0xffff
	s_add_co_i32 s13, s13, 1
	s_bfe_u32 s14, ttmp6, 0x4000c
	s_add_co_i32 s12, s12, s2
	s_mul_i32 s2, s15, s13
	s_bfe_u32 s13, ttmp6, 0x40004
	s_add_co_i32 s14, s14, 1
	s_add_co_i32 s13, s13, s2
	s_and_b32 s2, ttmp6, 15
	s_mul_i32 s14, ttmp9, s14
	s_getreg_b32 s20, hwreg(HW_REG_IB_STS2, 6, 4)
	s_add_co_i32 s2, s2, s14
	s_load_b128 s[16:19], s[0:1], 0x3c
	s_cmp_eq_u32 s20, 0
	s_cselect_b32 s14, ttmp9, s2
	s_cselect_b32 s13, s15, s13
	s_wait_kmcnt 0x0
	s_mul_hi_u32 s2, s7, s14
	s_cselect_b32 s12, s3, s12
	s_add_co_i32 s2, s14, s2
	s_delay_alu instid0(SALU_CYCLE_1) | instskip(NEXT) | instid1(SALU_CYCLE_1)
	s_lshr_b32 s7, s2, s8
	s_mul_i32 s2, s7, s9
	s_delay_alu instid0(SALU_CYCLE_1) | instskip(NEXT) | instid1(SALU_CYCLE_1)
	s_sub_co_i32 s8, s14, s2
	s_mul_hi_u32 s2, s8, s10
	s_delay_alu instid0(SALU_CYCLE_1) | instskip(SKIP_2) | instid1(SALU_CYCLE_1)
	s_add_co_i32 s9, s8, s2
	s_load_b64 s[2:3], s[0:1], 0x10
	s_lshr_b32 s15, s9, s11
	s_mul_i32 s9, s15, s16
	s_delay_alu instid0(SALU_CYCLE_1) | instskip(NEXT) | instid1(SALU_CYCLE_1)
	s_sub_co_i32 s8, s8, s9
	s_mul_hi_u32 s9, s8, s17
	s_delay_alu instid0(SALU_CYCLE_1) | instskip(NEXT) | instid1(SALU_CYCLE_1)
	s_add_co_i32 s9, s8, s9
	s_lshr_b32 s9, s9, s18
	s_delay_alu instid0(SALU_CYCLE_1) | instskip(SKIP_2) | instid1(SALU_CYCLE_1)
	s_mul_i32 s10, s9, s19
	s_lshl_b32 s17, s9, 2
	s_sub_co_i32 s16, s8, s10
	s_lshl_b32 s8, s16, 3
	s_delay_alu instid0(SALU_CYCLE_1) | instskip(SKIP_4) | instid1(SALU_CYCLE_1)
	s_add_co_i32 s8, s8, s13
	s_wait_kmcnt 0x0
	s_cmp_lt_i32 s8, s2
	s_cselect_b32 s8, -1, 0
	s_add_co_i32 s9, s17, s12
	s_cmp_lt_i32 s9, s5
	s_cselect_b32 s9, -1, 0
	s_delay_alu instid0(SALU_CYCLE_1) | instskip(NEXT) | instid1(SALU_CYCLE_1)
	s_and_b32 s8, s8, s9
	s_and_not1_b32 vcc_lo, exec_lo, s8
	s_cbranch_vccnz .LBB22_6
; %bb.1:
	s_mul_i32 s2, s7, s2
	s_load_b128 s[8:11], s[0:1], 0x0
	s_wait_xcnt 0x0
	s_add_co_i32 s0, s2, s13
	s_mul_i32 s15, s15, s5
	s_mul_i32 s0, s0, s3
	s_mul_i32 s1, s3, s16
	s_add_co_i32 s0, s0, s12
	s_lshl_b32 s1, s1, 10
	s_add_co_i32 s0, s0, s15
	s_mul_i32 s7, s6, s14
	s_add_co_i32 s0, s0, s17
	s_lshl_b32 s5, s13, 2
	s_lshl_b32 s0, s0, 7
	s_add_co_i32 s15, s7, s6
	s_add_co_i32 s1, s1, s0
	;; [unrolled: 1-line block ×3, first 2 shown]
	v_or_b32_e32 v4, s1, v0
	s_lshl_b32 s1, s15, 5
	s_add_co_i32 s2, s15, -2
	s_add_co_i32 s0, s0, s1
	s_delay_alu instid0(SALU_CYCLE_1)
	s_sub_co_i32 s0, s0, 32
	s_wait_kmcnt 0x0
	global_load_b32 v3, v4, s[8:9] scale_offset
	s_ashr_i32 s1, s0, 31
	v_ashrrev_i32_e32 v5, 31, v4
	s_lshl_b64 s[0:1], s[0:1], 3
	s_cmp_lt_i32 s2, s7
	s_add_nc_u64 s[0:1], s[10:11], s[0:1]
	s_load_b32 s16, s[0:1], 0x4
	s_cbranch_scc1 .LBB22_4
; %bb.2:
	s_wait_xcnt 0x0
	s_load_b32 s0, s[0:1], 0x0
	s_add_co_i32 s14, s14, 1
	s_lshl_b32 s3, s13, 9
	s_wait_xcnt 0x0
	s_mul_i32 s1, s6, s14
	s_lshl_b32 s6, s12, 7
	s_lshl_b32 s13, s1, 12
	s_add_co_i32 s6, s6, s3
	s_lshl_b32 s1, s1, 5
	s_add_co_i32 s6, s6, s13
	s_lshl_b32 s2, s4, 7
	s_wait_kmcnt 0x0
	v_dual_mov_b32 v2, s16 :: v_dual_bitop2_b32 v0, s6, v0 bitop3:0x54
	s_add_co_i32 s1, s12, s1
	s_lshl_b32 s4, s4, 5
	s_ashr_i32 s3, s2, 31
	s_add_co_i32 s1, s1, s4
	v_add_nc_u32_e32 v0, 0xffffe000, v0
	s_lshl_b64 s[2:3], s[2:3], 2
	s_add_co_i32 s4, s1, s5
	s_add_nc_u64 s[2:3], s[10:11], s[2:3]
	s_add_co_i32 s1, s15, -1
	s_sub_co_i32 s4, s4, 64
.LBB22_3:                               ; =>This Inner Loop Header: Depth=1
	global_load_b32 v7, v0, s[2:3] scale_offset
	s_ashr_i32 s5, s4, 31
	v_max_num_f32_e64 v1, s0, s0
	s_lshl_b64 s[12:13], s[4:5], 3
	s_delay_alu instid0(SALU_CYCLE_1) | instskip(SKIP_1) | instid1(VALU_DEP_1)
	s_add_nc_u64 s[12:13], s[10:11], s[12:13]
	s_load_b64 s[12:13], s[12:13], 0x0
	v_readfirstlane_b32 s5, v1
	v_add_nc_u32_e32 v0, 0xfffff000, v0
	s_wait_kmcnt 0x0
	v_max_num_f32_e64 v1, s12, s12
	s_delay_alu instid0(VALU_DEP_1) | instskip(SKIP_1) | instid1(SALU_CYCLE_3)
	v_readfirstlane_b32 s6, v1
	s_max_num_f32 s5, s5, s6
	s_sub_f32 s0, s0, s5
	s_sub_f32 s6, s12, s5
	s_delay_alu instid0(SALU_CYCLE_2) | instskip(NEXT) | instid1(SALU_CYCLE_2)
	s_mul_f32 s12, s0, 0x3fb8aa3b
	s_mul_f32 s14, s6, 0x3fb8aa3b
	s_delay_alu instid0(SALU_CYCLE_2)
	s_xor_b32 s15, s12, 0x80000000
	s_rndne_f32 s16, s12
	s_fmamk_f32 s15, s0, 0x3fb8aa3b, s15
	s_cmp_nlt_f32 s0, 0xc2ce8ed0
	s_rndne_f32 s17, s14
	s_sub_f32 s12, s12, s16
	s_fmamk_f32 s15, s0, 0x32a5705f, s15
	s_cselect_b32 vcc_lo, -1, 0
	s_cmp_ngt_f32 s0, 0x42b17218
	s_delay_alu instid0(SALU_CYCLE_1) | instskip(SKIP_2) | instid1(SALU_CYCLE_1)
	s_add_f32 s12, s12, s15
	s_cvt_i32_f32 s15, s16
	s_sub_f32 s16, s14, s17
	v_s_exp_f32 s12, s12
	v_nop
	s_delay_alu instid0(TRANS32_DEP_1) | instskip(SKIP_1) | instid1(VALU_DEP_1)
	v_ldexp_f32 v1, s12, s15
	s_cvt_i32_f32 s12, s17
	v_cndmask_b32_e32 v1, 0, v1, vcc_lo
	s_cselect_b32 vcc_lo, -1, 0
	s_cmp_ge_f32 s0, 0xc1a00000
	s_delay_alu instid0(VALU_DEP_1)
	v_cndmask_b32_e32 v1, 0x7f800000, v1, vcc_lo
	s_cselect_b32 vcc_lo, -1, 0
	s_xor_b32 s0, s14, 0x80000000
	s_cmp_nlt_f32 s6, 0xc2ce8ed0
	s_fmamk_f32 s0, s6, 0x3fb8aa3b, s0
	v_cndmask_b32_e32 v10, 0, v1, vcc_lo
	s_delay_alu instid0(SALU_CYCLE_2) | instskip(NEXT) | instid1(SALU_CYCLE_3)
	s_fmamk_f32 s0, s6, 0x32a5705f, s0
	s_add_f32 s0, s16, s0
	s_delay_alu instid0(SALU_CYCLE_3) | instskip(SKIP_1) | instid1(TRANS32_DEP_1)
	v_s_exp_f32 s0, s0
	v_nop
	v_ldexp_f32 v6, s0, s12
	s_cselect_b32 s0, -1, 0
	s_cmp_ngt_f32 s6, 0x42b17218
	s_delay_alu instid0(VALU_DEP_1) | instskip(SKIP_2) | instid1(VALU_DEP_1)
	v_cndmask_b32_e64 v6, 0, v6, s0
	s_cselect_b32 s0, -1, 0
	s_cmp_ge_f32 s6, 0xc1a00000
	v_cndmask_b32_e64 v8, 0x7f800000, v6, s0
	s_cselect_b32 s0, -1, 0
	v_mov_b32_e32 v6, s13
	s_add_co_i32 s1, s1, -1
	s_sub_co_i32 s4, s4, 32
	v_cndmask_b32_e64 v8, 0, v8, s0
	s_cmp_le_i32 s1, s7
	s_mov_b32 s0, s5
	s_wait_loadcnt 0x0
	s_delay_alu instid0(VALU_DEP_1) | instskip(NEXT) | instid1(VALU_DEP_1)
	v_pk_mul_f32 v[6:7], v[6:7], v[8:9] op_sel_hi:[1,0]
	v_pk_fma_f32 v[2:3], v[2:3], v[10:11], v[6:7] op_sel_hi:[1,0,1]
	s_cbranch_scc0 .LBB22_3
	s_branch .LBB22_5
.LBB22_4:
	s_wait_kmcnt 0x0
	v_mov_b32_e32 v2, s16
.LBB22_5:
	v_lshl_add_u64 v[0:1], v[4:5], 2, s[8:9]
	s_wait_loadcnt 0x0
	s_delay_alu instid0(VALU_DEP_2) | instskip(NEXT) | instid1(VALU_DEP_1)
	v_div_scale_f32 v4, null, v2, v2, v3
	v_rcp_f32_e32 v5, v4
	v_nop
	s_delay_alu instid0(TRANS32_DEP_1) | instskip(NEXT) | instid1(VALU_DEP_1)
	v_fma_f32 v6, -v4, v5, 1.0
	v_fmac_f32_e32 v5, v6, v5
	v_div_scale_f32 v6, vcc_lo, v3, v2, v3
	s_delay_alu instid0(VALU_DEP_1) | instskip(NEXT) | instid1(VALU_DEP_1)
	v_mul_f32_e32 v7, v6, v5
	v_fma_f32 v8, -v4, v7, v6
	s_delay_alu instid0(VALU_DEP_1) | instskip(NEXT) | instid1(VALU_DEP_1)
	v_fmac_f32_e32 v7, v8, v5
	v_fma_f32 v4, -v4, v7, v6
	s_delay_alu instid0(VALU_DEP_1) | instskip(NEXT) | instid1(VALU_DEP_1)
	v_div_fmas_f32 v4, v4, v5, v7
	v_div_fixup_f32 v2, v4, v2, v3
	global_store_b32 v[0:1], v2, off
.LBB22_6:
	s_endpgm
	.section	.rodata,"a",@progbits
	.p2align	6, 0x0
	.amdhsa_kernel _ZL33flash_attn_stream_k_fixup_uniformILi128ELi8ELi4EEvPfPK15HIP_vector_typeIfLj2EEiiiiiiS1_IjLj3EES5_S5_
		.amdhsa_group_segment_fixed_size 0
		.amdhsa_private_segment_fixed_size 0
		.amdhsa_kernarg_size 76
		.amdhsa_user_sgpr_count 2
		.amdhsa_user_sgpr_dispatch_ptr 0
		.amdhsa_user_sgpr_queue_ptr 0
		.amdhsa_user_sgpr_kernarg_segment_ptr 1
		.amdhsa_user_sgpr_dispatch_id 0
		.amdhsa_user_sgpr_kernarg_preload_length 0
		.amdhsa_user_sgpr_kernarg_preload_offset 0
		.amdhsa_user_sgpr_private_segment_size 0
		.amdhsa_wavefront_size32 1
		.amdhsa_uses_dynamic_stack 0
		.amdhsa_enable_private_segment 0
		.amdhsa_system_sgpr_workgroup_id_x 1
		.amdhsa_system_sgpr_workgroup_id_y 1
		.amdhsa_system_sgpr_workgroup_id_z 1
		.amdhsa_system_sgpr_workgroup_info 0
		.amdhsa_system_vgpr_workitem_id 0
		.amdhsa_next_free_vgpr 12
		.amdhsa_next_free_sgpr 21
		.amdhsa_named_barrier_count 0
		.amdhsa_reserve_vcc 1
		.amdhsa_float_round_mode_32 0
		.amdhsa_float_round_mode_16_64 0
		.amdhsa_float_denorm_mode_32 3
		.amdhsa_float_denorm_mode_16_64 3
		.amdhsa_fp16_overflow 0
		.amdhsa_memory_ordered 1
		.amdhsa_forward_progress 1
		.amdhsa_inst_pref_size 9
		.amdhsa_round_robin_scheduling 0
		.amdhsa_exception_fp_ieee_invalid_op 0
		.amdhsa_exception_fp_denorm_src 0
		.amdhsa_exception_fp_ieee_div_zero 0
		.amdhsa_exception_fp_ieee_overflow 0
		.amdhsa_exception_fp_ieee_underflow 0
		.amdhsa_exception_fp_ieee_inexact 0
		.amdhsa_exception_int_div_zero 0
	.end_amdhsa_kernel
	.section	.text._ZL33flash_attn_stream_k_fixup_uniformILi128ELi8ELi4EEvPfPK15HIP_vector_typeIfLj2EEiiiiiiS1_IjLj3EES5_S5_,"axG",@progbits,_ZL33flash_attn_stream_k_fixup_uniformILi128ELi8ELi4EEvPfPK15HIP_vector_typeIfLj2EEiiiiiiS1_IjLj3EES5_S5_,comdat
.Lfunc_end22:
	.size	_ZL33flash_attn_stream_k_fixup_uniformILi128ELi8ELi4EEvPfPK15HIP_vector_typeIfLj2EEiiiiiiS1_IjLj3EES5_S5_, .Lfunc_end22-_ZL33flash_attn_stream_k_fixup_uniformILi128ELi8ELi4EEvPfPK15HIP_vector_typeIfLj2EEiiiiiiS1_IjLj3EES5_S5_
                                        ; -- End function
	.set _ZL33flash_attn_stream_k_fixup_uniformILi128ELi8ELi4EEvPfPK15HIP_vector_typeIfLj2EEiiiiiiS1_IjLj3EES5_S5_.num_vgpr, 12
	.set _ZL33flash_attn_stream_k_fixup_uniformILi128ELi8ELi4EEvPfPK15HIP_vector_typeIfLj2EEiiiiiiS1_IjLj3EES5_S5_.num_agpr, 0
	.set _ZL33flash_attn_stream_k_fixup_uniformILi128ELi8ELi4EEvPfPK15HIP_vector_typeIfLj2EEiiiiiiS1_IjLj3EES5_S5_.numbered_sgpr, 21
	.set _ZL33flash_attn_stream_k_fixup_uniformILi128ELi8ELi4EEvPfPK15HIP_vector_typeIfLj2EEiiiiiiS1_IjLj3EES5_S5_.num_named_barrier, 0
	.set _ZL33flash_attn_stream_k_fixup_uniformILi128ELi8ELi4EEvPfPK15HIP_vector_typeIfLj2EEiiiiiiS1_IjLj3EES5_S5_.private_seg_size, 0
	.set _ZL33flash_attn_stream_k_fixup_uniformILi128ELi8ELi4EEvPfPK15HIP_vector_typeIfLj2EEiiiiiiS1_IjLj3EES5_S5_.uses_vcc, 1
	.set _ZL33flash_attn_stream_k_fixup_uniformILi128ELi8ELi4EEvPfPK15HIP_vector_typeIfLj2EEiiiiiiS1_IjLj3EES5_S5_.uses_flat_scratch, 0
	.set _ZL33flash_attn_stream_k_fixup_uniformILi128ELi8ELi4EEvPfPK15HIP_vector_typeIfLj2EEiiiiiiS1_IjLj3EES5_S5_.has_dyn_sized_stack, 0
	.set _ZL33flash_attn_stream_k_fixup_uniformILi128ELi8ELi4EEvPfPK15HIP_vector_typeIfLj2EEiiiiiiS1_IjLj3EES5_S5_.has_recursion, 0
	.set _ZL33flash_attn_stream_k_fixup_uniformILi128ELi8ELi4EEvPfPK15HIP_vector_typeIfLj2EEiiiiiiS1_IjLj3EES5_S5_.has_indirect_call, 0
	.section	.AMDGPU.csdata,"",@progbits
; Kernel info:
; codeLenInByte = 1092
; TotalNumSgprs: 23
; NumVgprs: 12
; ScratchSize: 0
; MemoryBound: 0
; FloatMode: 240
; IeeeMode: 1
; LDSByteSize: 0 bytes/workgroup (compile time only)
; SGPRBlocks: 0
; VGPRBlocks: 0
; NumSGPRsForWavesPerEU: 23
; NumVGPRsForWavesPerEU: 12
; NamedBarCnt: 0
; Occupancy: 16
; WaveLimiterHint : 0
; COMPUTE_PGM_RSRC2:SCRATCH_EN: 0
; COMPUTE_PGM_RSRC2:USER_SGPR: 2
; COMPUTE_PGM_RSRC2:TRAP_HANDLER: 0
; COMPUTE_PGM_RSRC2:TGID_X_EN: 1
; COMPUTE_PGM_RSRC2:TGID_Y_EN: 1
; COMPUTE_PGM_RSRC2:TGID_Z_EN: 1
; COMPUTE_PGM_RSRC2:TIDIG_COMP_CNT: 0
	.section	.text._ZL33flash_attn_stream_k_fixup_generalILi128ELi8ELi4EEvPfPK15HIP_vector_typeIfLj2EEiiiiS1_IjLj3EES5_S5_S5_,"axG",@progbits,_ZL33flash_attn_stream_k_fixup_generalILi128ELi8ELi4EEvPfPK15HIP_vector_typeIfLj2EEiiiiS1_IjLj3EES5_S5_S5_,comdat
	.globl	_ZL33flash_attn_stream_k_fixup_generalILi128ELi8ELi4EEvPfPK15HIP_vector_typeIfLj2EEiiiiS1_IjLj3EES5_S5_S5_ ; -- Begin function _ZL33flash_attn_stream_k_fixup_generalILi128ELi8ELi4EEvPfPK15HIP_vector_typeIfLj2EEiiiiS1_IjLj3EES5_S5_S5_
	.p2align	8
	.type	_ZL33flash_attn_stream_k_fixup_generalILi128ELi8ELi4EEvPfPK15HIP_vector_typeIfLj2EEiiiiS1_IjLj3EES5_S5_S5_,@function
_ZL33flash_attn_stream_k_fixup_generalILi128ELi8ELi4EEvPfPK15HIP_vector_typeIfLj2EEiiiiS1_IjLj3EES5_S5_S5_: ; @_ZL33flash_attn_stream_k_fixup_generalILi128ELi8ELi4EEvPfPK15HIP_vector_typeIfLj2EEiiiiS1_IjLj3EES5_S5_S5_
; %bb.0:
	s_clause 0x1
	s_load_b128 s[4:7], s[0:1], 0x10
	s_load_b32 s16, s[0:1], 0x50
	s_bfe_u32 s2, ttmp6, 0x4000c
	s_and_b32 s3, ttmp6, 15
	s_add_co_i32 s2, s2, 1
	s_getreg_b32 s15, hwreg(HW_REG_IB_STS2, 6, 4)
	s_mul_i32 s2, ttmp9, s2
	s_mov_b32 s17, 0
	s_add_co_i32 s3, s3, s2
	s_cmp_eq_u32 s15, 0
	s_cselect_b32 s2, ttmp9, s3
	s_delay_alu instid0(SALU_CYCLE_1) | instskip(SKIP_3) | instid1(SALU_CYCLE_1)
	s_ashr_i32 s3, s2, 31
	s_wait_kmcnt 0x0
	s_ashr_i32 s19, s7, 31
	s_mov_b32 s18, s7
	s_mul_u64 s[8:9], s[18:19], s[2:3]
	s_delay_alu instid0(SALU_CYCLE_1) | instskip(NEXT) | instid1(SALU_CYCLE_1)
	s_and_b64 s[10:11], s[8:9], 0xffffffff00000000
	s_cmp_lg_u64 s[10:11], 0
	s_cbranch_scc0 .LBB23_21
; %bb.1:
	s_add_nc_u64 s[10:11], s[16:17], 0
	s_mov_b32 s23, s17
	s_xor_b64 s[10:11], s[10:11], 0
	s_mov_b32 s27, s17
	s_cvt_f32_u32 s3, s10
	s_cvt_f32_u32 s7, s11
	s_sub_nc_u64 s[20:21], 0, s[10:11]
	s_delay_alu instid0(SALU_CYCLE_2) | instskip(NEXT) | instid1(SALU_CYCLE_3)
	s_fmamk_f32 s3, s7, 0x4f800000, s3
	v_s_rcp_f32 s3, s3
	s_delay_alu instid0(TRANS32_DEP_1) | instskip(NEXT) | instid1(SALU_CYCLE_3)
	s_mul_f32 s3, s3, 0x5f7ffffc
	s_mul_f32 s7, s3, 0x2f800000
	s_delay_alu instid0(SALU_CYCLE_3) | instskip(NEXT) | instid1(SALU_CYCLE_3)
	s_trunc_f32 s7, s7
	s_fmamk_f32 s3, s7, 0xcf800000, s3
	s_cvt_u32_f32 s13, s7
	s_delay_alu instid0(SALU_CYCLE_2) | instskip(NEXT) | instid1(SALU_CYCLE_3)
	s_cvt_u32_f32 s12, s3
	s_mul_u64 s[24:25], s[20:21], s[12:13]
	s_delay_alu instid0(SALU_CYCLE_1)
	s_mul_hi_u32 s29, s12, s25
	s_mul_i32 s28, s12, s25
	s_mul_hi_u32 s22, s12, s24
	s_mul_i32 s7, s13, s24
	s_add_nc_u64 s[22:23], s[22:23], s[28:29]
	s_mul_hi_u32 s3, s13, s24
	s_mul_hi_u32 s14, s13, s25
	s_add_co_u32 s7, s22, s7
	s_add_co_ci_u32 s26, s23, s3
	s_mul_i32 s24, s13, s25
	s_add_co_ci_u32 s25, s14, 0
	s_delay_alu instid0(SALU_CYCLE_1) | instskip(SKIP_3) | instid1(SALU_CYCLE_1)
	s_add_nc_u64 s[22:23], s[26:27], s[24:25]
	s_mov_b32 s25, s17
	s_add_co_u32 s12, s12, s22
	s_cselect_b32 s3, -1, 0
	s_cmp_lg_u32 s3, 0
	s_add_co_ci_u32 s13, s13, s23
	s_mov_b32 s23, s17
	s_mul_u64 s[20:21], s[20:21], s[12:13]
	s_delay_alu instid0(SALU_CYCLE_1)
	s_mul_hi_u32 s27, s12, s21
	s_mul_i32 s26, s12, s21
	s_mul_hi_u32 s22, s12, s20
	s_mul_i32 s7, s13, s20
	s_add_nc_u64 s[22:23], s[22:23], s[26:27]
	s_mul_hi_u32 s3, s13, s20
	s_mul_hi_u32 s14, s13, s21
	s_add_co_u32 s7, s22, s7
	s_add_co_ci_u32 s24, s23, s3
	s_mul_i32 s20, s13, s21
	s_add_co_ci_u32 s21, s14, 0
	s_mov_b32 s23, s17
	s_add_nc_u64 s[20:21], s[24:25], s[20:21]
	s_delay_alu instid0(SALU_CYCLE_1) | instskip(SKIP_1) | instid1(SALU_CYCLE_1)
	s_add_co_u32 s3, s12, s20
	s_cselect_b32 s7, -1, 0
	s_cmp_lg_u32 s7, 0
	s_add_co_ci_u32 s7, s13, s21
	s_ashr_i32 s12, s9, 31
	s_delay_alu instid0(SALU_CYCLE_1) | instskip(NEXT) | instid1(SALU_CYCLE_1)
	s_mov_b32 s13, s12
	s_add_nc_u64 s[20:21], s[8:9], s[12:13]
	s_delay_alu instid0(SALU_CYCLE_1) | instskip(NEXT) | instid1(SALU_CYCLE_1)
	s_xor_b64 s[20:21], s[20:21], s[12:13]
	s_mul_hi_u32 s27, s20, s7
	s_mul_i32 s26, s20, s7
	s_mul_hi_u32 s22, s20, s3
	s_mul_hi_u32 s14, s21, s3
	s_mul_i32 s3, s21, s3
	s_add_nc_u64 s[22:23], s[22:23], s[26:27]
	s_mul_hi_u32 s9, s21, s7
	s_add_co_u32 s3, s22, s3
	s_add_co_ci_u32 s24, s23, s14
	s_mul_i32 s26, s21, s7
	s_add_co_ci_u32 s27, s9, 0
	s_delay_alu instid0(SALU_CYCLE_1) | instskip(NEXT) | instid1(SALU_CYCLE_1)
	s_add_nc_u64 s[22:23], s[24:25], s[26:27]
	s_and_b64 s[24:25], s[22:23], 0xffffffff00000000
	s_delay_alu instid0(SALU_CYCLE_1) | instskip(NEXT) | instid1(SALU_CYCLE_1)
	s_or_b32 s24, s24, s22
	s_mul_u64 s[22:23], s[10:11], s[24:25]
	s_add_nc_u64 s[26:27], s[24:25], 1
	s_sub_co_u32 s3, s20, s22
	s_cselect_b32 s7, -1, 0
	s_sub_co_i32 s9, s21, s23
	s_cmp_lg_u32 s7, 0
	s_add_nc_u64 s[28:29], s[24:25], 2
	s_sub_co_ci_u32 s9, s9, s11
	s_sub_co_u32 s14, s3, s10
	s_cselect_b32 s20, -1, 0
	s_delay_alu instid0(SALU_CYCLE_1) | instskip(SKIP_1) | instid1(SALU_CYCLE_1)
	s_cmp_lg_u32 s20, 0
	s_sub_co_ci_u32 s9, s9, 0
	s_cmp_ge_u32 s9, s11
	s_cselect_b32 s20, -1, 0
	s_cmp_ge_u32 s14, s10
	s_cselect_b32 s14, -1, 0
	s_cmp_eq_u32 s9, s11
	s_cselect_b32 s9, s14, s20
	s_delay_alu instid0(SALU_CYCLE_1) | instskip(SKIP_4) | instid1(SALU_CYCLE_1)
	s_cmp_lg_u32 s9, 0
	s_cselect_b32 s9, s28, s26
	s_cselect_b32 s14, s29, s27
	s_cmp_lg_u32 s7, 0
	s_sub_co_ci_u32 s7, s21, s23
	s_cmp_ge_u32 s7, s11
	s_cselect_b32 s20, -1, 0
	s_cmp_ge_u32 s3, s10
	s_cselect_b32 s3, -1, 0
	s_cmp_eq_u32 s7, s11
	s_cselect_b32 s3, s3, s20
	s_delay_alu instid0(SALU_CYCLE_1) | instskip(SKIP_4) | instid1(SALU_CYCLE_1)
	s_cmp_lg_u32 s3, 0
	s_mov_b32 s3, s17
	s_cselect_b32 s11, s14, s25
	s_cselect_b32 s10, s9, s24
	s_xor_b64 s[12:13], s[12:13], 0
	s_xor_b64 s[10:11], s[10:11], s[12:13]
	s_delay_alu instid0(SALU_CYCLE_1)
	s_sub_nc_u64 s[20:21], s[10:11], s[12:13]
	s_and_not1_b32 vcc_lo, exec_lo, s3
	s_cbranch_vccnz .LBB23_3
.LBB23_2:
	v_cvt_f32_u32_e32 v1, s16
	s_sub_co_i32 s7, 0, s16
	s_mov_b32 s21, 0
	s_delay_alu instid0(VALU_DEP_1) | instskip(SKIP_1) | instid1(TRANS32_DEP_1)
	v_rcp_iflag_f32_e32 v1, v1
	v_nop
	v_mul_f32_e32 v1, 0x4f7ffffe, v1
	s_delay_alu instid0(VALU_DEP_1) | instskip(NEXT) | instid1(VALU_DEP_1)
	v_cvt_u32_f32_e32 v1, v1
	v_readfirstlane_b32 s3, v1
	s_mul_i32 s7, s7, s3
	s_delay_alu instid0(SALU_CYCLE_1) | instskip(NEXT) | instid1(SALU_CYCLE_1)
	s_mul_hi_u32 s7, s3, s7
	s_add_co_i32 s3, s3, s7
	s_delay_alu instid0(SALU_CYCLE_1) | instskip(NEXT) | instid1(SALU_CYCLE_1)
	s_mul_hi_u32 s3, s8, s3
	s_mul_i32 s7, s3, s16
	s_delay_alu instid0(SALU_CYCLE_1)
	s_sub_co_i32 s7, s8, s7
	s_add_co_i32 s8, s3, 1
	s_sub_co_i32 s9, s7, s16
	s_cmp_ge_u32 s7, s16
	s_cselect_b32 s3, s8, s3
	s_cselect_b32 s7, s9, s7
	s_add_co_i32 s8, s3, 1
	s_cmp_ge_u32 s7, s16
	s_cselect_b32 s20, s8, s3
.LBB23_3:
	s_add_co_i32 s8, s2, 1
	s_delay_alu instid0(SALU_CYCLE_1) | instskip(NEXT) | instid1(SALU_CYCLE_1)
	s_ashr_i32 s9, s8, 31
	s_mul_u64 s[8:9], s[18:19], s[8:9]
	s_delay_alu instid0(SALU_CYCLE_1) | instskip(NEXT) | instid1(SALU_CYCLE_1)
	s_and_b64 s[10:11], s[8:9], 0xffffffff00000000
	s_cmp_lg_u64 s[10:11], 0
	s_cbranch_scc0 .LBB23_22
; %bb.4:
	s_add_nc_u64 s[10:11], s[16:17], 0
	s_delay_alu instid0(SALU_CYCLE_1) | instskip(SKIP_4) | instid1(SALU_CYCLE_2)
	s_xor_b64 s[12:13], s[10:11], 0
	s_mov_b32 s11, 0
	s_cvt_f32_u32 s3, s12
	s_cvt_f32_u32 s7, s13
	s_sub_nc_u64 s[24:25], 0, s[12:13]
	s_fmamk_f32 s3, s7, 0x4f800000, s3
	s_delay_alu instid0(SALU_CYCLE_3) | instskip(NEXT) | instid1(TRANS32_DEP_1)
	v_s_rcp_f32 s3, s3
	s_mul_f32 s3, s3, 0x5f7ffffc
	s_delay_alu instid0(SALU_CYCLE_3) | instskip(NEXT) | instid1(SALU_CYCLE_3)
	s_mul_f32 s7, s3, 0x2f800000
	s_trunc_f32 s7, s7
	s_delay_alu instid0(SALU_CYCLE_3) | instskip(SKIP_1) | instid1(SALU_CYCLE_2)
	s_fmamk_f32 s3, s7, 0xcf800000, s3
	s_cvt_u32_f32 s23, s7
	s_cvt_u32_f32 s22, s3
	s_delay_alu instid0(SALU_CYCLE_3) | instskip(NEXT) | instid1(SALU_CYCLE_1)
	s_mul_u64 s[26:27], s[24:25], s[22:23]
	s_mul_hi_u32 s29, s22, s27
	s_mul_i32 s28, s22, s27
	s_mul_hi_u32 s10, s22, s26
	s_mul_i32 s7, s23, s26
	s_add_nc_u64 s[28:29], s[10:11], s[28:29]
	s_mul_hi_u32 s3, s23, s26
	s_mul_hi_u32 s14, s23, s27
	s_add_co_u32 s7, s28, s7
	s_add_co_ci_u32 s10, s29, s3
	s_mul_i32 s26, s23, s27
	s_add_co_ci_u32 s27, s14, 0
	s_delay_alu instid0(SALU_CYCLE_1) | instskip(NEXT) | instid1(SALU_CYCLE_1)
	s_add_nc_u64 s[26:27], s[10:11], s[26:27]
	s_add_co_u32 s22, s22, s26
	s_cselect_b32 s3, -1, 0
	s_delay_alu instid0(SALU_CYCLE_1) | instskip(SKIP_1) | instid1(SALU_CYCLE_1)
	s_cmp_lg_u32 s3, 0
	s_add_co_ci_u32 s23, s23, s27
	s_mul_u64 s[24:25], s[24:25], s[22:23]
	s_delay_alu instid0(SALU_CYCLE_1)
	s_mul_hi_u32 s27, s22, s25
	s_mul_i32 s26, s22, s25
	s_mul_hi_u32 s10, s22, s24
	s_mul_i32 s7, s23, s24
	s_add_nc_u64 s[26:27], s[10:11], s[26:27]
	s_mul_hi_u32 s3, s23, s24
	s_mul_hi_u32 s14, s23, s25
	s_add_co_u32 s7, s26, s7
	s_add_co_ci_u32 s10, s27, s3
	s_mul_i32 s24, s23, s25
	s_add_co_ci_u32 s25, s14, 0
	s_delay_alu instid0(SALU_CYCLE_1) | instskip(NEXT) | instid1(SALU_CYCLE_1)
	s_add_nc_u64 s[24:25], s[10:11], s[24:25]
	s_add_co_u32 s3, s22, s24
	s_cselect_b32 s7, -1, 0
	s_delay_alu instid0(SALU_CYCLE_1) | instskip(SKIP_2) | instid1(SALU_CYCLE_1)
	s_cmp_lg_u32 s7, 0
	s_add_co_ci_u32 s7, s23, s25
	s_ashr_i32 s22, s9, 31
	s_mov_b32 s23, s22
	s_delay_alu instid0(SALU_CYCLE_1) | instskip(NEXT) | instid1(SALU_CYCLE_1)
	s_add_nc_u64 s[24:25], s[8:9], s[22:23]
	s_xor_b64 s[24:25], s[24:25], s[22:23]
	s_delay_alu instid0(SALU_CYCLE_1)
	s_mul_hi_u32 s27, s24, s7
	s_mul_i32 s26, s24, s7
	s_mul_hi_u32 s10, s24, s3
	s_mul_hi_u32 s14, s25, s3
	s_mul_i32 s3, s25, s3
	s_add_nc_u64 s[26:27], s[10:11], s[26:27]
	s_mul_hi_u32 s9, s25, s7
	s_add_co_u32 s3, s26, s3
	s_add_co_ci_u32 s10, s27, s14
	s_mul_i32 s28, s25, s7
	s_add_co_ci_u32 s29, s9, 0
	s_delay_alu instid0(SALU_CYCLE_1) | instskip(NEXT) | instid1(SALU_CYCLE_1)
	s_add_nc_u64 s[26:27], s[10:11], s[28:29]
	s_and_b64 s[28:29], s[26:27], 0xffffffff00000000
	s_delay_alu instid0(SALU_CYCLE_1) | instskip(NEXT) | instid1(SALU_CYCLE_1)
	s_or_b32 s28, s28, s26
	s_mul_u64 s[26:27], s[12:13], s[28:29]
	s_add_nc_u64 s[30:31], s[28:29], 1
	s_sub_co_u32 s3, s24, s26
	s_cselect_b32 s7, -1, 0
	s_sub_co_i32 s9, s25, s27
	s_cmp_lg_u32 s7, 0
	s_add_nc_u64 s[34:35], s[28:29], 2
	s_sub_co_ci_u32 s9, s9, s13
	s_sub_co_u32 s10, s3, s12
	s_cselect_b32 s14, -1, 0
	s_delay_alu instid0(SALU_CYCLE_1) | instskip(SKIP_1) | instid1(SALU_CYCLE_1)
	s_cmp_lg_u32 s14, 0
	s_sub_co_ci_u32 s9, s9, 0
	s_cmp_ge_u32 s9, s13
	s_cselect_b32 s14, -1, 0
	s_cmp_ge_u32 s10, s12
	s_cselect_b32 s10, -1, 0
	s_cmp_eq_u32 s9, s13
	s_cselect_b32 s9, s10, s14
	s_delay_alu instid0(SALU_CYCLE_1) | instskip(SKIP_4) | instid1(SALU_CYCLE_1)
	s_cmp_lg_u32 s9, 0
	s_cselect_b32 s9, s34, s30
	s_cselect_b32 s10, s35, s31
	s_cmp_lg_u32 s7, 0
	s_sub_co_ci_u32 s7, s25, s27
	s_cmp_ge_u32 s7, s13
	s_cselect_b32 s14, -1, 0
	s_cmp_ge_u32 s3, s12
	s_cselect_b32 s3, -1, 0
	s_cmp_eq_u32 s7, s13
	s_cselect_b32 s3, s3, s14
	s_delay_alu instid0(SALU_CYCLE_1) | instskip(SKIP_3) | instid1(SALU_CYCLE_1)
	s_cmp_lg_u32 s3, 0
	s_cselect_b32 s13, s10, s29
	s_cselect_b32 s12, s9, s28
	s_xor_b64 s[22:23], s[22:23], 0
	s_xor_b64 s[12:13], s[12:13], s[22:23]
	s_delay_alu instid0(SALU_CYCLE_1)
	s_sub_nc_u64 s[24:25], s[12:13], s[22:23]
	s_load_b96 s[12:14], s[0:1], 0x44
	s_cbranch_execnz .LBB23_6
.LBB23_5:
	v_cvt_f32_u32_e32 v1, s16
	s_sub_co_i32 s7, 0, s16
	s_delay_alu instid0(VALU_DEP_1) | instskip(SKIP_1) | instid1(TRANS32_DEP_1)
	v_rcp_iflag_f32_e32 v1, v1
	v_nop
	v_mul_f32_e32 v1, 0x4f7ffffe, v1
	s_delay_alu instid0(VALU_DEP_1) | instskip(NEXT) | instid1(VALU_DEP_1)
	v_cvt_u32_f32_e32 v1, v1
	v_readfirstlane_b32 s3, v1
	s_mul_i32 s7, s7, s3
	s_delay_alu instid0(SALU_CYCLE_1) | instskip(NEXT) | instid1(SALU_CYCLE_1)
	s_mul_hi_u32 s7, s3, s7
	s_add_co_i32 s3, s3, s7
	s_delay_alu instid0(SALU_CYCLE_1) | instskip(NEXT) | instid1(SALU_CYCLE_1)
	s_mul_hi_u32 s3, s8, s3
	s_mul_i32 s7, s3, s16
	s_delay_alu instid0(SALU_CYCLE_1)
	s_sub_co_i32 s7, s8, s7
	s_add_co_i32 s8, s3, 1
	s_sub_co_i32 s9, s7, s16
	s_cmp_ge_u32 s7, s16
	s_cselect_b32 s3, s8, s3
	s_cselect_b32 s7, s9, s7
	s_add_co_i32 s8, s3, 1
	s_cmp_ge_u32 s7, s16
	s_cselect_b32 s24, s8, s3
.LBB23_6:
	s_delay_alu instid0(SALU_CYCLE_1)
	s_cmp_eq_u32 s20, s24
	s_mov_b64 s[8:9], 0xffffffff
	s_cselect_b32 s3, -1, 0
	s_and_b64 s[8:9], s[20:21], s[8:9]
	s_mov_b32 s23, 0
	s_wait_kmcnt 0x0
	s_mov_b32 s22, s12
	s_mov_b32 s25, s23
	s_mul_u64 s[10:11], s[8:9], s[22:23]
	s_delay_alu instid0(SALU_CYCLE_1) | instskip(SKIP_2) | instid1(SALU_CYCLE_1)
	s_add_co_i32 s7, s11, s20
	s_mul_u64 s[10:11], s[24:25], s[22:23]
	s_lshr_b32 s12, s7, s13
	s_mul_i32 s7, s12, s14
	s_delay_alu instid0(SALU_CYCLE_1) | instskip(SKIP_2) | instid1(SALU_CYCLE_1)
	s_cmp_eq_u32 s7, s20
	s_cselect_b32 s7, -1, 0
	s_add_co_i32 s10, s11, s24
	s_lshr_b32 s10, s10, s13
	s_delay_alu instid0(SALU_CYCLE_1)
	s_cmp_eq_u32 s12, s10
	s_mul_i32 s10, s10, s14
	s_cselect_b32 s11, -1, 0
	s_cmp_lg_u32 s10, s24
	s_cselect_b32 s10, -1, 0
	s_or_b32 s3, s3, s7
	s_and_b32 s10, s11, s10
	s_delay_alu instid0(SALU_CYCLE_1) | instskip(NEXT) | instid1(SALU_CYCLE_1)
	s_or_b32 s3, s3, s10
	s_and_b32 vcc_lo, exec_lo, s3
	s_cbranch_vccnz .LBB23_24
; %bb.7:
	s_load_b256 s[24:31], s[0:1], 0x20
	s_bfe_u32 s7, ttmp6, 0x40014
	s_bfe_u32 s33, ttmp6, 0x40010
	s_lshr_b32 s3, ttmp7, 16
	s_add_co_i32 s7, s7, 1
	s_and_b32 s21, ttmp7, 0xffff
	s_add_co_i32 s33, s33, 1
	s_bfe_u32 s10, ttmp6, 0x40008
	s_mul_i32 s7, s3, s7
	s_bfe_u32 s34, ttmp6, 0x40004
	s_mul_i32 s33, s21, s33
	s_mov_b32 s11, s23
	s_add_co_i32 s35, s10, s7
	s_add_co_i32 s34, s34, s33
	s_cmp_eq_u32 s15, 0
	s_cselect_b32 s7, s21, s34
	s_cselect_b32 s3, s3, s35
	s_wait_kmcnt 0x0
	s_mov_b32 s10, s24
	s_delay_alu instid0(SALU_CYCLE_1) | instskip(NEXT) | instid1(SALU_CYCLE_1)
	s_mul_u64 s[8:9], s[8:9], s[10:11]
	s_add_co_i32 s8, s9, s20
	s_load_b32 s9, s[0:1], 0x40
	s_lshr_b32 s8, s8, s25
	s_delay_alu instid0(SALU_CYCLE_1) | instskip(NEXT) | instid1(SALU_CYCLE_1)
	s_mul_i32 s10, s8, s26
	s_sub_co_i32 s10, s20, s10
	s_delay_alu instid0(SALU_CYCLE_1) | instskip(NEXT) | instid1(SALU_CYCLE_1)
	s_mul_hi_u32 s11, s10, s27
	s_add_co_i32 s11, s10, s11
	s_delay_alu instid0(SALU_CYCLE_1) | instskip(NEXT) | instid1(SALU_CYCLE_1)
	s_lshr_b32 s15, s11, s28
	s_mul_i32 s11, s15, s29
	s_delay_alu instid0(SALU_CYCLE_1) | instskip(NEXT) | instid1(SALU_CYCLE_1)
	s_sub_co_i32 s10, s10, s11
	s_mul_hi_u32 s11, s10, s30
	s_delay_alu instid0(SALU_CYCLE_1) | instskip(NEXT) | instid1(SALU_CYCLE_1)
	s_add_co_i32 s11, s10, s11
	s_lshr_b32 s26, s11, s31
	s_mov_b32 s11, s23
	s_wait_kmcnt 0x0
	s_mul_i32 s9, s26, s9
	s_delay_alu instid0(SALU_CYCLE_1) | instskip(NEXT) | instid1(SALU_CYCLE_1)
	s_sub_co_i32 s10, s10, s9
	s_mul_u64 s[24:25], s[10:11], s[22:23]
	s_lshl_b32 s24, s26, 2
	s_add_co_i32 s9, s10, s25
	s_delay_alu instid0(SALU_CYCLE_1) | instskip(NEXT) | instid1(SALU_CYCLE_1)
	s_lshr_b32 s21, s9, s13
	s_lshl_b32 s9, s21, 3
	s_delay_alu instid0(SALU_CYCLE_1) | instskip(NEXT) | instid1(SALU_CYCLE_1)
	s_add_co_i32 s9, s9, s7
	s_cmp_lt_i32 s9, s4
	s_cselect_b32 s9, -1, 0
	s_add_co_i32 s10, s24, s3
	s_delay_alu instid0(SALU_CYCLE_1) | instskip(SKIP_1) | instid1(SALU_CYCLE_1)
	s_cmp_lt_i32 s10, s6
	s_cselect_b32 s10, -1, 0
	s_and_b32 s9, s9, s10
	s_delay_alu instid0(SALU_CYCLE_1)
	s_and_not1_b32 vcc_lo, exec_lo, s9
	s_cbranch_vccnz .LBB23_24
; %bb.8:
	s_mul_i32 s4, s8, s4
	s_load_b128 s[8:11], s[0:1], 0x0
	s_wait_xcnt 0x0
	s_add_co_i32 s0, s4, s7
	s_mul_i32 s15, s15, s6
	s_mul_i32 s0, s0, s5
	;; [unrolled: 1-line block ×3, first 2 shown]
	s_add_co_i32 s0, s0, s3
	s_lshl_b32 s1, s1, 10
	s_add_co_i32 s0, s0, s15
	s_lshl_b32 s15, s7, 2
	s_add_co_i32 s0, s0, s24
	s_add_co_i32 s15, s15, s3
	s_lshl_b32 s0, s0, 7
	v_lshl_or_b32 v6, s15, 7, v0
	s_add_co_i32 s1, s1, s0
	v_cvt_f32_u32_e32 v4, s16
	v_or_b32_e32 v2, s1, v0
	s_add_nc_u64 s[0:1], s[16:17], 0
	s_lshl_b32 s24, s16, 7
	s_xor_b64 s[6:7], s[0:1], 0
	s_lshl_b32 s0, s2, 5
	s_cvt_f32_u32 s3, s6
	s_add_co_i32 s0, s15, s0
	s_cvt_f32_u32 s4, s7
	s_ashr_i32 s1, s0, 31
	v_rcp_iflag_f32_e32 v4, v4
	s_lshl_b64 s[0:1], s[0:1], 3
	s_fmamk_f32 s3, s4, 0x4f800000, s3
	s_wait_kmcnt 0x0
	s_add_nc_u64 s[0:1], s[10:11], s[0:1]
	s_mov_b32 s25, 0
	s_load_b64 s[28:29], s[0:1], 0x0
	v_s_rcp_f32 s3, s3
	s_wait_xcnt 0x0
	s_lshl_b64 s[0:1], s[24:25], 2
	s_add_co_i32 s36, s2, -1
	s_add_nc_u64 s[26:27], s[10:11], s[0:1]
	s_sub_nc_u64 s[34:35], 0, s[6:7]
	v_mul_f32_e32 v4, 0x4f7ffffe, v4
	s_delay_alu instid0(TRANS32_DEP_1) | instskip(NEXT) | instid1(VALU_DEP_1)
	s_mul_f32 s3, s3, 0x5f7ffffc
	v_cvt_u32_f32_e32 v7, v4
	s_delay_alu instid0(SALU_CYCLE_2) | instskip(NEXT) | instid1(SALU_CYCLE_3)
	s_mul_f32 s4, s3, 0x2f800000
	s_trunc_f32 s4, s4
	s_wait_kmcnt 0x0
	v_mov_b32_e32 v0, s29
	global_load_b32 v1, v2, s[8:9] scale_offset
	v_ashrrev_i32_e32 v3, 31, v2
	s_fmamk_f32 s0, s4, 0xcf800000, s3
	s_cvt_u32_f32 s31, s4
	s_wait_xcnt 0x0
	s_delay_alu instid0(VALU_DEP_1)
	v_lshl_add_u64 v[2:3], v[2:3], 2, s[8:9]
	s_cvt_u32_f32 s30, s0
	s_mov_b64 s[8:9], 0xffffffff
.LBB23_9:                               ; =>This Inner Loop Header: Depth=1
	s_ashr_i32 s37, s36, 31
                                        ; implicit-def: $sgpr40_sgpr41
	s_delay_alu instid0(SALU_CYCLE_1) | instskip(NEXT) | instid1(SALU_CYCLE_1)
	s_mul_u64 s[0:1], s[36:37], s[18:19]
	s_and_b64 s[2:3], s[0:1], 0xffffffff00000000
	s_delay_alu instid0(SALU_CYCLE_1)
	s_cmp_lg_u64 s[2:3], 0
	s_mov_b32 s2, -1
	s_cbranch_scc0 .LBB23_11
; %bb.10:                               ;   in Loop: Header=BB23_9 Depth=1
	s_mul_u64 s[2:3], s[34:35], s[30:31]
	s_delay_alu instid0(SALU_CYCLE_1)
	s_mul_hi_u32 s5, s30, s3
	s_mul_i32 s4, s30, s3
	s_mul_hi_u32 s24, s30, s2
	s_mul_hi_u32 s17, s31, s2
	s_add_nc_u64 s[4:5], s[24:25], s[4:5]
	s_mul_i32 s2, s31, s2
	s_mul_hi_u32 s21, s31, s3
	s_add_co_u32 s2, s4, s2
	s_add_co_ci_u32 s24, s5, s17
	s_add_co_ci_u32 s5, s21, 0
	s_mul_i32 s4, s31, s3
	s_delay_alu instid0(SALU_CYCLE_1) | instskip(NEXT) | instid1(SALU_CYCLE_1)
	s_add_nc_u64 s[2:3], s[24:25], s[4:5]
	s_add_co_u32 s2, s30, s2
	s_cselect_b32 s4, -1, 0
	s_delay_alu instid0(SALU_CYCLE_1) | instskip(SKIP_1) | instid1(SALU_CYCLE_1)
	s_cmp_lg_u32 s4, 0
	s_add_co_ci_u32 s3, s31, s3
	s_mul_u64 s[4:5], s[34:35], s[2:3]
	s_delay_alu instid0(SALU_CYCLE_1)
	s_mul_hi_u32 s39, s2, s5
	s_mul_i32 s38, s2, s5
	s_mul_hi_u32 s24, s2, s4
	s_mul_hi_u32 s17, s3, s4
	s_mul_i32 s4, s3, s4
	s_add_nc_u64 s[38:39], s[24:25], s[38:39]
	s_mul_hi_u32 s21, s3, s5
	s_add_co_u32 s4, s38, s4
	s_add_co_ci_u32 s24, s39, s17
	s_mul_i32 s4, s3, s5
	s_add_co_ci_u32 s5, s21, 0
	s_delay_alu instid0(SALU_CYCLE_1) | instskip(NEXT) | instid1(SALU_CYCLE_1)
	s_add_nc_u64 s[4:5], s[24:25], s[4:5]
	s_add_co_u32 s17, s2, s4
	s_cselect_b32 s2, -1, 0
	s_delay_alu instid0(SALU_CYCLE_1) | instskip(SKIP_2) | instid1(SALU_CYCLE_1)
	s_cmp_lg_u32 s2, 0
	s_add_co_ci_u32 s21, s3, s5
	s_ashr_i32 s2, s1, 31
	s_mov_b32 s3, s2
	s_delay_alu instid0(SALU_CYCLE_1) | instskip(NEXT) | instid1(SALU_CYCLE_1)
	s_add_nc_u64 s[4:5], s[0:1], s[2:3]
	s_xor_b64 s[4:5], s[4:5], s[2:3]
	s_delay_alu instid0(SALU_CYCLE_1)
	s_mul_hi_u32 s39, s4, s21
	s_mul_i32 s38, s4, s21
	s_mul_hi_u32 s24, s4, s17
	s_mul_hi_u32 s29, s5, s17
	s_mul_i32 s17, s5, s17
	s_add_nc_u64 s[38:39], s[24:25], s[38:39]
	s_mul_hi_u32 s1, s5, s21
	s_add_co_u32 s17, s38, s17
	s_add_co_ci_u32 s24, s39, s29
	s_mul_i32 s40, s5, s21
	s_add_co_ci_u32 s41, s1, 0
	s_delay_alu instid0(SALU_CYCLE_1) | instskip(NEXT) | instid1(SALU_CYCLE_1)
	s_add_nc_u64 s[38:39], s[24:25], s[40:41]
	s_and_b64 s[40:41], s[38:39], 0xffffffff00000000
	s_delay_alu instid0(SALU_CYCLE_1) | instskip(NEXT) | instid1(SALU_CYCLE_1)
	s_or_b32 s40, s40, s38
	s_mul_u64 s[38:39], s[6:7], s[40:41]
	s_add_nc_u64 s[42:43], s[40:41], 1
	s_sub_co_u32 s1, s4, s38
	s_cselect_b32 s4, -1, 0
	s_sub_co_i32 s17, s5, s39
	s_cmp_lg_u32 s4, 0
	s_add_nc_u64 s[44:45], s[40:41], 2
	s_sub_co_ci_u32 s17, s17, s7
	s_sub_co_u32 s21, s1, s6
	s_cselect_b32 s24, -1, 0
	s_delay_alu instid0(SALU_CYCLE_1) | instskip(SKIP_1) | instid1(SALU_CYCLE_1)
	s_cmp_lg_u32 s24, 0
	s_sub_co_ci_u32 s17, s17, 0
	s_cmp_ge_u32 s17, s7
	s_cselect_b32 s24, -1, 0
	s_cmp_ge_u32 s21, s6
	s_cselect_b32 s21, -1, 0
	s_cmp_eq_u32 s17, s7
	s_cselect_b32 s17, s21, s24
	s_delay_alu instid0(SALU_CYCLE_1) | instskip(SKIP_4) | instid1(SALU_CYCLE_1)
	s_cmp_lg_u32 s17, 0
	s_cselect_b32 s17, s44, s42
	s_cselect_b32 s21, s45, s43
	s_cmp_lg_u32 s4, 0
	s_sub_co_ci_u32 s4, s5, s39
	s_cmp_ge_u32 s4, s7
	s_cselect_b32 s5, -1, 0
	s_cmp_ge_u32 s1, s6
	s_cselect_b32 s1, -1, 0
	s_cmp_eq_u32 s4, s7
	s_cselect_b32 s1, s1, s5
	s_delay_alu instid0(SALU_CYCLE_1) | instskip(SKIP_3) | instid1(SALU_CYCLE_1)
	s_cmp_lg_u32 s1, 0
	s_cselect_b32 s5, s21, s41
	s_cselect_b32 s4, s17, s40
	s_xor_b64 s[2:3], s[2:3], 0
	s_xor_b64 s[4:5], s[4:5], s[2:3]
	s_delay_alu instid0(SALU_CYCLE_1)
	s_sub_nc_u64 s[40:41], s[4:5], s[2:3]
	s_mov_b32 s2, 0
.LBB23_11:                              ;   in Loop: Header=BB23_9 Depth=1
	s_delay_alu instid0(SALU_CYCLE_1)
	s_and_not1_b32 vcc_lo, exec_lo, s2
	s_cbranch_vccnz .LBB23_13
; %bb.12:                               ;   in Loop: Header=BB23_9 Depth=1
	v_readfirstlane_b32 s1, v7
	s_sub_co_i32 s2, 0, s16
	s_delay_alu instid0(SALU_CYCLE_1) | instskip(NEXT) | instid1(SALU_CYCLE_1)
	s_mul_i32 s2, s2, s1
	s_mul_hi_u32 s2, s1, s2
	s_delay_alu instid0(SALU_CYCLE_1) | instskip(NEXT) | instid1(SALU_CYCLE_1)
	s_add_co_i32 s1, s1, s2
	s_mul_hi_u32 s1, s0, s1
	s_delay_alu instid0(SALU_CYCLE_1) | instskip(NEXT) | instid1(SALU_CYCLE_1)
	s_mul_i32 s2, s1, s16
	s_sub_co_i32 s0, s0, s2
	s_add_co_i32 s2, s1, 1
	s_sub_co_i32 s3, s0, s16
	s_cmp_ge_u32 s0, s16
	s_cselect_b32 s1, s2, s1
	s_cselect_b32 s0, s3, s0
	s_add_co_i32 s2, s1, 1
	s_cmp_ge_u32 s0, s16
	s_cselect_b32 s24, s2, s1
	s_delay_alu instid0(SALU_CYCLE_1)
	s_mov_b64 s[40:41], s[24:25]
.LBB23_13:                              ;   in Loop: Header=BB23_9 Depth=1
	s_delay_alu instid0(SALU_CYCLE_1)
	s_cmp_lg_u32 s20, s40
	s_mov_b32 s0, -1
                                        ; implicit-def: $vgpr4_vgpr5
                                        ; implicit-def: $sgpr24
                                        ; implicit-def: $sgpr17
                                        ; implicit-def: $sgpr21
                                        ; implicit-def: $sgpr29
	s_cbranch_scc0 .LBB23_18
; %bb.14:                               ;   in Loop: Header=BB23_9 Depth=1
	s_add_co_i32 s0, s36, s16
	v_max_num_f32_e64 v4, s28, s28
	s_lshl_b32 s0, s0, 5
	s_mov_b32 s29, s20
	s_add_co_i32 s0, s0, s15
	s_load_b64 s[38:39], s[10:11], s0 offset:0x0 scale_offset
	s_wait_xcnt 0x0
	v_readfirstlane_b32 s0, v4
	s_wait_kmcnt 0x0
	v_max_num_f32_e64 v5, s38, s38
	s_delay_alu instid0(VALU_DEP_1) | instskip(SKIP_1) | instid1(SALU_CYCLE_3)
	v_readfirstlane_b32 s1, v5
	s_max_num_f32 s17, s0, s1
	s_sub_f32 s33, s28, s17
	s_sub_f32 s37, s38, s17
	s_delay_alu instid0(SALU_CYCLE_2)
	s_cmp_nlt_f32 s33, 0xc2ce8ed0
	s_cselect_b32 s1, -1, 0
	s_cmp_ngt_f32 s33, 0x42b17218
	s_cselect_b32 s2, -1, 0
	s_cmp_ge_f32 s33, 0xc1a00000
	s_cselect_b32 s0, -1, 0
	s_cmp_nlt_f32 s37, 0xc2ce8ed0
	s_cselect_b32 s3, -1, 0
	s_cmp_ngt_f32 s37, 0x42b17218
	s_cselect_b32 s4, -1, 0
	s_cmp_ge_f32 s37, 0xc1a00000
	s_cselect_b32 s5, -1, 0
	s_and_b64 s[42:43], s[40:41], s[8:9]
	s_delay_alu instid0(SALU_CYCLE_1) | instskip(NEXT) | instid1(SALU_CYCLE_1)
	s_mul_u64 s[42:43], s[42:43], s[22:23]
	s_add_co_i32 s21, s43, s40
	s_delay_alu instid0(SALU_CYCLE_1) | instskip(NEXT) | instid1(SALU_CYCLE_1)
	s_lshr_b32 s21, s21, s13
	s_mul_i32 s24, s21, s14
	s_delay_alu instid0(SALU_CYCLE_1) | instskip(SKIP_3) | instid1(SALU_CYCLE_1)
	s_cmp_eq_u32 s24, s40
	s_cselect_b32 s24, -1, 0
	s_cmp_lt_u32 s21, s12
	s_cselect_b32 s21, -1, 0
	s_or_b32 s21, s21, s24
	s_mov_b32 s24, -1
	s_and_b32 vcc_lo, exec_lo, s21
	s_mov_b32 s21, s36
	s_cbranch_vccnz .LBB23_16
; %bb.15:                               ;   in Loop: Header=BB23_9 Depth=1
	s_add_co_i32 s21, s36, -1
	s_mov_b32 s24, 0
	s_mov_b32 s29, s40
.LBB23_16:                              ;   in Loop: Header=BB23_9 Depth=1
	v_lshl_add_u32 v4, s36, 12, v6
	s_mul_f32 s40, s33, 0x3fb8aa3b
	s_mul_f32 s38, s37, 0x3fb8aa3b
	s_delay_alu instid0(SALU_CYCLE_2)
	s_xor_b32 s42, s40, 0x80000000
	global_load_b32 v5, v4, s[26:27] scale_offset
	s_fmamk_f32 s42, s33, 0x3fb8aa3b, s42
	s_rndne_f32 s44, s40
	s_xor_b32 s41, s38, 0x80000000
	s_rndne_f32 s43, s38
	s_fmamk_f32 s33, s33, 0x32a5705f, s42
	s_sub_f32 s40, s40, s44
	s_fmamk_f32 s41, s37, 0x3fb8aa3b, s41
	s_sub_f32 s38, s38, s43
	s_delay_alu instid0(SALU_CYCLE_1) | instskip(NEXT) | instid1(SALU_CYCLE_1)
	s_add_f32 s33, s40, s33
	s_fmamk_f32 s37, s37, 0x32a5705f, s41
	s_cvt_i32_f32 s40, s44
	s_delay_alu instid0(SALU_CYCLE_1) | instskip(NEXT) | instid1(SALU_CYCLE_1)
	v_s_exp_f32 s33, s33
	s_add_f32 s37, s38, s37
	s_cvt_i32_f32 s38, s43
	s_delay_alu instid0(SALU_CYCLE_2) | instskip(NEXT) | instid1(TRANS32_DEP_2)
	v_s_exp_f32 s37, s37
	v_ldexp_f32 v8, s33, s40
	s_wait_xcnt 0x0
	s_delay_alu instid0(TRANS32_DEP_1) | instskip(NEXT) | instid1(VALU_DEP_2)
	v_ldexp_f32 v4, s37, s38
	v_cndmask_b32_e64 v8, 0, v8, s1
	s_delay_alu instid0(VALU_DEP_1) | instskip(NEXT) | instid1(VALU_DEP_1)
	v_cndmask_b32_e64 v9, 0x7f800000, v8, s2
	v_dual_cndmask_b32 v4, 0, v4, s3 :: v_dual_cndmask_b32 v10, 0, v9, s0
	s_delay_alu instid0(VALU_DEP_1) | instskip(NEXT) | instid1(VALU_DEP_1)
	v_cndmask_b32_e64 v4, 0x7f800000, v4, s4
	v_dual_cndmask_b32 v8, 0, v4, s5 :: v_dual_mov_b32 v4, s39
	s_wait_loadcnt 0x0
	s_delay_alu instid0(VALU_DEP_1) | instskip(NEXT) | instid1(VALU_DEP_1)
	v_pk_mul_f32 v[4:5], v[4:5], v[8:9] op_sel_hi:[1,0]
	v_pk_fma_f32 v[4:5], v[0:1], v[10:11], v[4:5] op_sel_hi:[1,0,1]
	s_cbranch_execz .LBB23_19
.LBB23_17:                              ;   in Loop: Header=BB23_9 Depth=1
	s_and_not1_b32 vcc_lo, exec_lo, s24
	s_cbranch_vccnz .LBB23_20
	s_branch .LBB23_23
.LBB23_18:                              ;   in Loop: Header=BB23_9 Depth=1
	s_and_not1_b32 vcc_lo, exec_lo, s0
	s_cbranch_vccnz .LBB23_17
.LBB23_19:                              ;   in Loop: Header=BB23_9 Depth=1
	s_wait_loadcnt 0x0
	v_mov_b64_e32 v[4:5], v[0:1]
	s_add_co_i32 s21, s36, -1
	s_mov_b32 s29, s20
	s_mov_b32 s17, s28
	s_cbranch_execz .LBB23_23
.LBB23_20:                              ;   in Loop: Header=BB23_9 Depth=1
	s_wait_loadcnt 0x0
	s_delay_alu instid0(VALU_DEP_1)
	v_mov_b64_e32 v[0:1], v[4:5]
	s_mov_b32 s20, s29
	s_mov_b32 s36, s21
	;; [unrolled: 1-line block ×3, first 2 shown]
	s_branch .LBB23_9
.LBB23_21:
                                        ; implicit-def: $sgpr20_sgpr21
	s_branch .LBB23_2
.LBB23_22:
                                        ; implicit-def: $sgpr24_sgpr25
	s_load_b96 s[12:14], s[0:1], 0x44
	s_branch .LBB23_5
.LBB23_23:
	s_delay_alu instid0(VALU_DEP_1) | instskip(SKIP_1) | instid1(VALU_DEP_1)
	v_div_scale_f32 v0, null, v4, v4, v5
	s_wait_loadcnt 0x0
	v_rcp_f32_e32 v1, v0
	v_nop
	s_delay_alu instid0(TRANS32_DEP_1) | instskip(NEXT) | instid1(VALU_DEP_1)
	v_fma_f32 v6, -v0, v1, 1.0
	v_fmac_f32_e32 v1, v6, v1
	v_div_scale_f32 v6, vcc_lo, v5, v4, v5
	s_delay_alu instid0(VALU_DEP_1) | instskip(NEXT) | instid1(VALU_DEP_1)
	v_mul_f32_e32 v7, v6, v1
	v_fma_f32 v8, -v0, v7, v6
	s_delay_alu instid0(VALU_DEP_1) | instskip(NEXT) | instid1(VALU_DEP_1)
	v_fmac_f32_e32 v7, v8, v1
	v_fma_f32 v0, -v0, v7, v6
	s_delay_alu instid0(VALU_DEP_1) | instskip(NEXT) | instid1(VALU_DEP_1)
	v_div_fmas_f32 v0, v0, v1, v7
	v_div_fixup_f32 v0, v0, v4, v5
	global_store_b32 v[2:3], v0, off
.LBB23_24:
	s_endpgm
	.section	.rodata,"a",@progbits
	.p2align	6, 0x0
	.amdhsa_kernel _ZL33flash_attn_stream_k_fixup_generalILi128ELi8ELi4EEvPfPK15HIP_vector_typeIfLj2EEiiiiS1_IjLj3EES5_S5_S5_
		.amdhsa_group_segment_fixed_size 0
		.amdhsa_private_segment_fixed_size 0
		.amdhsa_kernarg_size 336
		.amdhsa_user_sgpr_count 2
		.amdhsa_user_sgpr_dispatch_ptr 0
		.amdhsa_user_sgpr_queue_ptr 0
		.amdhsa_user_sgpr_kernarg_segment_ptr 1
		.amdhsa_user_sgpr_dispatch_id 0
		.amdhsa_user_sgpr_kernarg_preload_length 0
		.amdhsa_user_sgpr_kernarg_preload_offset 0
		.amdhsa_user_sgpr_private_segment_size 0
		.amdhsa_wavefront_size32 1
		.amdhsa_uses_dynamic_stack 0
		.amdhsa_enable_private_segment 0
		.amdhsa_system_sgpr_workgroup_id_x 1
		.amdhsa_system_sgpr_workgroup_id_y 1
		.amdhsa_system_sgpr_workgroup_id_z 1
		.amdhsa_system_sgpr_workgroup_info 0
		.amdhsa_system_vgpr_workitem_id 0
		.amdhsa_next_free_vgpr 12
		.amdhsa_next_free_sgpr 46
		.amdhsa_named_barrier_count 0
		.amdhsa_reserve_vcc 1
		.amdhsa_float_round_mode_32 0
		.amdhsa_float_round_mode_16_64 0
		.amdhsa_float_denorm_mode_32 3
		.amdhsa_float_denorm_mode_16_64 3
		.amdhsa_fp16_overflow 0
		.amdhsa_memory_ordered 1
		.amdhsa_forward_progress 1
		.amdhsa_inst_pref_size 27
		.amdhsa_round_robin_scheduling 0
		.amdhsa_exception_fp_ieee_invalid_op 0
		.amdhsa_exception_fp_denorm_src 0
		.amdhsa_exception_fp_ieee_div_zero 0
		.amdhsa_exception_fp_ieee_overflow 0
		.amdhsa_exception_fp_ieee_underflow 0
		.amdhsa_exception_fp_ieee_inexact 0
		.amdhsa_exception_int_div_zero 0
	.end_amdhsa_kernel
	.section	.text._ZL33flash_attn_stream_k_fixup_generalILi128ELi8ELi4EEvPfPK15HIP_vector_typeIfLj2EEiiiiS1_IjLj3EES5_S5_S5_,"axG",@progbits,_ZL33flash_attn_stream_k_fixup_generalILi128ELi8ELi4EEvPfPK15HIP_vector_typeIfLj2EEiiiiS1_IjLj3EES5_S5_S5_,comdat
.Lfunc_end23:
	.size	_ZL33flash_attn_stream_k_fixup_generalILi128ELi8ELi4EEvPfPK15HIP_vector_typeIfLj2EEiiiiS1_IjLj3EES5_S5_S5_, .Lfunc_end23-_ZL33flash_attn_stream_k_fixup_generalILi128ELi8ELi4EEvPfPK15HIP_vector_typeIfLj2EEiiiiS1_IjLj3EES5_S5_S5_
                                        ; -- End function
	.set _ZL33flash_attn_stream_k_fixup_generalILi128ELi8ELi4EEvPfPK15HIP_vector_typeIfLj2EEiiiiS1_IjLj3EES5_S5_S5_.num_vgpr, 12
	.set _ZL33flash_attn_stream_k_fixup_generalILi128ELi8ELi4EEvPfPK15HIP_vector_typeIfLj2EEiiiiS1_IjLj3EES5_S5_S5_.num_agpr, 0
	.set _ZL33flash_attn_stream_k_fixup_generalILi128ELi8ELi4EEvPfPK15HIP_vector_typeIfLj2EEiiiiS1_IjLj3EES5_S5_S5_.numbered_sgpr, 46
	.set _ZL33flash_attn_stream_k_fixup_generalILi128ELi8ELi4EEvPfPK15HIP_vector_typeIfLj2EEiiiiS1_IjLj3EES5_S5_S5_.num_named_barrier, 0
	.set _ZL33flash_attn_stream_k_fixup_generalILi128ELi8ELi4EEvPfPK15HIP_vector_typeIfLj2EEiiiiS1_IjLj3EES5_S5_S5_.private_seg_size, 0
	.set _ZL33flash_attn_stream_k_fixup_generalILi128ELi8ELi4EEvPfPK15HIP_vector_typeIfLj2EEiiiiS1_IjLj3EES5_S5_S5_.uses_vcc, 1
	.set _ZL33flash_attn_stream_k_fixup_generalILi128ELi8ELi4EEvPfPK15HIP_vector_typeIfLj2EEiiiiS1_IjLj3EES5_S5_S5_.uses_flat_scratch, 0
	.set _ZL33flash_attn_stream_k_fixup_generalILi128ELi8ELi4EEvPfPK15HIP_vector_typeIfLj2EEiiiiS1_IjLj3EES5_S5_S5_.has_dyn_sized_stack, 0
	.set _ZL33flash_attn_stream_k_fixup_generalILi128ELi8ELi4EEvPfPK15HIP_vector_typeIfLj2EEiiiiS1_IjLj3EES5_S5_S5_.has_recursion, 0
	.set _ZL33flash_attn_stream_k_fixup_generalILi128ELi8ELi4EEvPfPK15HIP_vector_typeIfLj2EEiiiiS1_IjLj3EES5_S5_S5_.has_indirect_call, 0
	.section	.AMDGPU.csdata,"",@progbits
; Kernel info:
; codeLenInByte = 3360
; TotalNumSgprs: 48
; NumVgprs: 12
; ScratchSize: 0
; MemoryBound: 0
; FloatMode: 240
; IeeeMode: 1
; LDSByteSize: 0 bytes/workgroup (compile time only)
; SGPRBlocks: 0
; VGPRBlocks: 0
; NumSGPRsForWavesPerEU: 48
; NumVGPRsForWavesPerEU: 12
; NamedBarCnt: 0
; Occupancy: 16
; WaveLimiterHint : 0
; COMPUTE_PGM_RSRC2:SCRATCH_EN: 0
; COMPUTE_PGM_RSRC2:USER_SGPR: 2
; COMPUTE_PGM_RSRC2:TRAP_HANDLER: 0
; COMPUTE_PGM_RSRC2:TGID_X_EN: 1
; COMPUTE_PGM_RSRC2:TGID_Y_EN: 1
; COMPUTE_PGM_RSRC2:TGID_Z_EN: 1
; COMPUTE_PGM_RSRC2:TIDIG_COMP_CNT: 0
	.section	.text._ZL15flash_attn_tileILi128ELi128ELi4ELi4ELb0EEvPKcS1_S1_S1_S1_PKiPfP15HIP_vector_typeIfLj2EEffffjfiS5_IjLj3EEiiiiiiiiiiiliiliiiiil,"axG",@progbits,_ZL15flash_attn_tileILi128ELi128ELi4ELi4ELb0EEvPKcS1_S1_S1_S1_PKiPfP15HIP_vector_typeIfLj2EEffffjfiS5_IjLj3EEiiiiiiiiiiiliiliiiiil,comdat
	.globl	_ZL15flash_attn_tileILi128ELi128ELi4ELi4ELb0EEvPKcS1_S1_S1_S1_PKiPfP15HIP_vector_typeIfLj2EEffffjfiS5_IjLj3EEiiiiiiiiiiiliiliiiiil ; -- Begin function _ZL15flash_attn_tileILi128ELi128ELi4ELi4ELb0EEvPKcS1_S1_S1_S1_PKiPfP15HIP_vector_typeIfLj2EEffffjfiS5_IjLj3EEiiiiiiiiiiiliiliiiiil
	.p2align	8
	.type	_ZL15flash_attn_tileILi128ELi128ELi4ELi4ELb0EEvPKcS1_S1_S1_S1_PKiPfP15HIP_vector_typeIfLj2EEffffjfiS5_IjLj3EEiiiiiiiiiiiliiliiiiil,@function
_ZL15flash_attn_tileILi128ELi128ELi4ELi4ELb0EEvPKcS1_S1_S1_S1_PKiPfP15HIP_vector_typeIfLj2EEffffjfiS5_IjLj3EEiiiiiiiiiiiliiliiiiil: ; @_ZL15flash_attn_tileILi128ELi128ELi4ELi4ELb0EEvPKcS1_S1_S1_S1_PKiPfP15HIP_vector_typeIfLj2EEffffjfiS5_IjLj3EEiiiiiiiiiiiliiliiiiil
; %bb.0:
	s_clause 0x1
	s_load_b128 s[20:23], s[0:1], 0x5c
	s_load_b64 s[30:31], s[0:1], 0x80
	s_bfe_u32 s5, ttmp6, 0x40014
	s_lshr_b32 s4, ttmp7, 16
	s_add_co_i32 s5, s5, 1
	s_bfe_u32 s6, ttmp6, 0x40008
	s_mul_i32 s5, s4, s5
	s_getreg_b32 s27, hwreg(HW_REG_IB_STS2, 6, 4)
	s_add_co_i32 s6, s6, s5
	s_load_b64 s[36:37], s[0:1], 0xb8
	s_mov_b64 s[34:35], 0
	s_wait_kmcnt 0x0
	s_ashr_i32 s2, s23, 31
	s_delay_alu instid0(SALU_CYCLE_1) | instskip(NEXT) | instid1(SALU_CYCLE_1)
	s_lshr_b32 s2, s2, 30
	s_add_co_i32 s2, s23, s2
	s_delay_alu instid0(SALU_CYCLE_1) | instskip(NEXT) | instid1(SALU_CYCLE_1)
	s_ashr_i32 s2, s2, 2
	s_cvt_f32_u32 s3, s2
	s_sub_co_i32 s7, 0, s2
	s_delay_alu instid0(SALU_CYCLE_2) | instskip(SKIP_1) | instid1(TRANS32_DEP_1)
	v_rcp_iflag_f32_e32 v1, s3
	v_nop
	v_readfirstlane_b32 s3, v1
	s_mul_f32 s3, s3, 0x4f7ffffe
	s_delay_alu instid0(SALU_CYCLE_3) | instskip(NEXT) | instid1(SALU_CYCLE_3)
	s_cvt_u32_f32 s3, s3
	s_mul_i32 s7, s7, s3
	s_delay_alu instid0(SALU_CYCLE_1) | instskip(NEXT) | instid1(SALU_CYCLE_1)
	s_mul_hi_u32 s7, s3, s7
	s_add_co_i32 s3, s3, s7
	s_cmp_eq_u32 s27, 0
	s_cselect_b32 s4, s4, s6
	s_delay_alu instid0(SALU_CYCLE_1) | instskip(NEXT) | instid1(SALU_CYCLE_1)
	s_mul_hi_u32 s3, s4, s3
	s_mul_i32 s5, s3, s2
	s_add_co_i32 s6, s3, 1
	s_sub_co_i32 s5, s4, s5
	s_delay_alu instid0(SALU_CYCLE_1)
	s_sub_co_i32 s7, s5, s2
	s_cmp_ge_u32 s5, s2
	s_cselect_b32 s3, s6, s3
	s_cselect_b32 s5, s7, s5
	s_add_co_i32 s6, s3, 1
	s_cmp_ge_u32 s5, s2
	s_cselect_b32 s28, s6, s3
	s_abs_i32 s2, s31
	s_abs_i32 s7, s23
	s_cvt_f32_u32 s3, s2
	s_sub_co_i32 s5, 0, s2
	s_lshl_b32 s4, s4, 2
	s_mul_i32 s6, s28, s23
	v_rcp_iflag_f32_e32 v1, s3
	s_sub_co_i32 s33, s4, s6
	s_xor_b32 s4, s23, s31
	s_delay_alu instid0(SALU_CYCLE_1) | instskip(SKIP_1) | instid1(TRANS32_DEP_1)
	s_ashr_i32 s24, s4, 31
	v_nop
	v_readfirstlane_b32 s3, v1
	s_mul_f32 s3, s3, 0x4f7ffffe
	s_delay_alu instid0(SALU_CYCLE_3) | instskip(NEXT) | instid1(SALU_CYCLE_3)
	s_cvt_u32_f32 s3, s3
	s_mul_i32 s5, s5, s3
	s_delay_alu instid0(SALU_CYCLE_1) | instskip(NEXT) | instid1(SALU_CYCLE_1)
	s_mul_hi_u32 s5, s3, s5
	s_add_co_i32 s3, s3, s5
	s_delay_alu instid0(SALU_CYCLE_1) | instskip(NEXT) | instid1(SALU_CYCLE_1)
	s_mul_hi_u32 s3, s7, s3
	s_mul_i32 s5, s3, s2
	s_delay_alu instid0(SALU_CYCLE_1)
	s_sub_co_i32 s4, s7, s5
	s_add_co_i32 s5, s3, 1
	s_sub_co_i32 s6, s4, s2
	s_cmp_ge_u32 s4, s2
	s_cselect_b32 s3, s5, s3
	s_cselect_b32 s4, s6, s4
	s_add_co_i32 s5, s3, 1
	s_cmp_ge_u32 s4, s2
	s_cselect_b32 s2, s5, s3
	s_load_b512 s[4:19], s[0:1], 0x0
	s_xor_b32 s2, s2, s24
	s_mov_b32 s3, 0
	s_sub_co_i32 s29, s2, s24
	s_delay_alu instid0(SALU_CYCLE_1) | instskip(NEXT) | instid1(SALU_CYCLE_1)
	s_abs_i32 s38, s29
	s_cvt_f32_u32 s2, s38
	s_delay_alu instid0(SALU_CYCLE_3) | instskip(SKIP_1) | instid1(TRANS32_DEP_1)
	v_rcp_iflag_f32_e32 v1, s2
	v_nop
	v_readfirstlane_b32 s2, v1
	s_wait_kmcnt 0x0
	s_cmp_eq_u64 s[10:11], 0
	s_cbranch_scc1 .LBB24_2
; %bb.1:
	s_abs_i32 s26, s36
	s_abs_i32 s31, s28
	s_cvt_f32_u32 s24, s26
	s_sub_co_i32 s25, 0, s26
	s_delay_alu instid0(SALU_CYCLE_2) | instskip(SKIP_1) | instid1(TRANS32_DEP_1)
	v_rcp_iflag_f32_e32 v1, s24
	v_nop
	v_readfirstlane_b32 s24, v1
	s_mul_f32 s24, s24, 0x4f7ffffe
	s_delay_alu instid0(SALU_CYCLE_3) | instskip(NEXT) | instid1(SALU_CYCLE_3)
	s_cvt_u32_f32 s24, s24
	s_mul_i32 s25, s25, s24
	s_delay_alu instid0(SALU_CYCLE_1) | instskip(NEXT) | instid1(SALU_CYCLE_1)
	s_mul_hi_u32 s25, s24, s25
	s_add_co_i32 s24, s24, s25
	s_delay_alu instid0(SALU_CYCLE_1) | instskip(SKIP_2) | instid1(SALU_CYCLE_1)
	s_mul_hi_u32 s34, s31, s24
	s_load_b64 s[24:25], s[0:1], 0xc8
	s_mul_i32 s34, s34, s26
	s_sub_co_i32 s31, s31, s34
	s_ashr_i32 s34, s28, 31
	s_sub_co_i32 s35, s31, s26
	s_cmp_ge_u32 s31, s26
	s_cselect_b32 s31, s35, s31
	s_delay_alu instid0(SALU_CYCLE_1) | instskip(SKIP_2) | instid1(SALU_CYCLE_1)
	s_sub_co_i32 s35, s31, s26
	s_cmp_ge_u32 s31, s26
	s_cselect_b32 s26, s35, s31
	s_xor_b32 s26, s26, s34
	s_delay_alu instid0(SALU_CYCLE_1) | instskip(NEXT) | instid1(SALU_CYCLE_1)
	s_sub_co_i32 s34, s26, s34
	s_ashr_i32 s35, s34, 31
	s_wait_kmcnt 0x0
	s_mul_u64 s[24:25], s[24:25], s[34:35]
	s_delay_alu instid0(SALU_CYCLE_1)
	s_add_nc_u64 s[34:35], s[10:11], s[24:25]
.LBB24_2:
	s_bfe_u32 s10, ttmp6, 0x4000c
	v_dual_lshrrev_b32 v1, 10, v0 :: v_dual_mov_b32 v3, 0
	s_add_co_i32 s10, s10, 1
	s_and_b32 s11, ttmp6, 15
	s_mul_i32 s10, ttmp9, s10
	s_delay_alu instid0(VALU_DEP_1)
	v_bfe_u32 v1, v1, 1, 9
	s_add_co_i32 s11, s11, s10
	s_cmp_eq_u32 s27, 0
	s_load_b96 s[24:26], s[0:1], 0x70
	s_cselect_b32 s10, ttmp9, s11
	v_bfe_u32 v16, v0, 10, 10
	v_lshl_add_u32 v78, s10, 2, v1
	v_dual_mov_b32 v29, v3 :: v_dual_mov_b32 v7, v3
	v_mov_b32_e32 v11, v3
	s_delay_alu instid0(VALU_DEP_3) | instskip(NEXT) | instid1(VALU_DEP_1)
	v_mul_hi_u32 v1, s20, v78
	v_add_nc_u32_e32 v1, v78, v1
	s_wait_kmcnt 0x0
	s_mul_i32 s20, s33, s25
	s_ashr_i32 s41, s25, 31
	s_mov_b32 s40, s25
	s_ashr_i32 s25, s24, 31
	v_lshrrev_b32_e32 v1, s21, v1
	s_lshr_b64 s[24:25], s[24:25], 2
	s_ashr_i32 s21, s20, 31
	s_delay_alu instid0(VALU_DEP_1) | instskip(NEXT) | instid1(VALU_DEP_1)
	v_mul_lo_u32 v1, v1, s22
	v_dual_sub_nc_u32 v2, v78, v1 :: v_dual_lshlrev_b32 v1, 1, v16
	s_delay_alu instid0(VALU_DEP_1) | instskip(NEXT) | instid1(VALU_DEP_2)
	v_mul_u64_e32 v[4:5], s[24:25], v[2:3]
	v_and_b32_e32 v28, 2, v1
	v_bitop3_b32 v6, v1, 3, 1 bitop3:0xc8
	s_lshr_b64 s[24:25], s[40:41], 2
	s_delay_alu instid0(VALU_DEP_2) | instid1(SALU_CYCLE_1)
	v_mul_u64_e32 v[8:9], s[24:25], v[28:29]
	s_delay_alu instid0(VALU_DEP_2)
	v_mul_u64_e32 v[6:7], s[24:25], v[6:7]
	s_mul_i32 s24, s28, s26
	v_and_b32_e32 v29, 0x3ff, v0
	s_ashr_i32 s25, s24, 31
	v_lshlrev_b32_e32 v0, 9, v16
	s_add_nc_u64 s[4:5], s[4:5], s[24:25]
	s_cmp_eq_u64 s[14:15], 0
	s_add_nc_u64 s[4:5], s[4:5], s[20:21]
	v_dual_lshlrev_b32 v10, 4, v29 :: v_dual_lshlrev_b32 v80, 3, v29
	s_delay_alu instid0(VALU_DEP_1) | instskip(SKIP_2) | instid1(VALU_DEP_1)
	v_add_nc_u32_e32 v3, 0x9800, v80
	v_lshl_add_u64 v[4:5], v[4:5], 2, s[4:5]
	s_load_b32 s4, s[0:1], 0x40
	v_add_nc_u64_e32 v[4:5], v[4:5], v[10:11]
	s_delay_alu instid0(VALU_DEP_1)
	v_lshl_add_u64 v[12:13], v[8:9], 2, v[4:5]
	v_lshl_add_u64 v[14:15], v[6:7], 2, v[4:5]
	s_clause 0x1
	global_load_b128 v[4:7], v[12:13], off
	global_load_b128 v[8:11], v[14:15], off
	s_wait_xcnt 0x1
	v_or_b32_e32 v12, 1, v1
	s_wait_loadcnt 0x1
	s_wait_kmcnt 0x0
	v_fma_mixlo_f16 v4, s4, v4, 0
	v_fma_mixlo_f16 v5, s4, v5, 0
	;; [unrolled: 1-line block ×3, first 2 shown]
	s_wait_loadcnt 0x0
	v_fma_mixlo_f16 v8, s4, v8, 0
	v_fma_mixlo_f16 v9, s4, v9, 0
	v_dual_add_nc_u32 v13, v3, v0 :: v_dual_lshlrev_b32 v5, 16, v5
	v_fma_mixlo_f16 v6, s4, v6, 0
	v_fma_mixlo_f16 v11, s4, v11, 0
	v_and_b32_e32 v4, 0xffff, v4
	v_fma_mixlo_f16 v10, s4, v10, 0
	v_dual_lshlrev_b32 v7, 16, v7 :: v_dual_lshlrev_b32 v9, 16, v9
	v_and_b32_e32 v8, 0xffff, v8
	v_and_b32_e32 v6, 0xffff, v6
	v_dual_lshlrev_b32 v11, 16, v11 :: v_dual_bitop2_b32 v4, v5, v4 bitop3:0x54
	v_and_b32_e32 v10, 0xffff, v10
	s_delay_alu instid0(VALU_DEP_4) | instskip(NEXT) | instid1(VALU_DEP_4)
	v_or_b32_e32 v8, v9, v8
	v_or3_b32 v5, v7, v6, 0
	v_lshl_add_u32 v3, v12, 8, v3
	v_or3_b32 v4, 0, 0, v4
	v_or3_b32 v7, v11, v10, 0
	;; [unrolled: 1-line block ×3, first 2 shown]
	ds_store_b64 v13, v[4:5]
	ds_store_b64 v3, v[6:7]
	s_wait_dscnt 0x0
	s_barrier_signal -1
	s_barrier_wait -1
	s_cbranch_scc1 .LBB24_4
; %bb.3:
	s_load_b32 s4, s[0:1], 0xd0
	s_wait_kmcnt 0x0
	s_mul_i32 s4, s4, s28
	s_delay_alu instid0(SALU_CYCLE_1)
	s_add_co_i32 s4, s4, s10
	s_load_b32 s30, s[14:15], s4 offset:0x0 scale_offset
.LBB24_4:
	s_wait_xcnt 0x0
	s_bfe_u32 s4, ttmp6, 0x40010
	s_and_b32 s5, ttmp7, 0xffff
	s_add_co_i32 s4, s4, 1
	s_bfe_u32 s10, ttmp6, 0x40004
	s_mul_i32 s4, s5, s4
	v_mbcnt_lo_u32_b32 v81, -1, 0
	s_add_co_i32 s10, s10, s4
	s_cmp_eq_u32 s27, 0
	s_mov_b32 s4, 0
	s_cselect_b32 s31, s5, s10
	s_delay_alu instid0(SALU_CYCLE_1)
	s_lshl_b32 s10, s31, 7
	s_wait_kmcnt 0x0
	s_cmp_lt_i32 s10, s30
	s_cbranch_scc1 .LBB24_7
; %bb.5:
	v_mbcnt_lo_u32_b32 v3, -1, 0
	s_delay_alu instid0(VALU_DEP_1)
	v_dual_mov_b32 v82, 32 :: v_dual_bitop2_b32 v90, 16, v3 bitop3:0x14
	v_xor_b32_e32 v87, 8, v3
	v_xor_b32_e32 v86, 4, v3
	;; [unrolled: 1-line block ×3, first 2 shown]
	v_dual_lshlrev_b32 v79, 2, v29 :: v_dual_bitop2_b32 v83, 1, v3 bitop3:0x14
	s_and_not1_b32 vcc_lo, exec_lo, s4
	s_cbranch_vccz .LBB24_8
; %bb.6:
	v_dual_mov_b32 v67, 0xfeffffff :: v_dual_mov_b32 v124, 0
	v_dual_mov_b32 v55, 0 :: v_dual_mov_b32 v123, 0
	;; [unrolled: 1-line block ×3, first 2 shown]
	s_delay_alu instid0(VALU_DEP_2)
	v_dual_mov_b32 v66, v67 :: v_dual_mov_b32 v54, v55
	s_branch .LBB24_11
.LBB24_7:
                                        ; implicit-def: $vgpr3
                                        ; implicit-def: $vgpr82
                                        ; implicit-def: $vgpr90
                                        ; implicit-def: $vgpr87
                                        ; implicit-def: $vgpr86
                                        ; implicit-def: $vgpr85
                                        ; implicit-def: $vgpr83
	v_lshlrev_b32_e32 v79, 2, v29
.LBB24_8:
	s_clause 0x1
	s_load_b64 s[4:5], s[0:1], 0x8c
	s_load_b128 s[24:27], s[0:1], 0x98
	s_mul_f32 s11, s2, 0x4f7ffffe
	s_sub_co_i32 s14, 0, s38
	s_abs_i32 s2, s33
	s_mov_b32 s15, s3
	s_cvt_u32_f32 s11, s11
	s_ashr_i32 s20, s33, 31
	s_ashr_i32 s21, s29, 31
	;; [unrolled: 1-line block ×3, first 2 shown]
	s_mul_i32 s14, s14, s11
	s_ashr_i32 s29, s28, 31
	s_mul_hi_u32 s14, s11, s14
	v_mad_u32 v96, v2, s36, v29
	s_add_co_i32 s14, s11, s14
	s_xor_b32 s11, s20, s21
	s_mul_u64 s[14:15], s[2:3], s[14:15]
	v_mul_u32_u24_e32 v94, 0x110, v29
	s_mul_i32 s3, s15, s38
	s_add_co_i32 s21, s15, 1
	s_sub_co_i32 s37, s2, s3
	s_wait_kmcnt 0x0
	s_ashr_i32 s14, s26, 2
	s_ashr_i32 s20, s4, 2
	s_sub_co_i32 s4, s37, s38
	s_cmp_ge_u32 s37, s38
	s_load_b64 s[2:3], s[0:1], 0xa8
	s_cselect_b32 s15, s21, s15
	s_cselect_b32 s4, s4, s37
	s_add_co_i32 s21, s15, 1
	s_cmp_ge_u32 s4, s38
	s_mul_u64 s[24:25], s[24:25], s[28:29]
	s_cselect_b32 s4, s21, s15
	s_lshl_b32 s15, s20, 4
	v_dual_lshrrev_b32 v3, 4, v29 :: v_dual_bitop2_b32 v4, 60, v79 bitop3:0x40
	s_xor_b32 s4, s4, s11
	v_xor_b32_e32 v86, 4, v81
	s_sub_co_i32 s11, s4, s11
	s_delay_alu instid0(VALU_DEP_2)
	v_add_nc_u32_e32 v1, v3, v1
	s_mul_i32 s26, s11, s27
	s_mul_i32 s4, s11, s5
	s_ashr_i32 s27, s26, 31
	v_dual_lshlrev_b32 v42, 2, v4 :: v_dual_bitop2_b32 v90, 16, v81 bitop3:0x14
	v_mul_lo_u32 v30, s20, v1
	v_mul_lo_u32 v38, s14, v1
	s_wait_kmcnt 0x0
	s_mul_u64 s[2:3], s[2:3], s[28:29]
	v_xor_b32_e32 v85, 2, v81
	s_add_nc_u64 s[2:3], s[8:9], s[2:3]
	v_xor_b32_e32 v83, 1, v81
	s_add_nc_u64 s[26:27], s[2:3], s[26:27]
	s_lshl_b32 s2, s14, 4
	v_add_nc_u32_e32 v106, 0x800, v80
	v_add_nc_u32_e32 v107, 0x1000, v80
	;; [unrolled: 1-line block ×3, first 2 shown]
	v_dual_mov_b32 v43, 0 :: v_dual_add_nc_u32 v32, s15, v30
	v_add_nc_u32_e32 v97, 0x8800, v0
	v_add_nc_u32_e32 v93, 0x9800, v0
	;; [unrolled: 1-line block ×3, first 2 shown]
	s_delay_alu instid0(VALU_DEP_4)
	v_add_nc_u32_e32 v34, s15, v32
	v_lshlrev_b32_e32 v3, 2, v4
	v_ashrrev_i32_e32 v33, 31, v32
	v_add_nc_u32_e32 v110, 0x2800, v80
	v_add_nc_u32_e32 v111, 0x3000, v80
	;; [unrolled: 1-line block ×3, first 2 shown]
	v_ashrrev_i32_e32 v31, 31, v30
	v_mad_u32_u24 v84, 0x110, v1, v3
	v_lshl_or_b32 v95, v1, 8, v3
	s_delay_alu instid0(VALU_DEP_4) | instskip(SKIP_1) | instid1(VALU_DEP_4)
	v_dual_ashrrev_i32 v35, 31, v34 :: v_dual_add_nc_u32 v40, s15, v36
	v_dual_add_nc_u32 v46, s2, v38 :: v_dual_ashrrev_i32 v37, 31, v36
	v_dual_mov_b32 v54, v43 :: v_dual_add_nc_u32 v89, 0x5500, v84
	s_delay_alu instid0(VALU_DEP_2) | instskip(SKIP_2) | instid1(VALU_DEP_3)
	v_dual_add_nc_u32 v44, s15, v40 :: v_dual_add_nc_u32 v50, s2, v46
	v_ashrrev_i32_e32 v41, 31, v40
	v_dual_mov_b32 v82, 32 :: v_dual_add_nc_u32 v91, 0x6600, v84
	v_dual_add_nc_u32 v48, s15, v44 :: v_dual_ashrrev_i32 v45, 31, v44
	s_delay_alu instid0(VALU_DEP_4) | instskip(SKIP_1) | instid1(VALU_DEP_3)
	v_add_nc_u32_e32 v56, s2, v50
	v_dual_mov_b32 v55, v43 :: v_dual_add_nc_u32 v92, 0x7700, v84
	v_dual_ashrrev_i32 v47, 31, v46 :: v_dual_add_nc_u32 v52, s15, v48
	v_ashrrev_i32_e32 v49, 31, v48
	s_delay_alu instid0(VALU_DEP_4) | instskip(SKIP_2) | instid1(VALU_DEP_3)
	v_dual_add_nc_u32 v58, s2, v56 :: v_dual_ashrrev_i32 v39, 31, v38
	v_dual_mov_b32 v66, 0xfeffffff :: v_dual_ashrrev_i32 v57, 31, v56
	v_add_nc_u32_e32 v88, 0x4400, v84
	v_add_nc_u32_e32 v60, s2, v58
	v_ashrrev_i32_e32 v51, 31, v50
	v_dual_ashrrev_i32 v59, 31, v58 :: v_dual_ashrrev_i32 v53, 31, v52
	v_dual_mov_b32 v121, v43 :: v_dual_add_nc_u32 v98, 0x1000, v95
	s_delay_alu instid0(VALU_DEP_4) | instskip(SKIP_3) | instid1(VALU_DEP_4)
	v_add_nc_u32_e32 v62, s2, v60
	v_add_nc_u32_e32 v99, 0x2000, v95
	v_dual_mov_b32 v123, v43 :: v_dual_add_nc_u32 v100, 0x3000, v95
	v_add_nc_u32_e32 v101, 0x4000, v95
	v_dual_add_nc_u32 v64, s2, v62 :: v_dual_ashrrev_i32 v61, 31, v60
	v_add_nc_u32_e32 v102, 0x5000, v95
	v_dual_ashrrev_i32 v63, 31, v62 :: v_dual_mov_b32 v67, v66
	s_delay_alu instid0(VALU_DEP_3)
	v_ashrrev_i32_e32 v65, 31, v64
	v_add_nc_u32_e32 v103, 0x6000, v95
	v_add_nc_u32_e32 v104, 0x7000, v95
	v_add_nc_u32_e32 v112, 0x3800, v80
	v_add_nc_u32_e32 v113, 0x4000, v80
	v_add_nc_u32_e32 v114, 0x4800, v80
	v_add_nc_u32_e32 v115, 0x5000, v80
	v_add_nc_u32_e32 v116, 0x5800, v80
	v_add_nc_u32_e32 v117, 0x6000, v80
	v_add_nc_u32_e32 v118, 0x6800, v80
	v_add_nc_u32_e32 v119, 0x7000, v80
	v_add_nc_u32_e32 v120, 0x7800, v80
	v_dual_mov_b32 v122, v43 :: v_dual_mov_b32 v124, v43
	v_dual_add_nc_u32 v105, v97, v79 :: v_dual_bitop2_b32 v87, 8, v81 bitop3:0x14
	s_add_nc_u64 s[6:7], s[6:7], s[24:25]
	s_ashr_i32 s5, s4, 31
	s_ashr_i32 s21, s20, 31
	s_add_nc_u64 s[24:25], s[6:7], s[4:5]
	s_ashr_i32 s15, s14, 31
	s_add_nc_u64 s[36:37], s[0:1], 0xd0
.LBB24_9:                               ; =>This Inner Loop Header: Depth=1
	v_cmp_gt_i32_e32 vcc_lo, 32, v90
	v_mov_b32_e32 v27, v67
	s_ashr_i32 s11, s10, 31
	v_dual_add_nc_u32 v24, s10, v96 :: v_dual_mov_b32 v26, v66
	v_cndmask_b32_e32 v0, v81, v90, vcc_lo
	v_cmp_gt_i32_e32 vcc_lo, 32, v87
	s_mul_u64 s[2:3], s[10:11], s[20:21]
	v_add_nc_u32_e32 v125, 0x1100, v84
	s_lshl_b64 s[2:3], s[2:3], 2
	v_dual_mov_b32 v70, 0 :: v_dual_mov_b32 v71, 0
	v_cndmask_b32_e32 v1, v81, v87, vcc_lo
	v_cmp_gt_i32_e32 vcc_lo, 32, v86
	s_add_nc_u64 s[6:7], s[24:25], s[2:3]
	v_dual_mov_b32 v72, 0 :: v_dual_mov_b32 v73, 0
	v_lshl_add_u64 v[6:7], v[36:37], 2, s[6:7]
	v_cndmask_b32_e32 v2, v81, v86, vcc_lo
	v_cmp_gt_i32_e32 vcc_lo, 32, v85
	v_dual_lshlrev_b32 v69, 2, v0 :: v_dual_lshlrev_b32 v68, 2, v1
	v_lshl_add_u64 v[0:1], v[30:31], 2, s[6:7]
	v_lshl_add_u64 v[8:9], v[40:41], 2, s[6:7]
	v_cndmask_b32_e32 v3, v81, v85, vcc_lo
	v_cmp_gt_i32_e32 vcc_lo, 32, v83
	v_lshl_add_u64 v[10:11], v[44:45], 2, s[6:7]
	v_add_nc_u64_e32 v[126:127], v[0:1], v[42:43]
	v_add_nc_u64_e32 v[132:133], v[6:7], v[42:43]
	;; [unrolled: 1-line block ×3, first 2 shown]
	v_dual_cndmask_b32 v4, v81, v83 :: v_dual_lshlrev_b32 v67, 2, v2
	v_lshlrev_b32_e32 v66, 2, v3
	v_lshl_add_u64 v[2:3], v[32:33], 2, s[6:7]
	v_add_nc_u64_e32 v[136:137], v[10:11], v[42:43]
	s_delay_alu instid0(VALU_DEP_4)
	v_lshlrev_b32_e32 v25, 2, v4
	v_lshl_add_u64 v[4:5], v[34:35], 2, s[6:7]
	v_lshl_add_u64 v[12:13], v[48:49], 2, s[6:7]
	v_add_nc_u64_e32 v[128:129], v[2:3], v[42:43]
	v_lshl_add_u64 v[14:15], v[52:53], 2, s[6:7]
	v_dual_mov_b32 v74, 0 :: v_dual_mov_b32 v75, 0
	v_add_nc_u64_e32 v[130:131], v[4:5], v[42:43]
	s_clause 0x3
	global_load_b128 v[8:11], v[126:127], off
	global_load_b128 v[16:19], v[128:129], off
	;; [unrolled: 1-line block ×4, first 2 shown]
	v_add_nc_u64_e32 v[20:21], v[12:13], v[42:43]
	v_add_nc_u64_e32 v[22:23], v[14:15], v[42:43]
	v_dual_mov_b32 v76, 0 :: v_dual_mov_b32 v77, 0
	s_mul_u64 s[4:5], s[10:11], s[14:15]
	s_delay_alu instid0(SALU_CYCLE_1) | instskip(NEXT) | instid1(SALU_CYCLE_1)
	s_lshl_b64 s[4:5], s[4:5], 2
	s_add_nc_u64 s[2:3], s[26:27], s[4:5]
	s_wait_loadcnt 0x3
	ds_store_b128 v84, v[8:11]
	s_clause 0x1
	global_load_b128 v[8:11], v[134:135], off
	global_load_b128 v[12:15], v[136:137], off
	s_wait_loadcnt 0x4
	ds_store_b128 v125, v[16:19]
	s_clause 0x1
	global_load_b128 v[16:19], v[20:21], off
	global_load_b128 v[126:129], v[22:23], off
	s_wait_xcnt 0x1
	v_add_nc_u32_e32 v20, 0x2200, v84
	s_wait_loadcnt 0x5
	ds_store_b128 v20, v[4:7]
	v_add_nc_u32_e32 v4, 0x3300, v84
	s_wait_loadcnt 0x4
	ds_store_b128 v4, v[0:3]
	s_wait_loadcnt 0x3
	ds_store_b128 v88, v[8:11]
	;; [unrolled: 2-line block ×5, first 2 shown]
	s_wait_dscnt 0x0
	s_barrier_signal -1
	s_barrier_wait -1
	ds_load_b128 v[0:3], v94
	ds_load_b128 v[4:7], v93
	ds_load_b128 v[8:11], v93 offset:256
	ds_load_b128 v[12:15], v94 offset:8704
	;; [unrolled: 1-line block ×4, first 2 shown]
	s_wait_dscnt 0x4
	;;#ASMSTART
	v_dot2_f32_f16 v70, v0, v4, v70
	;;#ASMEND
	;;#ASMSTART
	v_dot2_f32_f16 v70, v1, v5, v70
	;;#ASMEND
	;;#ASMSTART
	v_dot2_f32_f16 v70, v2, v6, v70
	;;#ASMEND
	;;#ASMSTART
	v_dot2_f32_f16 v70, v3, v7, v70
	;;#ASMEND
	s_wait_dscnt 0x3
	;;#ASMSTART
	v_dot2_f32_f16 v71, v0, v8, v71
	;;#ASMEND
	;;#ASMSTART
	v_dot2_f32_f16 v71, v1, v9, v71
	;;#ASMEND
	;;#ASMSTART
	v_dot2_f32_f16 v71, v2, v10, v71
	;;#ASMEND
	;;#ASMSTART
	v_dot2_f32_f16 v71, v3, v11, v71
	;;#ASMEND
	;; [unrolled: 13-line block ×3, first 2 shown]
	;;#ASMSTART
	v_dot2_f32_f16 v73, v12, v8, v73
	;;#ASMEND
	;;#ASMSTART
	v_dot2_f32_f16 v73, v13, v9, v73
	;;#ASMEND
	;; [unrolled: 3-line block ×4, first 2 shown]
	s_wait_dscnt 0x1
	;;#ASMSTART
	v_dot2_f32_f16 v74, v16, v4, v74
	;;#ASMEND
	;;#ASMSTART
	v_dot2_f32_f16 v74, v17, v5, v74
	;;#ASMEND
	;; [unrolled: 3-line block ×8, first 2 shown]
	s_wait_dscnt 0x0
	;;#ASMSTART
	v_dot2_f32_f16 v76, v20, v4, v76
	;;#ASMEND
	;;#ASMSTART
	v_dot2_f32_f16 v76, v21, v5, v76
	;;#ASMEND
	;; [unrolled: 3-line block ×8, first 2 shown]
	ds_load_b128 v[0:3], v94 offset:16
	ds_load_b128 v[4:7], v93 offset:16
	;; [unrolled: 1-line block ×6, first 2 shown]
	s_wait_dscnt 0x4
	;;#ASMSTART
	v_dot2_f32_f16 v70, v0, v4, v70
	;;#ASMEND
	;;#ASMSTART
	v_dot2_f32_f16 v70, v1, v5, v70
	;;#ASMEND
	;;#ASMSTART
	v_dot2_f32_f16 v70, v2, v6, v70
	;;#ASMEND
	;;#ASMSTART
	v_dot2_f32_f16 v70, v3, v7, v70
	;;#ASMEND
	s_wait_dscnt 0x3
	;;#ASMSTART
	v_dot2_f32_f16 v71, v0, v8, v71
	;;#ASMEND
	;;#ASMSTART
	v_dot2_f32_f16 v71, v1, v9, v71
	;;#ASMEND
	;;#ASMSTART
	v_dot2_f32_f16 v71, v2, v10, v71
	;;#ASMEND
	;;#ASMSTART
	v_dot2_f32_f16 v71, v3, v11, v71
	;;#ASMEND
	;; [unrolled: 13-line block ×3, first 2 shown]
	;;#ASMSTART
	v_dot2_f32_f16 v73, v12, v8, v73
	;;#ASMEND
	;;#ASMSTART
	v_dot2_f32_f16 v73, v13, v9, v73
	;;#ASMEND
	;; [unrolled: 3-line block ×4, first 2 shown]
	s_wait_dscnt 0x1
	;;#ASMSTART
	v_dot2_f32_f16 v74, v16, v4, v74
	;;#ASMEND
	;;#ASMSTART
	v_dot2_f32_f16 v74, v17, v5, v74
	;;#ASMEND
	;; [unrolled: 3-line block ×8, first 2 shown]
	s_wait_dscnt 0x0
	;;#ASMSTART
	v_dot2_f32_f16 v76, v20, v4, v76
	;;#ASMEND
	;;#ASMSTART
	v_dot2_f32_f16 v76, v21, v5, v76
	;;#ASMEND
	;; [unrolled: 3-line block ×8, first 2 shown]
	ds_load_b128 v[0:3], v94 offset:32
	ds_load_b128 v[4:7], v93 offset:32
	;; [unrolled: 1-line block ×6, first 2 shown]
	s_wait_dscnt 0x4
	;;#ASMSTART
	v_dot2_f32_f16 v70, v0, v4, v70
	;;#ASMEND
	;;#ASMSTART
	v_dot2_f32_f16 v70, v1, v5, v70
	;;#ASMEND
	;;#ASMSTART
	v_dot2_f32_f16 v70, v2, v6, v70
	;;#ASMEND
	;;#ASMSTART
	v_dot2_f32_f16 v70, v3, v7, v70
	;;#ASMEND
	s_wait_dscnt 0x3
	;;#ASMSTART
	v_dot2_f32_f16 v71, v0, v8, v71
	;;#ASMEND
	;;#ASMSTART
	v_dot2_f32_f16 v71, v1, v9, v71
	;;#ASMEND
	;;#ASMSTART
	v_dot2_f32_f16 v71, v2, v10, v71
	;;#ASMEND
	;;#ASMSTART
	v_dot2_f32_f16 v71, v3, v11, v71
	;;#ASMEND
	;; [unrolled: 13-line block ×3, first 2 shown]
	;;#ASMSTART
	v_dot2_f32_f16 v73, v12, v8, v73
	;;#ASMEND
	;;#ASMSTART
	v_dot2_f32_f16 v73, v13, v9, v73
	;;#ASMEND
	;; [unrolled: 3-line block ×4, first 2 shown]
	s_wait_dscnt 0x1
	;;#ASMSTART
	v_dot2_f32_f16 v74, v16, v4, v74
	;;#ASMEND
	;;#ASMSTART
	v_dot2_f32_f16 v74, v17, v5, v74
	;;#ASMEND
	;; [unrolled: 3-line block ×8, first 2 shown]
	s_wait_dscnt 0x0
	;;#ASMSTART
	v_dot2_f32_f16 v76, v20, v4, v76
	;;#ASMEND
	;;#ASMSTART
	v_dot2_f32_f16 v76, v21, v5, v76
	;;#ASMEND
	;;#ASMSTART
	v_dot2_f32_f16 v76, v22, v6, v76
	;;#ASMEND
	;;#ASMSTART
	v_dot2_f32_f16 v76, v23, v7, v76
	;;#ASMEND
	;;#ASMSTART
	v_dot2_f32_f16 v77, v20, v8, v77
	;;#ASMEND
	;;#ASMSTART
	v_dot2_f32_f16 v77, v21, v9, v77
	;;#ASMEND
	;;#ASMSTART
	v_dot2_f32_f16 v77, v22, v10, v77
	;;#ASMEND
	;;#ASMSTART
	v_dot2_f32_f16 v77, v23, v11, v77
	;;#ASMEND
	ds_load_b128 v[0:3], v94 offset:48
	ds_load_b128 v[4:7], v93 offset:48
	;; [unrolled: 1-line block ×6, first 2 shown]
	s_wait_dscnt 0x4
	;;#ASMSTART
	v_dot2_f32_f16 v70, v0, v4, v70
	;;#ASMEND
	;;#ASMSTART
	v_dot2_f32_f16 v70, v1, v5, v70
	;;#ASMEND
	;;#ASMSTART
	v_dot2_f32_f16 v70, v2, v6, v70
	;;#ASMEND
	;;#ASMSTART
	v_dot2_f32_f16 v70, v3, v7, v70
	;;#ASMEND
	s_wait_dscnt 0x3
	;;#ASMSTART
	v_dot2_f32_f16 v71, v0, v8, v71
	;;#ASMEND
	;;#ASMSTART
	v_dot2_f32_f16 v71, v1, v9, v71
	;;#ASMEND
	;;#ASMSTART
	v_dot2_f32_f16 v71, v2, v10, v71
	;;#ASMEND
	;;#ASMSTART
	v_dot2_f32_f16 v71, v3, v11, v71
	;;#ASMEND
	;; [unrolled: 13-line block ×3, first 2 shown]
	;;#ASMSTART
	v_dot2_f32_f16 v73, v12, v8, v73
	;;#ASMEND
	;;#ASMSTART
	v_dot2_f32_f16 v73, v13, v9, v73
	;;#ASMEND
	;; [unrolled: 3-line block ×4, first 2 shown]
	s_wait_dscnt 0x1
	;;#ASMSTART
	v_dot2_f32_f16 v74, v16, v4, v74
	;;#ASMEND
	;;#ASMSTART
	v_dot2_f32_f16 v74, v17, v5, v74
	;;#ASMEND
	;; [unrolled: 3-line block ×8, first 2 shown]
	s_wait_dscnt 0x0
	;;#ASMSTART
	v_dot2_f32_f16 v76, v20, v4, v76
	;;#ASMEND
	;;#ASMSTART
	v_dot2_f32_f16 v76, v21, v5, v76
	;;#ASMEND
	;; [unrolled: 3-line block ×8, first 2 shown]
	ds_load_b128 v[0:3], v94 offset:64
	ds_load_b128 v[4:7], v93 offset:64
	;; [unrolled: 1-line block ×6, first 2 shown]
	s_wait_dscnt 0x4
	;;#ASMSTART
	v_dot2_f32_f16 v70, v0, v4, v70
	;;#ASMEND
	;;#ASMSTART
	v_dot2_f32_f16 v70, v1, v5, v70
	;;#ASMEND
	;;#ASMSTART
	v_dot2_f32_f16 v70, v2, v6, v70
	;;#ASMEND
	;;#ASMSTART
	v_dot2_f32_f16 v70, v3, v7, v70
	;;#ASMEND
	s_wait_dscnt 0x3
	;;#ASMSTART
	v_dot2_f32_f16 v71, v0, v8, v71
	;;#ASMEND
	;;#ASMSTART
	v_dot2_f32_f16 v71, v1, v9, v71
	;;#ASMEND
	;;#ASMSTART
	v_dot2_f32_f16 v71, v2, v10, v71
	;;#ASMEND
	;;#ASMSTART
	v_dot2_f32_f16 v71, v3, v11, v71
	;;#ASMEND
	;; [unrolled: 13-line block ×3, first 2 shown]
	;;#ASMSTART
	v_dot2_f32_f16 v73, v12, v8, v73
	;;#ASMEND
	;;#ASMSTART
	v_dot2_f32_f16 v73, v13, v9, v73
	;;#ASMEND
	;; [unrolled: 3-line block ×4, first 2 shown]
	s_wait_dscnt 0x1
	;;#ASMSTART
	v_dot2_f32_f16 v74, v16, v4, v74
	;;#ASMEND
	;;#ASMSTART
	v_dot2_f32_f16 v74, v17, v5, v74
	;;#ASMEND
	;; [unrolled: 3-line block ×8, first 2 shown]
	s_wait_dscnt 0x0
	;;#ASMSTART
	v_dot2_f32_f16 v76, v20, v4, v76
	;;#ASMEND
	;;#ASMSTART
	v_dot2_f32_f16 v76, v21, v5, v76
	;;#ASMEND
	;; [unrolled: 3-line block ×8, first 2 shown]
	ds_load_b128 v[0:3], v94 offset:80
	ds_load_b128 v[4:7], v93 offset:80
	;; [unrolled: 1-line block ×6, first 2 shown]
	s_wait_dscnt 0x4
	;;#ASMSTART
	v_dot2_f32_f16 v70, v0, v4, v70
	;;#ASMEND
	;;#ASMSTART
	v_dot2_f32_f16 v70, v1, v5, v70
	;;#ASMEND
	;;#ASMSTART
	v_dot2_f32_f16 v70, v2, v6, v70
	;;#ASMEND
	;;#ASMSTART
	v_dot2_f32_f16 v70, v3, v7, v70
	;;#ASMEND
	s_wait_dscnt 0x3
	;;#ASMSTART
	v_dot2_f32_f16 v71, v0, v8, v71
	;;#ASMEND
	;;#ASMSTART
	v_dot2_f32_f16 v71, v1, v9, v71
	;;#ASMEND
	;;#ASMSTART
	v_dot2_f32_f16 v71, v2, v10, v71
	;;#ASMEND
	;;#ASMSTART
	v_dot2_f32_f16 v71, v3, v11, v71
	;;#ASMEND
	;; [unrolled: 13-line block ×3, first 2 shown]
	;;#ASMSTART
	v_dot2_f32_f16 v73, v12, v8, v73
	;;#ASMEND
	;;#ASMSTART
	v_dot2_f32_f16 v73, v13, v9, v73
	;;#ASMEND
	;; [unrolled: 3-line block ×4, first 2 shown]
	s_wait_dscnt 0x1
	;;#ASMSTART
	v_dot2_f32_f16 v74, v16, v4, v74
	;;#ASMEND
	;;#ASMSTART
	v_dot2_f32_f16 v74, v17, v5, v74
	;;#ASMEND
	;; [unrolled: 3-line block ×8, first 2 shown]
	s_wait_dscnt 0x0
	;;#ASMSTART
	v_dot2_f32_f16 v76, v20, v4, v76
	;;#ASMEND
	;;#ASMSTART
	v_dot2_f32_f16 v76, v21, v5, v76
	;;#ASMEND
	;; [unrolled: 3-line block ×8, first 2 shown]
	ds_load_b128 v[0:3], v94 offset:96
	ds_load_b128 v[4:7], v93 offset:96
	;; [unrolled: 1-line block ×6, first 2 shown]
	s_wait_dscnt 0x4
	;;#ASMSTART
	v_dot2_f32_f16 v70, v0, v4, v70
	;;#ASMEND
	;;#ASMSTART
	v_dot2_f32_f16 v70, v1, v5, v70
	;;#ASMEND
	;;#ASMSTART
	v_dot2_f32_f16 v70, v2, v6, v70
	;;#ASMEND
	;;#ASMSTART
	v_dot2_f32_f16 v70, v3, v7, v70
	;;#ASMEND
	s_wait_dscnt 0x3
	;;#ASMSTART
	v_dot2_f32_f16 v71, v0, v8, v71
	;;#ASMEND
	;;#ASMSTART
	v_dot2_f32_f16 v71, v1, v9, v71
	;;#ASMEND
	;;#ASMSTART
	v_dot2_f32_f16 v71, v2, v10, v71
	;;#ASMEND
	;;#ASMSTART
	v_dot2_f32_f16 v71, v3, v11, v71
	;;#ASMEND
	;; [unrolled: 13-line block ×3, first 2 shown]
	;;#ASMSTART
	v_dot2_f32_f16 v73, v12, v8, v73
	;;#ASMEND
	;;#ASMSTART
	v_dot2_f32_f16 v73, v13, v9, v73
	;;#ASMEND
	;; [unrolled: 3-line block ×4, first 2 shown]
	s_wait_dscnt 0x1
	;;#ASMSTART
	v_dot2_f32_f16 v74, v16, v4, v74
	;;#ASMEND
	;;#ASMSTART
	v_dot2_f32_f16 v74, v17, v5, v74
	;;#ASMEND
	;; [unrolled: 3-line block ×8, first 2 shown]
	s_wait_dscnt 0x0
	;;#ASMSTART
	v_dot2_f32_f16 v76, v20, v4, v76
	;;#ASMEND
	;;#ASMSTART
	v_dot2_f32_f16 v76, v21, v5, v76
	;;#ASMEND
	;; [unrolled: 3-line block ×8, first 2 shown]
	ds_load_b128 v[0:3], v94 offset:112
	ds_load_b128 v[4:7], v93 offset:112
	;; [unrolled: 1-line block ×6, first 2 shown]
	s_wait_dscnt 0x4
	;;#ASMSTART
	v_dot2_f32_f16 v70, v0, v4, v70
	;;#ASMEND
	;;#ASMSTART
	v_dot2_f32_f16 v70, v1, v5, v70
	;;#ASMEND
	;;#ASMSTART
	v_dot2_f32_f16 v70, v2, v6, v70
	;;#ASMEND
	;;#ASMSTART
	v_dot2_f32_f16 v70, v3, v7, v70
	;;#ASMEND
	s_wait_dscnt 0x3
	;;#ASMSTART
	v_dot2_f32_f16 v71, v0, v8, v71
	;;#ASMEND
	;;#ASMSTART
	v_dot2_f32_f16 v71, v1, v9, v71
	;;#ASMEND
	;;#ASMSTART
	v_dot2_f32_f16 v71, v2, v10, v71
	;;#ASMEND
	;;#ASMSTART
	v_dot2_f32_f16 v71, v3, v11, v71
	;;#ASMEND
	;; [unrolled: 13-line block ×3, first 2 shown]
	;;#ASMSTART
	v_dot2_f32_f16 v73, v12, v8, v73
	;;#ASMEND
	;;#ASMSTART
	v_dot2_f32_f16 v73, v13, v9, v73
	;;#ASMEND
	;; [unrolled: 3-line block ×4, first 2 shown]
	s_wait_dscnt 0x1
	;;#ASMSTART
	v_dot2_f32_f16 v74, v16, v4, v74
	;;#ASMEND
	;;#ASMSTART
	v_dot2_f32_f16 v74, v17, v5, v74
	;;#ASMEND
	;; [unrolled: 3-line block ×8, first 2 shown]
	s_wait_dscnt 0x0
	;;#ASMSTART
	v_dot2_f32_f16 v76, v20, v4, v76
	;;#ASMEND
	;;#ASMSTART
	v_dot2_f32_f16 v76, v21, v5, v76
	;;#ASMEND
	;; [unrolled: 3-line block ×8, first 2 shown]
	ds_load_b128 v[0:3], v94 offset:128
	ds_load_b128 v[4:7], v93 offset:128
	ds_load_b128 v[8:11], v93 offset:384
	ds_load_b128 v[12:15], v94 offset:8832
	ds_load_b128 v[16:19], v94 offset:17536
	ds_load_b128 v[20:23], v94 offset:26240
	s_wait_dscnt 0x4
	;;#ASMSTART
	v_dot2_f32_f16 v70, v0, v4, v70
	;;#ASMEND
	;;#ASMSTART
	v_dot2_f32_f16 v70, v1, v5, v70
	;;#ASMEND
	;;#ASMSTART
	v_dot2_f32_f16 v70, v2, v6, v70
	;;#ASMEND
	;;#ASMSTART
	v_dot2_f32_f16 v70, v3, v7, v70
	;;#ASMEND
	s_wait_dscnt 0x3
	;;#ASMSTART
	v_dot2_f32_f16 v71, v0, v8, v71
	;;#ASMEND
	;;#ASMSTART
	v_dot2_f32_f16 v71, v1, v9, v71
	;;#ASMEND
	;;#ASMSTART
	v_dot2_f32_f16 v71, v2, v10, v71
	;;#ASMEND
	;;#ASMSTART
	v_dot2_f32_f16 v71, v3, v11, v71
	;;#ASMEND
	;; [unrolled: 13-line block ×3, first 2 shown]
	;;#ASMSTART
	v_dot2_f32_f16 v73, v12, v8, v73
	;;#ASMEND
	;;#ASMSTART
	v_dot2_f32_f16 v73, v13, v9, v73
	;;#ASMEND
	;; [unrolled: 3-line block ×4, first 2 shown]
	s_wait_dscnt 0x1
	;;#ASMSTART
	v_dot2_f32_f16 v74, v16, v4, v74
	;;#ASMEND
	;;#ASMSTART
	v_dot2_f32_f16 v74, v17, v5, v74
	;;#ASMEND
	;; [unrolled: 3-line block ×8, first 2 shown]
	s_wait_dscnt 0x0
	;;#ASMSTART
	v_dot2_f32_f16 v76, v20, v4, v76
	;;#ASMEND
	;;#ASMSTART
	v_dot2_f32_f16 v76, v21, v5, v76
	;;#ASMEND
	;;#ASMSTART
	v_dot2_f32_f16 v76, v22, v6, v76
	;;#ASMEND
	;;#ASMSTART
	v_dot2_f32_f16 v76, v23, v7, v76
	;;#ASMEND
	;;#ASMSTART
	v_dot2_f32_f16 v77, v20, v8, v77
	;;#ASMEND
	;;#ASMSTART
	v_dot2_f32_f16 v77, v21, v9, v77
	;;#ASMEND
	;;#ASMSTART
	v_dot2_f32_f16 v77, v22, v10, v77
	;;#ASMEND
	;;#ASMSTART
	v_dot2_f32_f16 v77, v23, v11, v77
	;;#ASMEND
	ds_load_b128 v[0:3], v94 offset:144
	ds_load_b128 v[4:7], v93 offset:144
	;; [unrolled: 1-line block ×6, first 2 shown]
	s_wait_dscnt 0x4
	;;#ASMSTART
	v_dot2_f32_f16 v70, v0, v4, v70
	;;#ASMEND
	;;#ASMSTART
	v_dot2_f32_f16 v70, v1, v5, v70
	;;#ASMEND
	;;#ASMSTART
	v_dot2_f32_f16 v70, v2, v6, v70
	;;#ASMEND
	;;#ASMSTART
	v_dot2_f32_f16 v70, v3, v7, v70
	;;#ASMEND
	s_wait_dscnt 0x3
	;;#ASMSTART
	v_dot2_f32_f16 v71, v0, v8, v71
	;;#ASMEND
	;;#ASMSTART
	v_dot2_f32_f16 v71, v1, v9, v71
	;;#ASMEND
	;;#ASMSTART
	v_dot2_f32_f16 v71, v2, v10, v71
	;;#ASMEND
	;;#ASMSTART
	v_dot2_f32_f16 v71, v3, v11, v71
	;;#ASMEND
	;; [unrolled: 13-line block ×3, first 2 shown]
	;;#ASMSTART
	v_dot2_f32_f16 v73, v12, v8, v73
	;;#ASMEND
	;;#ASMSTART
	v_dot2_f32_f16 v73, v13, v9, v73
	;;#ASMEND
	;; [unrolled: 3-line block ×4, first 2 shown]
	s_wait_dscnt 0x1
	;;#ASMSTART
	v_dot2_f32_f16 v74, v16, v4, v74
	;;#ASMEND
	;;#ASMSTART
	v_dot2_f32_f16 v74, v17, v5, v74
	;;#ASMEND
	;; [unrolled: 3-line block ×8, first 2 shown]
	s_wait_dscnt 0x0
	;;#ASMSTART
	v_dot2_f32_f16 v76, v20, v4, v76
	;;#ASMEND
	;;#ASMSTART
	v_dot2_f32_f16 v76, v21, v5, v76
	;;#ASMEND
	;; [unrolled: 3-line block ×8, first 2 shown]
	ds_load_b128 v[0:3], v94 offset:160
	ds_load_b128 v[4:7], v93 offset:160
	;; [unrolled: 1-line block ×6, first 2 shown]
	s_wait_dscnt 0x4
	;;#ASMSTART
	v_dot2_f32_f16 v70, v0, v4, v70
	;;#ASMEND
	;;#ASMSTART
	v_dot2_f32_f16 v70, v1, v5, v70
	;;#ASMEND
	;;#ASMSTART
	v_dot2_f32_f16 v70, v2, v6, v70
	;;#ASMEND
	;;#ASMSTART
	v_dot2_f32_f16 v70, v3, v7, v70
	;;#ASMEND
	s_wait_dscnt 0x3
	;;#ASMSTART
	v_dot2_f32_f16 v71, v0, v8, v71
	;;#ASMEND
	;;#ASMSTART
	v_dot2_f32_f16 v71, v1, v9, v71
	;;#ASMEND
	;;#ASMSTART
	v_dot2_f32_f16 v71, v2, v10, v71
	;;#ASMEND
	;;#ASMSTART
	v_dot2_f32_f16 v71, v3, v11, v71
	;;#ASMEND
	;; [unrolled: 13-line block ×3, first 2 shown]
	;;#ASMSTART
	v_dot2_f32_f16 v73, v12, v8, v73
	;;#ASMEND
	;;#ASMSTART
	v_dot2_f32_f16 v73, v13, v9, v73
	;;#ASMEND
	;; [unrolled: 3-line block ×4, first 2 shown]
	s_wait_dscnt 0x1
	;;#ASMSTART
	v_dot2_f32_f16 v74, v16, v4, v74
	;;#ASMEND
	;;#ASMSTART
	v_dot2_f32_f16 v74, v17, v5, v74
	;;#ASMEND
	;; [unrolled: 3-line block ×8, first 2 shown]
	s_wait_dscnt 0x0
	;;#ASMSTART
	v_dot2_f32_f16 v76, v20, v4, v76
	;;#ASMEND
	;;#ASMSTART
	v_dot2_f32_f16 v76, v21, v5, v76
	;;#ASMEND
	;; [unrolled: 3-line block ×8, first 2 shown]
	ds_load_b128 v[0:3], v94 offset:176
	ds_load_b128 v[4:7], v93 offset:176
	;; [unrolled: 1-line block ×6, first 2 shown]
	s_wait_dscnt 0x4
	;;#ASMSTART
	v_dot2_f32_f16 v70, v0, v4, v70
	;;#ASMEND
	;;#ASMSTART
	v_dot2_f32_f16 v70, v1, v5, v70
	;;#ASMEND
	;;#ASMSTART
	v_dot2_f32_f16 v70, v2, v6, v70
	;;#ASMEND
	;;#ASMSTART
	v_dot2_f32_f16 v70, v3, v7, v70
	;;#ASMEND
	s_wait_dscnt 0x3
	;;#ASMSTART
	v_dot2_f32_f16 v71, v0, v8, v71
	;;#ASMEND
	;;#ASMSTART
	v_dot2_f32_f16 v71, v1, v9, v71
	;;#ASMEND
	;;#ASMSTART
	v_dot2_f32_f16 v71, v2, v10, v71
	;;#ASMEND
	;;#ASMSTART
	v_dot2_f32_f16 v71, v3, v11, v71
	;;#ASMEND
	;; [unrolled: 13-line block ×3, first 2 shown]
	;;#ASMSTART
	v_dot2_f32_f16 v73, v12, v8, v73
	;;#ASMEND
	;;#ASMSTART
	v_dot2_f32_f16 v73, v13, v9, v73
	;;#ASMEND
	;; [unrolled: 3-line block ×4, first 2 shown]
	s_wait_dscnt 0x1
	;;#ASMSTART
	v_dot2_f32_f16 v74, v16, v4, v74
	;;#ASMEND
	;;#ASMSTART
	v_dot2_f32_f16 v74, v17, v5, v74
	;;#ASMEND
	;; [unrolled: 3-line block ×8, first 2 shown]
	s_wait_dscnt 0x0
	;;#ASMSTART
	v_dot2_f32_f16 v76, v20, v4, v76
	;;#ASMEND
	;;#ASMSTART
	v_dot2_f32_f16 v76, v21, v5, v76
	;;#ASMEND
	;; [unrolled: 3-line block ×8, first 2 shown]
	ds_load_b128 v[0:3], v94 offset:192
	ds_load_b128 v[4:7], v93 offset:192
	;; [unrolled: 1-line block ×6, first 2 shown]
	s_wait_dscnt 0x4
	;;#ASMSTART
	v_dot2_f32_f16 v70, v0, v4, v70
	;;#ASMEND
	;;#ASMSTART
	v_dot2_f32_f16 v70, v1, v5, v70
	;;#ASMEND
	;;#ASMSTART
	v_dot2_f32_f16 v70, v2, v6, v70
	;;#ASMEND
	;;#ASMSTART
	v_dot2_f32_f16 v70, v3, v7, v70
	;;#ASMEND
	s_wait_dscnt 0x3
	;;#ASMSTART
	v_dot2_f32_f16 v71, v0, v8, v71
	;;#ASMEND
	;;#ASMSTART
	v_dot2_f32_f16 v71, v1, v9, v71
	;;#ASMEND
	;;#ASMSTART
	v_dot2_f32_f16 v71, v2, v10, v71
	;;#ASMEND
	;;#ASMSTART
	v_dot2_f32_f16 v71, v3, v11, v71
	;;#ASMEND
	;; [unrolled: 13-line block ×3, first 2 shown]
	;;#ASMSTART
	v_dot2_f32_f16 v73, v12, v8, v73
	;;#ASMEND
	;;#ASMSTART
	v_dot2_f32_f16 v73, v13, v9, v73
	;;#ASMEND
	;; [unrolled: 3-line block ×4, first 2 shown]
	s_wait_dscnt 0x1
	;;#ASMSTART
	v_dot2_f32_f16 v74, v16, v4, v74
	;;#ASMEND
	;;#ASMSTART
	v_dot2_f32_f16 v74, v17, v5, v74
	;;#ASMEND
	;; [unrolled: 3-line block ×8, first 2 shown]
	s_wait_dscnt 0x0
	;;#ASMSTART
	v_dot2_f32_f16 v76, v20, v4, v76
	;;#ASMEND
	;;#ASMSTART
	v_dot2_f32_f16 v76, v21, v5, v76
	;;#ASMEND
	;; [unrolled: 3-line block ×8, first 2 shown]
	ds_load_b128 v[0:3], v94 offset:208
	ds_load_b128 v[4:7], v93 offset:208
	;; [unrolled: 1-line block ×6, first 2 shown]
	s_wait_dscnt 0x4
	;;#ASMSTART
	v_dot2_f32_f16 v70, v0, v4, v70
	;;#ASMEND
	;;#ASMSTART
	v_dot2_f32_f16 v70, v1, v5, v70
	;;#ASMEND
	;;#ASMSTART
	v_dot2_f32_f16 v70, v2, v6, v70
	;;#ASMEND
	;;#ASMSTART
	v_dot2_f32_f16 v70, v3, v7, v70
	;;#ASMEND
	s_wait_dscnt 0x3
	;;#ASMSTART
	v_dot2_f32_f16 v71, v0, v8, v71
	;;#ASMEND
	;;#ASMSTART
	v_dot2_f32_f16 v71, v1, v9, v71
	;;#ASMEND
	;;#ASMSTART
	v_dot2_f32_f16 v71, v2, v10, v71
	;;#ASMEND
	;;#ASMSTART
	v_dot2_f32_f16 v71, v3, v11, v71
	;;#ASMEND
	;; [unrolled: 13-line block ×3, first 2 shown]
	;;#ASMSTART
	v_dot2_f32_f16 v73, v12, v8, v73
	;;#ASMEND
	;;#ASMSTART
	v_dot2_f32_f16 v73, v13, v9, v73
	;;#ASMEND
	;; [unrolled: 3-line block ×4, first 2 shown]
	s_wait_dscnt 0x1
	;;#ASMSTART
	v_dot2_f32_f16 v74, v16, v4, v74
	;;#ASMEND
	;;#ASMSTART
	v_dot2_f32_f16 v74, v17, v5, v74
	;;#ASMEND
	;; [unrolled: 3-line block ×8, first 2 shown]
	s_wait_dscnt 0x0
	;;#ASMSTART
	v_dot2_f32_f16 v76, v20, v4, v76
	;;#ASMEND
	;;#ASMSTART
	v_dot2_f32_f16 v76, v21, v5, v76
	;;#ASMEND
	;; [unrolled: 3-line block ×8, first 2 shown]
	ds_load_b128 v[0:3], v94 offset:224
	ds_load_b128 v[4:7], v93 offset:224
	ds_load_b128 v[8:11], v93 offset:480
	ds_load_b128 v[12:15], v94 offset:8928
	ds_load_b128 v[16:19], v94 offset:17632
	ds_load_b128 v[20:23], v94 offset:26336
	s_wait_dscnt 0x4
	;;#ASMSTART
	v_dot2_f32_f16 v70, v0, v4, v70
	;;#ASMEND
	;;#ASMSTART
	v_dot2_f32_f16 v70, v1, v5, v70
	;;#ASMEND
	;;#ASMSTART
	v_dot2_f32_f16 v70, v2, v6, v70
	;;#ASMEND
	;;#ASMSTART
	v_dot2_f32_f16 v70, v3, v7, v70
	;;#ASMEND
	s_wait_dscnt 0x3
	;;#ASMSTART
	v_dot2_f32_f16 v71, v0, v8, v71
	;;#ASMEND
	;;#ASMSTART
	v_dot2_f32_f16 v71, v1, v9, v71
	;;#ASMEND
	;;#ASMSTART
	v_dot2_f32_f16 v71, v2, v10, v71
	;;#ASMEND
	;;#ASMSTART
	v_dot2_f32_f16 v71, v3, v11, v71
	;;#ASMEND
	;; [unrolled: 13-line block ×3, first 2 shown]
	;;#ASMSTART
	v_dot2_f32_f16 v73, v12, v8, v73
	;;#ASMEND
	;;#ASMSTART
	v_dot2_f32_f16 v73, v13, v9, v73
	;;#ASMEND
	;; [unrolled: 3-line block ×4, first 2 shown]
	s_wait_dscnt 0x1
	;;#ASMSTART
	v_dot2_f32_f16 v74, v16, v4, v74
	;;#ASMEND
	;;#ASMSTART
	v_dot2_f32_f16 v74, v17, v5, v74
	;;#ASMEND
	;; [unrolled: 3-line block ×8, first 2 shown]
	s_wait_dscnt 0x0
	;;#ASMSTART
	v_dot2_f32_f16 v76, v20, v4, v76
	;;#ASMEND
	;;#ASMSTART
	v_dot2_f32_f16 v76, v21, v5, v76
	;;#ASMEND
	;; [unrolled: 3-line block ×8, first 2 shown]
	ds_load_b128 v[20:23], v94 offset:240
	ds_load_b128 v[8:11], v93 offset:240
	ds_load_b128 v[0:3], v93 offset:496
	ds_load_b128 v[16:19], v94 offset:8944
	ds_load_b128 v[12:15], v94 offset:17648
	ds_load_b128 v[4:7], v94 offset:26352
	s_wait_dscnt 0x4
	;;#ASMSTART
	v_dot2_f32_f16 v70, v20, v8, v70
	;;#ASMEND
	;;#ASMSTART
	v_dot2_f32_f16 v70, v21, v9, v70
	;;#ASMEND
	;;#ASMSTART
	v_dot2_f32_f16 v70, v22, v10, v70
	;;#ASMEND
	;;#ASMSTART
	v_dot2_f32_f16 v70, v23, v11, v70
	;;#ASMEND
	s_wait_dscnt 0x3
	;;#ASMSTART
	v_dot2_f32_f16 v71, v20, v0, v71
	;;#ASMEND
	;;#ASMSTART
	v_dot2_f32_f16 v71, v21, v1, v71
	;;#ASMEND
	;;#ASMSTART
	v_dot2_f32_f16 v71, v22, v2, v71
	;;#ASMEND
	;;#ASMSTART
	v_dot2_f32_f16 v71, v23, v3, v71
	;;#ASMEND
	;; [unrolled: 13-line block ×3, first 2 shown]
	;;#ASMSTART
	v_dot2_f32_f16 v73, v16, v0, v73
	;;#ASMEND
	;;#ASMSTART
	v_dot2_f32_f16 v73, v17, v1, v73
	;;#ASMEND
	;; [unrolled: 3-line block ×4, first 2 shown]
	s_wait_dscnt 0x1
	;;#ASMSTART
	v_dot2_f32_f16 v74, v12, v8, v74
	;;#ASMEND
	;;#ASMSTART
	v_dot2_f32_f16 v74, v13, v9, v74
	;;#ASMEND
	;; [unrolled: 3-line block ×8, first 2 shown]
	s_wait_dscnt 0x0
	;;#ASMSTART
	v_dot2_f32_f16 v76, v4, v8, v76
	;;#ASMEND
	;;#ASMSTART
	v_dot2_f32_f16 v76, v5, v9, v76
	;;#ASMEND
	;; [unrolled: 3-line block ×8, first 2 shown]
	s_clause 0x3
	global_load_u16 v0, v24, s[34:35] scale_offset
	global_load_u16 v1, v24, s[34:35] offset:64 scale_offset
	global_load_u16 v2, v24, s[34:35] offset:128 scale_offset
	;; [unrolled: 1-line block ×3, first 2 shown]
	v_lshl_add_u64 v[20:21], v[38:39], 2, s[2:3]
	v_lshl_add_u64 v[22:23], v[46:47], 2, s[2:3]
	s_wait_loadcnt 0x0
	s_barrier_signal -1
	s_barrier_wait -1
	v_lshl_add_u64 v[16:17], v[50:51], 2, s[2:3]
	v_lshl_add_u64 v[14:15], v[60:61], 2, s[2:3]
	;; [unrolled: 1-line block ×4, first 2 shown]
	s_delay_alu instid0(VALU_DEP_1) | instskip(SKIP_4) | instid1(VALU_DEP_4)
	v_add_nc_u64_e32 v[12:13], v[12:13], v[42:43]
	v_cvt_f32_f16_e32 v0, v0
	v_cvt_f32_f16_e32 v1, v1
	;; [unrolled: 1-line block ×4, first 2 shown]
	v_dual_add_f32 v4, v70, v0 :: v_dual_add_f32 v0, v71, v0
	s_delay_alu instid0(VALU_DEP_4) | instskip(NEXT) | instid1(VALU_DEP_3)
	v_dual_add_f32 v5, v72, v1 :: v_dual_add_f32 v1, v73, v1
	v_dual_add_f32 v6, v74, v2 :: v_dual_add_f32 v7, v76, v3
	;; [unrolled: 1-line block ×3, first 2 shown]
	s_delay_alu instid0(VALU_DEP_3) | instskip(SKIP_1) | instid1(VALU_DEP_2)
	v_dual_add_f32 v8, 0x40051340, v4 :: v_dual_add_f32 v9, 0x40051340, v5
	s_wait_xcnt 0x0
	v_dual_add_f32 v24, 0x40051340, v0 :: v_dual_add_f32 v71, 0x40051340, v2
	v_add_f32_e32 v70, 0x40051340, v1
	v_dual_add_f32 v10, 0x40051340, v6 :: v_dual_add_f32 v11, 0x40051340, v7
	v_add_f32_e32 v72, 0x40051340, v3
	v_max3_num_f32 v8, v26, v8, v9
	s_delay_alu instid0(VALU_DEP_4) | instskip(NEXT) | instid1(VALU_DEP_2)
	v_max3_num_f32 v9, v27, v24, v70
	v_max3_num_f32 v8, v8, v10, v11
	s_delay_alu instid0(VALU_DEP_2) | instskip(SKIP_4) | instid1(VALU_DEP_1)
	v_max3_num_f32 v9, v9, v71, v72
	ds_bpermute_b32 v10, v69, v8
	ds_bpermute_b32 v11, v69, v9
	s_wait_dscnt 0x0
	v_dual_max_num_f32 v11, v11, v11 :: v_dual_max_num_f32 v10, v10, v10
	v_dual_max_num_f32 v9, v9, v11 :: v_dual_max_num_f32 v8, v8, v10
	ds_bpermute_b32 v11, v68, v9
	ds_bpermute_b32 v10, v68, v8
	s_wait_dscnt 0x0
	v_dual_max_num_f32 v10, v10, v10 :: v_dual_max_num_f32 v11, v11, v11
	s_delay_alu instid0(VALU_DEP_1)
	v_max_num_f32_e32 v8, v8, v10
	ds_bpermute_b32 v10, v67, v8
	s_wait_dscnt 0x0
	v_dual_max_num_f32 v9, v9, v11 :: v_dual_max_num_f32 v10, v10, v10
	ds_bpermute_b32 v11, v67, v9
	v_max_num_f32_e32 v8, v8, v10
	ds_bpermute_b32 v10, v66, v8
	s_wait_dscnt 0x1
	v_max_num_f32_e32 v11, v11, v11
	s_wait_dscnt 0x0
	s_delay_alu instid0(VALU_DEP_1)
	v_dual_max_num_f32 v9, v9, v11 :: v_dual_max_num_f32 v10, v10, v10
	ds_bpermute_b32 v11, v66, v9
	v_max_num_f32_e32 v8, v8, v10
	ds_bpermute_b32 v10, v25, v8
	s_wait_dscnt 0x1
	v_max_num_f32_e32 v11, v11, v11
	s_wait_dscnt 0x0
	s_delay_alu instid0(VALU_DEP_1) | instskip(SKIP_2) | instid1(VALU_DEP_1)
	v_dual_max_num_f32 v9, v9, v11 :: v_dual_max_num_f32 v10, v10, v10
	ds_bpermute_b32 v11, v25, v9
	v_max_num_f32_e32 v66, v8, v10
	v_dual_sub_f32 v68, v4, v66 :: v_dual_sub_f32 v69, v5, v66
	v_dual_sub_f32 v72, v6, v66 :: v_dual_sub_f32 v73, v7, v66
	s_delay_alu instid0(VALU_DEP_2) | instskip(NEXT) | instid1(VALU_DEP_3)
	v_cmp_ngt_f32_e64 s8, 0xc2ce8ed0, v68
	v_cmp_ngt_f32_e32 vcc_lo, 0xc2ce8ed0, v69
	s_delay_alu instid0(VALU_DEP_3)
	v_dual_mul_f32 v4, 0x3fb8aa3b, v72 :: v_dual_mul_f32 v5, 0x3fb8aa3b, v73
	v_cmp_ngt_f32_e64 s5, 0xc2ce8ed0, v72
	v_cmp_ngt_f32_e64 s4, 0xc2ce8ed0, v73
	s_wait_dscnt 0x0
	v_max_num_f32_e32 v11, v11, v11
	v_fma_f32 v24, 0x3fb8aa3b, v72, -v4
	v_rndne_f32_e32 v127, v4
	v_fma_f32 v76, 0x3fb8aa3b, v73, -v5
	v_rndne_f32_e32 v129, v5
	s_delay_alu instid0(VALU_DEP_4) | instskip(NEXT) | instid1(VALU_DEP_3)
	v_dual_max_num_f32 v67, v9, v11 :: v_dual_fmac_f32 v24, 0x32a5705f, v72
	v_fmac_f32_e32 v76, 0x32a5705f, v73
	s_delay_alu instid0(VALU_DEP_2) | instskip(SKIP_2) | instid1(VALU_DEP_3)
	v_dual_sub_f32 v70, v0, v67 :: v_dual_sub_f32 v71, v1, v67
	v_dual_mul_f32 v0, 0x3fb8aa3b, v68 :: v_dual_mul_f32 v1, 0x3fb8aa3b, v69
	v_dual_sub_f32 v74, v2, v67 :: v_dual_sub_f32 v75, v3, v67
	v_dual_mul_f32 v2, 0x3fb8aa3b, v70 :: v_dual_mul_f32 v3, 0x3fb8aa3b, v71
	s_delay_alu instid0(VALU_DEP_3)
	v_fma_f32 v8, 0x3fb8aa3b, v68, -v0
	v_rndne_f32_e32 v25, v0
	v_fma_f32 v9, 0x3fb8aa3b, v69, -v1
	v_rndne_f32_e32 v125, v1
	v_fma_f32 v10, 0x3fb8aa3b, v70, -v2
	v_fmac_f32_e32 v8, 0x32a5705f, v68
	v_sub_f32_e32 v0, v0, v25
	v_fmac_f32_e32 v9, 0x32a5705f, v69
	v_sub_f32_e32 v1, v1, v125
	v_fma_f32 v11, 0x3fb8aa3b, v71, -v3
	v_rndne_f32_e32 v126, v3
	v_add_f32_e32 v0, v0, v8
	v_rndne_f32_e32 v8, v2
	v_dual_add_f32 v9, v1, v9 :: v_dual_fmac_f32 v10, 0x32a5705f, v70
	v_fmac_f32_e32 v11, 0x32a5705f, v71
	v_dual_mul_f32 v6, 0x3fb8aa3b, v74 :: v_dual_mul_f32 v7, 0x3fb8aa3b, v75
	s_delay_alu instid0(VALU_DEP_4) | instskip(SKIP_2) | instid1(VALU_DEP_3)
	v_sub_f32_e32 v1, v2, v8
	v_exp_f32_e32 v0, v0
	v_cmp_ngt_f32_e64 s6, 0xc2ce8ed0, v74
	v_fma_f32 v77, 0x3fb8aa3b, v74, -v6
	v_rndne_f32_e32 v131, v6
	v_add_f32_e32 v2, v1, v10
	v_sub_f32_e32 v1, v3, v126
	v_rndne_f32_e32 v134, v7
	v_fmac_f32_e32 v77, 0x32a5705f, v74
	v_sub_f32_e32 v3, v6, v131
	v_exp_f32_e32 v2, v2
	v_add_f32_e32 v128, v1, v11
	v_sub_f32_e32 v1, v4, v127
	v_cvt_i32_f32_e32 v4, v25
	v_add_f32_e32 v133, v3, v77
	v_sub_f32_e32 v3, v7, v134
	v_add_nc_u64_e32 v[10:11], v[18:19], v[42:43]
	v_add_f32_e32 v130, v1, v24
	v_sub_f32_e32 v1, v5, v129
	v_exp_f32_e32 v5, v9
	v_ldexp_f32 v136, v0, v4
	v_cvt_i32_f32_e32 v4, v8
	v_add_nc_u64_e32 v[8:9], v[16:17], v[42:43]
	v_add_f32_e32 v132, v1, v76
	v_fma_f32 v1, 0x3fb8aa3b, v75, -v7
	v_add_nc_u64_e32 v[6:7], v[22:23], v[42:43]
	v_ldexp_f32 v137, v2, v4
	v_add_nc_u64_e32 v[16:17], v[14:15], v[42:43]
	v_cmp_ngt_f32_e64 s7, 0xc2ce8ed0, v75
	v_fmac_f32_e32 v1, 0x32a5705f, v75
	v_sub_f32_e32 v27, v27, v67
	s_delay_alu instid0(VALU_DEP_2) | instskip(SKIP_2) | instid1(VALU_DEP_2)
	v_add_f32_e32 v135, v3, v1
	v_cvt_i32_f32_e32 v3, v125
	v_lshl_add_u64 v[0:1], v[62:63], 2, s[2:3]
	v_ldexp_f32 v125, v5, v3
	v_add_nc_u64_e32 v[4:5], v[20:21], v[42:43]
	v_lshl_add_u64 v[2:3], v[64:65], 2, s[2:3]
	s_delay_alu instid0(VALU_DEP_4)
	v_add_nc_u64_e32 v[76:77], v[0:1], v[42:43]
	v_cvt_i32_f32_e32 v0, v126
	v_cvt_i32_f32_e32 v1, v127
	v_cmp_ngt_f32_e64 s2, 0xc2ce8ed0, v71
	v_add_nc_u64_e32 v[24:25], v[2:3], v[42:43]
	global_load_b128 v[20:23], v[4:5], off
	v_exp_f32_e32 v2, v128
	v_exp_f32_e32 v3, v130
	v_cmp_ngt_f32_e64 s3, 0xc2ce8ed0, v70
	v_cndmask_b32_e32 v125, 0, v125, vcc_lo
	v_cmp_nlt_f32_e32 vcc_lo, 0x42b17218, v69
	s_delay_alu instid0(TRANS32_DEP_2)
	v_ldexp_f32 v14, v2, v0
	v_exp_f32_e32 v2, v132
	v_cvt_i32_f32_e32 v0, v129
	v_ldexp_f32 v15, v3, v1
	v_cvt_i32_f32_e32 v1, v131
	s_delay_alu instid0(TRANS32_DEP_1) | instid1(VALU_DEP_3)
	v_ldexp_f32 v18, v2, v0
	v_cndmask_b32_e64 v69, 0, v137, s3
	v_cmp_nlt_f32_e64 s3, 0x42b17218, v70
	v_cndmask_b32_e64 v70, 0, v14, s2
	v_exp_f32_e32 v3, v133
	v_cmp_nlt_f32_e64 s2, 0x42b17218, v71
	v_cndmask_b32_e64 v71, 0, v15, s5
	v_cmp_nlt_f32_e64 s5, 0x42b17218, v72
	v_cndmask_b32_e64 v18, 0, v18, s4
	;; [unrolled: 2-line block ×3, first 2 shown]
	v_ldexp_f32 v19, v3, v1
	global_load_b128 v[0:3], v[6:7], off
	s_wait_xcnt 0x1
	v_exp_f32_e32 v5, v135
	v_cvt_i32_f32_e32 v4, v134
	v_dual_cndmask_b32 v72, 0, v136, s8 :: v_dual_cndmask_b32 v19, 0, v19, s6
	v_cmp_nlt_f32_e64 s8, 0x42b17218, v68
	v_cmp_nlt_f32_e64 s6, 0x42b17218, v74
	v_cndmask_b32_e32 v74, 0x7f800000, v125, vcc_lo
	s_delay_alu instid0(TRANS32_DEP_1)
	v_ldexp_f32 v126, v5, v4
	v_cndmask_b32_e64 v68, 0x7f800000, v18, s4
	v_cndmask_b32_e64 v72, 0x7f800000, v72, s8
	v_cmp_ngt_f32_e32 vcc_lo, 0xc2ce8ed0, v27
	s_clause 0x1
	global_load_b128 v[4:7], v[8:9], off
	global_load_b128 v[12:15], v[12:13], off
	v_cndmask_b32_e64 v126, 0, v126, s7
	v_cmp_nlt_f32_e64 s7, 0x42b17218, v75
	v_cndmask_b32_e64 v75, 0x7f800000, v70, s2
	v_cndmask_b32_e64 v70, 0x7f800000, v71, s5
	;; [unrolled: 1-line block ×3, first 2 shown]
	v_cvt_pk_f16_f32 v18, v72, v73
	v_cndmask_b32_e64 v69, 0x7f800000, v126, s7
	v_cvt_pk_f16_f32 v19, v74, v75
	global_load_b128 v[8:11], v[10:11], off
	v_cvt_pk_f16_f32 v125, v70, v71
	ds_store_2addr_b32 v105, v18, v19 offset1:32
	v_cvt_pk_f16_f32 v18, v68, v69
	ds_store_2addr_b32 v105, v125, v18 offset0:64 offset1:96
	v_dual_sub_f32 v125, v26, v66 :: v_dual_mul_f32 v26, 0x3fb8aa3b, v27
	global_load_b128 v[16:19], v[16:17], off
	v_pk_add_f32 v[72:73], v[72:73], v[74:75]
	v_cmp_ngt_f32_e64 s2, 0xc2ce8ed0, v125
	s_delay_alu instid0(VALU_DEP_2) | instskip(NEXT) | instid1(VALU_DEP_1)
	v_pk_add_f32 v[70:71], v[70:71], v[72:73]
	v_pk_add_f32 v[72:73], v[68:69], v[70:71]
	s_wait_loadcnt 0x5
	ds_store_b128 v95, v[20:23]
	v_mul_f32_e32 v20, 0x3fb8aa3b, v125
	v_fma_f32 v21, 0x3fb8aa3b, v27, -v26
	v_rndne_f32_e32 v22, v26
	s_delay_alu instid0(VALU_DEP_3) | instskip(NEXT) | instid1(VALU_DEP_2)
	v_fma_f32 v23, 0x3fb8aa3b, v125, -v20
	v_dual_fmac_f32 v21, 0x32a5705f, v27 :: v_dual_sub_f32 v26, v26, v22
	v_cvt_i32_f32_e32 v22, v22
	s_delay_alu instid0(VALU_DEP_3) | instskip(NEXT) | instid1(VALU_DEP_3)
	v_fmac_f32_e32 v23, 0x32a5705f, v125
	v_add_f32_e32 v21, v26, v21
	v_rndne_f32_e32 v26, v20
	s_delay_alu instid0(VALU_DEP_1) | instskip(SKIP_1) | instid1(VALU_DEP_2)
	v_sub_f32_e32 v20, v20, v26
	v_cvt_i32_f32_e32 v26, v26
	v_add_f32_e32 v126, v20, v23
	v_exp_f32_e32 v20, v21
	v_nop
	s_delay_alu instid0(TRANS32_DEP_1)
	v_ldexp_f32 v127, v20, v22
	global_load_b128 v[20:23], v[76:77], off
	s_wait_xcnt 0x0
	v_exp_f32_e32 v76, v126
	v_cndmask_b32_e32 v77, 0, v127, vcc_lo
	v_cmp_nlt_f32_e32 vcc_lo, 0x42b17218, v27
	s_delay_alu instid0(TRANS32_DEP_1)
	v_ldexp_f32 v76, v76, v26
	global_load_b128 v[24:27], v[24:25], off
	s_wait_loadcnt 0x6
	ds_store_b128 v98, v[0:3]
	s_wait_loadcnt 0x5
	ds_store_b128 v99, v[4:7]
	;; [unrolled: 2-line block ×3, first 2 shown]
	ds_store_b128 v101, v[12:15]
	s_wait_loadcnt 0x2
	ds_store_b128 v102, v[16:19]
	s_wait_loadcnt 0x1
	;; [unrolled: 2-line block ×3, first 2 shown]
	ds_store_b128 v104, v[24:27]
	s_wait_dscnt 0x0
	s_barrier_signal -1
	s_barrier_wait -1
	ds_load_b128 v[0:3], v97
	v_cndmask_b32_e64 v76, 0, v76, s2
	v_cmp_nlt_f32_e64 s2, 0x42b17218, v125
	ds_load_2addr_b64 v[4:7], v80 offset1:32
	ds_load_2addr_b64 v[8:11], v80 offset0:64 offset1:96
	ds_load_b128 v[12:15], v97 offset:16
	ds_load_2addr_b64 v[16:19], v80 offset0:128 offset1:160
	ds_load_2addr_b64 v[20:23], v80 offset0:192 offset1:224
	ds_load_b128 v[24:27], v97 offset:32
	v_cndmask_b32_e32 v77, 0x7f800000, v77, vcc_lo
	v_cndmask_b32_e64 v76, 0x7f800000, v76, s2
	ds_load_2addr_b64 v[68:71], v106 offset1:32
	v_cvt_f16_f32_e32 v74, v77
	v_pk_fma_f32 v[54:55], v[54:55], v[76:77], v[72:73]
	v_cvt_f16_f32_e32 v125, v76
	s_delay_alu instid0(VALU_DEP_3) | instskip(NEXT) | instid1(VALU_DEP_2)
	v_and_b32_e32 v74, 0xffff, v74
	v_and_b32_e32 v75, 0xffff, v125
	s_wait_dscnt 0x7
	v_and_b32_e32 v72, 0xffff, v0
	v_lshrrev_b32_e32 v0, 16, v0
	v_mul_u32_u24_e32 v125, 0x10001, v74
	v_mul_u32_u24_e32 v75, 0x10001, v75
	s_delay_alu instid0(VALU_DEP_4) | instskip(NEXT) | instid1(VALU_DEP_4)
	v_mul_u32_u24_e32 v76, 0x10001, v72
	v_mul_u32_u24_e32 v0, 0x10001, v0
	s_delay_alu instid0(VALU_DEP_4) | instskip(NEXT) | instid1(VALU_DEP_4)
	v_pk_mul_f16 v121, v121, v125
	v_pk_mul_f16 v124, v124, v75
	s_wait_dscnt 0x6
	v_pk_mul_f16 v72, v4, v76
	v_pk_mul_f16 v4, v4, v0
	v_pk_fma_f16 v0, v5, v0, v121
	v_pk_fma_f16 v76, v5, v76, v124
	v_and_b32_e32 v124, 0xffff, v3
	v_pk_fma_f16 v77, v123, v75, v72
	v_pk_fma_f16 v4, v122, v125, v4
	v_and_b32_e32 v122, 0xffff, v1
	v_dual_lshrrev_b32 v1, 16, v1 :: v_dual_lshrrev_b32 v123, 16, v3
	v_mul_u32_u24_e32 v124, 0x10001, v124
	ds_load_2addr_b64 v[72:75], v106 offset0:64 offset1:96
	v_mul_u32_u24_e32 v122, 0x10001, v122
	v_mul_u32_u24_e32 v1, 0x10001, v1
	s_delay_alu instid0(VALU_DEP_2) | instskip(NEXT) | instid1(VALU_DEP_2)
	v_pk_fma_f16 v76, v7, v122, v76
	v_pk_fma_f16 v121, v7, v1, v0
	;; [unrolled: 1-line block ×4, first 2 shown]
	v_and_b32_e32 v1, 0xffff, v2
	v_lshrrev_b32_e32 v122, 16, v2
	ds_load_b128 v[4:7], v97 offset:48
	v_mul_u32_u24_e32 v1, 0x10001, v1
	v_mul_u32_u24_e32 v122, 0x10001, v122
	s_wait_dscnt 0x7
	s_delay_alu instid0(VALU_DEP_2) | instskip(SKIP_1) | instid1(VALU_DEP_3)
	v_pk_fma_f16 v76, v9, v1, v76
	v_pk_fma_f16 v125, v8, v1, v0
	;; [unrolled: 1-line block ×4, first 2 shown]
	ds_load_2addr_b64 v[0:3], v106 offset0:128 offset1:160
	v_pk_fma_f16 v76, v11, v124, v76
	v_pk_fma_f16 v121, v10, v124, v125
	s_wait_dscnt 0x7
	v_and_b32_e32 v124, 0xffff, v13
	v_lshrrev_b32_e32 v13, 16, v13
	v_mul_u32_u24_e32 v123, 0x10001, v123
	v_and_b32_e32 v125, 0xffff, v15
	s_delay_alu instid0(VALU_DEP_3) | instskip(NEXT) | instid1(VALU_DEP_3)
	v_mul_u32_u24_e32 v13, 0x10001, v13
	v_pk_fma_f16 v77, v11, v123, v9
	v_pk_fma_f16 v122, v10, v123, v8
	v_and_b32_e32 v123, 0xffff, v12
	v_lshrrev_b32_e32 v12, 16, v12
	v_mul_u32_u24_e32 v125, 0x10001, v125
	ds_load_2addr_b64 v[8:11], v106 offset0:192 offset1:224
	v_mul_u32_u24_e32 v123, 0x10001, v123
	v_mul_u32_u24_e32 v12, 0x10001, v12
	s_wait_dscnt 0x7
	s_delay_alu instid0(VALU_DEP_2)
	v_pk_fma_f16 v76, v17, v123, v76
	v_pk_fma_f16 v121, v16, v123, v121
	v_mul_u32_u24_e32 v123, 0x10001, v124
	v_pk_fma_f16 v17, v17, v12, v77
	v_pk_fma_f16 v12, v16, v12, v122
	v_lshrrev_b32_e32 v124, 16, v15
	s_delay_alu instid0(VALU_DEP_4) | instskip(SKIP_1) | instid1(VALU_DEP_4)
	v_pk_fma_f16 v76, v19, v123, v76
	v_pk_fma_f16 v121, v18, v123, v121
	;; [unrolled: 1-line block ×3, first 2 shown]
	v_and_b32_e32 v12, 0xffff, v14
	v_lshrrev_b32_e32 v123, 16, v14
	v_pk_fma_f16 v77, v19, v13, v17
	v_mul_u32_u24_e32 v124, 0x10001, v124
	ds_load_b128 v[16:19], v97 offset:64
	v_mul_u32_u24_e32 v12, 0x10001, v12
	v_mul_u32_u24_e32 v123, 0x10001, v123
	s_wait_dscnt 0x7
	s_delay_alu instid0(VALU_DEP_2) | instskip(SKIP_1) | instid1(VALU_DEP_3)
	v_pk_fma_f16 v76, v21, v12, v76
	v_pk_fma_f16 v121, v20, v12, v121
	;; [unrolled: 1-line block ×4, first 2 shown]
	s_wait_dscnt 0x6
	v_and_b32_e32 v123, 0xffff, v24
	v_lshrrev_b32_e32 v24, 16, v24
	v_pk_fma_f16 v76, v23, v125, v76
	v_pk_fma_f16 v77, v23, v124, v21
	v_pk_fma_f16 v121, v22, v125, v121
	v_pk_fma_f16 v122, v22, v124, v20
	v_and_b32_e32 v124, 0xffff, v25
	v_mul_u32_u24_e32 v123, 0x10001, v123
	v_lshrrev_b32_e32 v25, 16, v25
	v_mul_u32_u24_e32 v24, 0x10001, v24
	v_and_b32_e32 v125, 0xffff, v27
	ds_load_2addr_b64 v[12:15], v107 offset1:32
	s_wait_dscnt 0x6
	v_pk_fma_f16 v76, v69, v123, v76
	v_pk_fma_f16 v121, v68, v123, v121
	v_mul_u32_u24_e32 v123, 0x10001, v124
	v_mul_u32_u24_e32 v25, 0x10001, v25
	v_pk_fma_f16 v69, v69, v24, v77
	v_pk_fma_f16 v24, v68, v24, v122
	v_lshrrev_b32_e32 v124, 16, v27
	v_pk_fma_f16 v76, v71, v123, v76
	v_pk_fma_f16 v121, v70, v123, v121
	v_lshrrev_b32_e32 v123, 16, v26
	v_pk_fma_f16 v122, v70, v25, v24
	v_and_b32_e32 v24, 0xffff, v26
	v_pk_fma_f16 v77, v71, v25, v69
	v_mul_u32_u24_e32 v125, 0x10001, v125
	v_mul_u32_u24_e32 v123, 0x10001, v123
	;; [unrolled: 1-line block ×4, first 2 shown]
	ds_load_2addr_b64 v[20:23], v107 offset0:64 offset1:96
	ds_load_b128 v[68:71], v97 offset:80
	s_wait_dscnt 0x7
	v_pk_fma_f16 v76, v73, v24, v76
	v_pk_fma_f16 v121, v72, v24, v121
	;; [unrolled: 1-line block ×4, first 2 shown]
	s_wait_dscnt 0x6
	v_and_b32_e32 v123, 0xffff, v4
	v_lshrrev_b32_e32 v4, 16, v4
	v_pk_fma_f16 v76, v75, v125, v76
	v_pk_fma_f16 v77, v75, v124, v73
	;; [unrolled: 1-line block ×4, first 2 shown]
	v_and_b32_e32 v124, 0xffff, v5
	v_mul_u32_u24_e32 v123, 0x10001, v123
	v_lshrrev_b32_e32 v5, 16, v5
	v_mul_u32_u24_e32 v4, 0x10001, v4
	ds_load_2addr_b64 v[24:27], v107 offset0:128 offset1:160
	ds_load_2addr_b64 v[72:75], v107 offset0:192 offset1:224
	s_wait_dscnt 0x7
	v_pk_fma_f16 v76, v1, v123, v76
	v_pk_fma_f16 v121, v0, v123, v121
	v_mul_u32_u24_e32 v123, 0x10001, v124
	v_mul_u32_u24_e32 v5, 0x10001, v5
	v_pk_fma_f16 v1, v1, v4, v77
	v_pk_fma_f16 v0, v0, v4, v122
	v_lshrrev_b32_e32 v122, 16, v6
	v_pk_fma_f16 v4, v3, v123, v76
	v_pk_fma_f16 v77, v2, v123, v121
	;; [unrolled: 1-line block ×4, first 2 shown]
	v_and_b32_e32 v5, 0xffff, v6
	v_lshrrev_b32_e32 v123, 16, v7
	v_mul_u32_u24_e32 v122, 0x10001, v122
	v_and_b32_e32 v124, 0xffff, v7
	ds_load_b128 v[0:3], v97 offset:96
	v_mul_u32_u24_e32 v5, 0x10001, v5
	v_mul_u32_u24_e32 v123, 0x10001, v123
	;; [unrolled: 1-line block ×3, first 2 shown]
	s_wait_dscnt 0x7
	s_delay_alu instid0(VALU_DEP_3)
	v_pk_fma_f16 v125, v9, v5, v4
	v_pk_fma_f16 v77, v8, v5, v77
	;; [unrolled: 1-line block ×4, first 2 shown]
	ds_load_2addr_b64 v[4:7], v108 offset1:32
	v_pk_fma_f16 v76, v11, v124, v125
	v_pk_fma_f16 v77, v10, v124, v77
	;; [unrolled: 1-line block ×4, first 2 shown]
	s_wait_dscnt 0x7
	v_and_b32_e32 v123, 0xffff, v16
	v_lshrrev_b32_e32 v16, 16, v16
	v_and_b32_e32 v124, 0xffff, v17
	v_lshrrev_b32_e32 v17, 16, v17
	ds_load_2addr_b64 v[8:11], v108 offset0:64 offset1:96
	v_mul_u32_u24_e32 v123, 0x10001, v123
	v_mul_u32_u24_e32 v16, 0x10001, v16
	;; [unrolled: 1-line block ×3, first 2 shown]
	s_wait_dscnt 0x7
	s_delay_alu instid0(VALU_DEP_3)
	v_pk_fma_f16 v76, v13, v123, v76
	v_pk_fma_f16 v77, v12, v123, v77
	v_mul_u32_u24_e32 v123, 0x10001, v124
	v_pk_fma_f16 v13, v13, v16, v121
	v_pk_fma_f16 v12, v12, v16, v122
	v_lshrrev_b32_e32 v122, 16, v18
	v_and_b32_e32 v124, 0xffff, v19
	v_pk_fma_f16 v16, v15, v123, v76
	v_pk_fma_f16 v76, v15, v17, v13
	;; [unrolled: 1-line block ×3, first 2 shown]
	v_and_b32_e32 v17, 0xffff, v18
	v_pk_fma_f16 v77, v14, v123, v77
	v_lshrrev_b32_e32 v123, 16, v19
	v_mul_u32_u24_e32 v122, 0x10001, v122
	v_mul_u32_u24_e32 v124, 0x10001, v124
	;; [unrolled: 1-line block ×3, first 2 shown]
	ds_load_b128 v[12:15], v97 offset:112
	v_mul_u32_u24_e32 v123, 0x10001, v123
	s_wait_dscnt 0x7
	v_pk_fma_f16 v125, v21, v17, v16
	v_pk_fma_f16 v77, v20, v17, v77
	;; [unrolled: 1-line block ×4, first 2 shown]
	ds_load_2addr_b64 v[16:19], v108 offset0:128 offset1:160
	v_pk_fma_f16 v76, v23, v124, v125
	v_pk_fma_f16 v77, v22, v124, v77
	v_pk_fma_f16 v121, v23, v123, v21
	v_pk_fma_f16 v122, v22, v123, v20
	s_wait_dscnt 0x7
	v_and_b32_e32 v123, 0xffff, v68
	v_lshrrev_b32_e32 v68, 16, v68
	v_and_b32_e32 v124, 0xffff, v69
	v_lshrrev_b32_e32 v69, 16, v69
	ds_load_2addr_b64 v[20:23], v108 offset0:192 offset1:224
	v_mul_u32_u24_e32 v123, 0x10001, v123
	v_mul_u32_u24_e32 v68, 0x10001, v68
	;; [unrolled: 1-line block ×3, first 2 shown]
	s_wait_dscnt 0x7
	s_delay_alu instid0(VALU_DEP_3)
	v_pk_fma_f16 v76, v25, v123, v76
	v_pk_fma_f16 v77, v24, v123, v77
	v_mul_u32_u24_e32 v123, 0x10001, v124
	v_pk_fma_f16 v25, v25, v68, v121
	v_pk_fma_f16 v24, v24, v68, v122
	v_lshrrev_b32_e32 v122, 16, v70
	v_and_b32_e32 v124, 0xffff, v71
	v_pk_fma_f16 v68, v27, v123, v76
	v_pk_fma_f16 v76, v27, v69, v25
	;; [unrolled: 1-line block ×3, first 2 shown]
	v_and_b32_e32 v69, 0xffff, v70
	v_pk_fma_f16 v77, v26, v123, v77
	v_lshrrev_b32_e32 v123, 16, v71
	v_mul_u32_u24_e32 v122, 0x10001, v122
	v_mul_u32_u24_e32 v124, 0x10001, v124
	;; [unrolled: 1-line block ×3, first 2 shown]
	ds_load_b128 v[24:27], v97 offset:128
	v_mul_u32_u24_e32 v123, 0x10001, v123
	s_wait_dscnt 0x7
	v_pk_fma_f16 v125, v73, v69, v68
	v_pk_fma_f16 v77, v72, v69, v77
	;; [unrolled: 1-line block ×4, first 2 shown]
	ds_load_2addr_b64 v[68:71], v109 offset1:32
	v_pk_fma_f16 v76, v75, v124, v125
	v_pk_fma_f16 v77, v74, v124, v77
	;; [unrolled: 1-line block ×4, first 2 shown]
	s_wait_dscnt 0x7
	v_and_b32_e32 v123, 0xffff, v0
	v_lshrrev_b32_e32 v0, 16, v0
	v_and_b32_e32 v124, 0xffff, v1
	v_lshrrev_b32_e32 v1, 16, v1
	v_and_b32_e32 v125, 0xffff, v3
	v_mul_u32_u24_e32 v123, 0x10001, v123
	v_mul_u32_u24_e32 v0, 0x10001, v0
	ds_load_2addr_b64 v[72:75], v109 offset0:64 offset1:96
	v_mul_u32_u24_e32 v1, 0x10001, v1
	v_mul_u32_u24_e32 v125, 0x10001, v125
	s_wait_dscnt 0x7
	v_pk_fma_f16 v76, v5, v123, v76
	v_pk_fma_f16 v77, v4, v123, v77
	v_mul_u32_u24_e32 v123, 0x10001, v124
	v_pk_fma_f16 v5, v5, v0, v121
	v_pk_fma_f16 v0, v4, v0, v122
	v_lshrrev_b32_e32 v124, 16, v3
	s_delay_alu instid0(VALU_DEP_4) | instskip(SKIP_1) | instid1(VALU_DEP_4)
	v_pk_fma_f16 v76, v7, v123, v76
	v_pk_fma_f16 v77, v6, v123, v77
	;; [unrolled: 1-line block ×3, first 2 shown]
	v_and_b32_e32 v0, 0xffff, v2
	v_lshrrev_b32_e32 v123, 16, v2
	v_pk_fma_f16 v121, v7, v1, v5
	v_mul_u32_u24_e32 v124, 0x10001, v124
	ds_load_b128 v[4:7], v97 offset:144
	v_mul_u32_u24_e32 v0, 0x10001, v0
	v_mul_u32_u24_e32 v123, 0x10001, v123
	s_wait_dscnt 0x7
	s_delay_alu instid0(VALU_DEP_2) | instskip(SKIP_1) | instid1(VALU_DEP_3)
	v_pk_fma_f16 v76, v9, v0, v76
	v_pk_fma_f16 v77, v8, v0, v77
	v_pk_fma_f16 v9, v9, v123, v121
	v_pk_fma_f16 v8, v8, v123, v122
	s_wait_dscnt 0x6
	v_and_b32_e32 v123, 0xffff, v12
	v_lshrrev_b32_e32 v12, 16, v12
	v_pk_fma_f16 v76, v11, v125, v76
	v_pk_fma_f16 v121, v11, v124, v9
	;; [unrolled: 1-line block ×4, first 2 shown]
	v_and_b32_e32 v124, 0xffff, v13
	v_mul_u32_u24_e32 v123, 0x10001, v123
	v_lshrrev_b32_e32 v13, 16, v13
	v_mul_u32_u24_e32 v12, 0x10001, v12
	v_and_b32_e32 v125, 0xffff, v15
	ds_load_2addr_b64 v[0:3], v109 offset0:128 offset1:160
	s_wait_dscnt 0x6
	v_pk_fma_f16 v76, v17, v123, v76
	v_pk_fma_f16 v77, v16, v123, v77
	v_mul_u32_u24_e32 v123, 0x10001, v124
	v_mul_u32_u24_e32 v13, 0x10001, v13
	v_pk_fma_f16 v17, v17, v12, v121
	v_pk_fma_f16 v12, v16, v12, v122
	v_lshrrev_b32_e32 v124, 16, v15
	v_pk_fma_f16 v76, v19, v123, v76
	v_pk_fma_f16 v77, v18, v123, v77
	v_lshrrev_b32_e32 v123, 16, v14
	v_pk_fma_f16 v122, v18, v13, v12
	v_and_b32_e32 v12, 0xffff, v14
	v_pk_fma_f16 v121, v19, v13, v17
	v_mul_u32_u24_e32 v125, 0x10001, v125
	v_mul_u32_u24_e32 v123, 0x10001, v123
	;; [unrolled: 1-line block ×4, first 2 shown]
	ds_load_b128 v[16:19], v97 offset:160
	ds_load_2addr_b64 v[8:11], v109 offset0:192 offset1:224
	s_wait_dscnt 0x7
	v_pk_fma_f16 v76, v21, v12, v76
	v_pk_fma_f16 v77, v20, v12, v77
	;; [unrolled: 1-line block ×4, first 2 shown]
	s_wait_dscnt 0x6
	v_and_b32_e32 v123, 0xffff, v24
	v_lshrrev_b32_e32 v24, 16, v24
	v_pk_fma_f16 v76, v23, v125, v76
	v_pk_fma_f16 v121, v23, v124, v21
	;; [unrolled: 1-line block ×4, first 2 shown]
	v_and_b32_e32 v124, 0xffff, v25
	v_mul_u32_u24_e32 v123, 0x10001, v123
	v_lshrrev_b32_e32 v25, 16, v25
	v_mul_u32_u24_e32 v24, 0x10001, v24
	v_and_b32_e32 v125, 0xffff, v27
	ds_load_2addr_b64 v[12:15], v110 offset1:32
	s_wait_dscnt 0x6
	v_pk_fma_f16 v76, v69, v123, v76
	v_pk_fma_f16 v77, v68, v123, v77
	v_mul_u32_u24_e32 v123, 0x10001, v124
	v_mul_u32_u24_e32 v25, 0x10001, v25
	v_pk_fma_f16 v69, v69, v24, v121
	v_pk_fma_f16 v24, v68, v24, v122
	v_lshrrev_b32_e32 v124, 16, v27
	v_pk_fma_f16 v76, v71, v123, v76
	v_pk_fma_f16 v77, v70, v123, v77
	v_lshrrev_b32_e32 v123, 16, v26
	v_pk_fma_f16 v122, v70, v25, v24
	v_and_b32_e32 v24, 0xffff, v26
	v_pk_fma_f16 v121, v71, v25, v69
	v_mul_u32_u24_e32 v125, 0x10001, v125
	v_mul_u32_u24_e32 v123, 0x10001, v123
	;; [unrolled: 1-line block ×4, first 2 shown]
	ds_load_2addr_b64 v[20:23], v110 offset0:64 offset1:96
	ds_load_b128 v[68:71], v97 offset:176
	s_wait_dscnt 0x7
	v_pk_fma_f16 v76, v73, v24, v76
	v_pk_fma_f16 v77, v72, v24, v77
	;; [unrolled: 1-line block ×4, first 2 shown]
	s_wait_dscnt 0x6
	v_and_b32_e32 v123, 0xffff, v4
	v_lshrrev_b32_e32 v4, 16, v4
	v_pk_fma_f16 v76, v75, v125, v76
	v_pk_fma_f16 v121, v75, v124, v73
	;; [unrolled: 1-line block ×4, first 2 shown]
	v_and_b32_e32 v124, 0xffff, v5
	v_mul_u32_u24_e32 v123, 0x10001, v123
	v_lshrrev_b32_e32 v5, 16, v5
	v_mul_u32_u24_e32 v4, 0x10001, v4
	ds_load_2addr_b64 v[24:27], v110 offset0:128 offset1:160
	ds_load_2addr_b64 v[72:75], v110 offset0:192 offset1:224
	s_wait_dscnt 0x7
	v_pk_fma_f16 v76, v1, v123, v76
	v_pk_fma_f16 v77, v0, v123, v77
	v_mul_u32_u24_e32 v123, 0x10001, v124
	v_mul_u32_u24_e32 v5, 0x10001, v5
	v_pk_fma_f16 v1, v1, v4, v121
	v_pk_fma_f16 v0, v0, v4, v122
	v_lshrrev_b32_e32 v122, 16, v6
	v_pk_fma_f16 v4, v3, v123, v76
	v_pk_fma_f16 v77, v2, v123, v77
	;; [unrolled: 1-line block ×4, first 2 shown]
	v_and_b32_e32 v5, 0xffff, v6
	v_lshrrev_b32_e32 v123, 16, v7
	v_mul_u32_u24_e32 v122, 0x10001, v122
	v_and_b32_e32 v124, 0xffff, v7
	ds_load_b128 v[0:3], v97 offset:192
	v_mul_u32_u24_e32 v5, 0x10001, v5
	v_mul_u32_u24_e32 v123, 0x10001, v123
	;; [unrolled: 1-line block ×3, first 2 shown]
	s_wait_dscnt 0x6
	s_delay_alu instid0(VALU_DEP_3)
	v_pk_fma_f16 v125, v9, v5, v4
	v_pk_fma_f16 v77, v8, v5, v77
	;; [unrolled: 1-line block ×4, first 2 shown]
	ds_load_2addr_b64 v[4:7], v111 offset1:32
	v_pk_fma_f16 v76, v11, v124, v125
	v_pk_fma_f16 v77, v10, v124, v77
	v_pk_fma_f16 v121, v11, v123, v9
	v_pk_fma_f16 v122, v10, v123, v8
	v_and_b32_e32 v123, 0xffff, v16
	v_lshrrev_b32_e32 v16, 16, v16
	v_and_b32_e32 v124, 0xffff, v17
	v_lshrrev_b32_e32 v17, 16, v17
	ds_load_2addr_b64 v[8:11], v111 offset0:64 offset1:96
	v_mul_u32_u24_e32 v123, 0x10001, v123
	v_mul_u32_u24_e32 v16, 0x10001, v16
	;; [unrolled: 1-line block ×3, first 2 shown]
	s_wait_dscnt 0x7
	s_delay_alu instid0(VALU_DEP_3)
	v_pk_fma_f16 v76, v13, v123, v76
	v_pk_fma_f16 v77, v12, v123, v77
	v_mul_u32_u24_e32 v123, 0x10001, v124
	v_pk_fma_f16 v13, v13, v16, v121
	v_pk_fma_f16 v12, v12, v16, v122
	v_lshrrev_b32_e32 v122, 16, v18
	v_and_b32_e32 v124, 0xffff, v19
	v_pk_fma_f16 v16, v15, v123, v76
	v_pk_fma_f16 v76, v15, v17, v13
	;; [unrolled: 1-line block ×3, first 2 shown]
	v_and_b32_e32 v17, 0xffff, v18
	v_pk_fma_f16 v77, v14, v123, v77
	v_lshrrev_b32_e32 v123, 16, v19
	v_mul_u32_u24_e32 v122, 0x10001, v122
	v_mul_u32_u24_e32 v124, 0x10001, v124
	;; [unrolled: 1-line block ×3, first 2 shown]
	ds_load_b128 v[12:15], v97 offset:208
	v_mul_u32_u24_e32 v123, 0x10001, v123
	s_wait_dscnt 0x7
	v_pk_fma_f16 v125, v21, v17, v16
	v_pk_fma_f16 v77, v20, v17, v77
	;; [unrolled: 1-line block ×4, first 2 shown]
	ds_load_2addr_b64 v[16:19], v111 offset0:128 offset1:160
	v_pk_fma_f16 v76, v23, v124, v125
	v_pk_fma_f16 v77, v22, v124, v77
	;; [unrolled: 1-line block ×4, first 2 shown]
	s_wait_dscnt 0x7
	v_and_b32_e32 v123, 0xffff, v68
	v_lshrrev_b32_e32 v68, 16, v68
	v_and_b32_e32 v124, 0xffff, v69
	v_lshrrev_b32_e32 v69, 16, v69
	ds_load_2addr_b64 v[20:23], v111 offset0:192 offset1:224
	v_mul_u32_u24_e32 v123, 0x10001, v123
	v_mul_u32_u24_e32 v68, 0x10001, v68
	v_mul_u32_u24_e32 v69, 0x10001, v69
	s_wait_dscnt 0x7
	s_delay_alu instid0(VALU_DEP_3)
	v_pk_fma_f16 v76, v25, v123, v76
	v_pk_fma_f16 v77, v24, v123, v77
	v_mul_u32_u24_e32 v123, 0x10001, v124
	v_pk_fma_f16 v25, v25, v68, v121
	v_pk_fma_f16 v24, v24, v68, v122
	v_lshrrev_b32_e32 v122, 16, v70
	v_and_b32_e32 v124, 0xffff, v71
	v_pk_fma_f16 v68, v27, v123, v76
	v_pk_fma_f16 v76, v27, v69, v25
	v_pk_fma_f16 v121, v26, v69, v24
	v_and_b32_e32 v69, 0xffff, v70
	v_pk_fma_f16 v77, v26, v123, v77
	v_lshrrev_b32_e32 v123, 16, v71
	v_mul_u32_u24_e32 v122, 0x10001, v122
	v_mul_u32_u24_e32 v124, 0x10001, v124
	v_mul_u32_u24_e32 v69, 0x10001, v69
	ds_load_b128 v[24:27], v97 offset:224
	v_mul_u32_u24_e32 v123, 0x10001, v123
	s_wait_dscnt 0x7
	v_pk_fma_f16 v125, v73, v69, v68
	v_pk_fma_f16 v77, v72, v69, v77
	;; [unrolled: 1-line block ×4, first 2 shown]
	ds_load_2addr_b64 v[68:71], v112 offset1:32
	v_pk_fma_f16 v76, v75, v124, v125
	v_pk_fma_f16 v77, v74, v124, v77
	;; [unrolled: 1-line block ×4, first 2 shown]
	s_wait_dscnt 0x7
	v_and_b32_e32 v123, 0xffff, v0
	v_lshrrev_b32_e32 v0, 16, v0
	v_and_b32_e32 v124, 0xffff, v1
	v_lshrrev_b32_e32 v1, 16, v1
	v_and_b32_e32 v125, 0xffff, v3
	v_mul_u32_u24_e32 v123, 0x10001, v123
	v_mul_u32_u24_e32 v0, 0x10001, v0
	ds_load_2addr_b64 v[72:75], v112 offset0:64 offset1:96
	v_mul_u32_u24_e32 v1, 0x10001, v1
	v_mul_u32_u24_e32 v125, 0x10001, v125
	s_wait_dscnt 0x7
	v_pk_fma_f16 v76, v5, v123, v76
	v_pk_fma_f16 v77, v4, v123, v77
	v_mul_u32_u24_e32 v123, 0x10001, v124
	v_pk_fma_f16 v5, v5, v0, v121
	v_pk_fma_f16 v0, v4, v0, v122
	v_lshrrev_b32_e32 v124, 16, v3
	s_delay_alu instid0(VALU_DEP_4) | instskip(SKIP_1) | instid1(VALU_DEP_4)
	v_pk_fma_f16 v76, v7, v123, v76
	v_pk_fma_f16 v77, v6, v123, v77
	;; [unrolled: 1-line block ×3, first 2 shown]
	v_and_b32_e32 v0, 0xffff, v2
	v_lshrrev_b32_e32 v123, 16, v2
	v_pk_fma_f16 v121, v7, v1, v5
	v_mul_u32_u24_e32 v124, 0x10001, v124
	ds_load_b128 v[4:7], v97 offset:240
	v_mul_u32_u24_e32 v0, 0x10001, v0
	v_mul_u32_u24_e32 v123, 0x10001, v123
	s_wait_dscnt 0x7
	s_delay_alu instid0(VALU_DEP_2) | instskip(SKIP_1) | instid1(VALU_DEP_3)
	v_pk_fma_f16 v76, v9, v0, v76
	v_pk_fma_f16 v77, v8, v0, v77
	;; [unrolled: 1-line block ×4, first 2 shown]
	s_wait_dscnt 0x6
	v_and_b32_e32 v123, 0xffff, v12
	v_lshrrev_b32_e32 v12, 16, v12
	v_pk_fma_f16 v76, v11, v125, v76
	v_pk_fma_f16 v121, v11, v124, v9
	;; [unrolled: 1-line block ×4, first 2 shown]
	v_and_b32_e32 v124, 0xffff, v13
	v_mul_u32_u24_e32 v123, 0x10001, v123
	v_lshrrev_b32_e32 v13, 16, v13
	v_mul_u32_u24_e32 v12, 0x10001, v12
	v_and_b32_e32 v125, 0xffff, v15
	ds_load_2addr_b64 v[0:3], v112 offset0:128 offset1:160
	s_wait_dscnt 0x6
	v_pk_fma_f16 v76, v17, v123, v76
	v_pk_fma_f16 v77, v16, v123, v77
	v_mul_u32_u24_e32 v123, 0x10001, v124
	v_mul_u32_u24_e32 v13, 0x10001, v13
	v_pk_fma_f16 v17, v17, v12, v121
	v_pk_fma_f16 v12, v16, v12, v122
	v_lshrrev_b32_e32 v124, 16, v15
	v_pk_fma_f16 v76, v19, v123, v76
	v_pk_fma_f16 v77, v18, v123, v77
	v_lshrrev_b32_e32 v123, 16, v14
	v_pk_fma_f16 v122, v18, v13, v12
	v_and_b32_e32 v12, 0xffff, v14
	v_pk_fma_f16 v121, v19, v13, v17
	v_mul_u32_u24_e32 v125, 0x10001, v125
	v_mul_u32_u24_e32 v123, 0x10001, v123
	;; [unrolled: 1-line block ×4, first 2 shown]
	ds_load_b128 v[16:19], v97 offset:256
	ds_load_2addr_b64 v[8:11], v112 offset0:192 offset1:224
	s_wait_dscnt 0x7
	v_pk_fma_f16 v76, v21, v12, v76
	v_pk_fma_f16 v77, v20, v12, v77
	v_pk_fma_f16 v21, v21, v123, v121
	v_pk_fma_f16 v20, v20, v123, v122
	s_wait_dscnt 0x6
	v_and_b32_e32 v123, 0xffff, v24
	v_lshrrev_b32_e32 v24, 16, v24
	v_pk_fma_f16 v76, v23, v125, v76
	v_pk_fma_f16 v121, v23, v124, v21
	;; [unrolled: 1-line block ×4, first 2 shown]
	v_and_b32_e32 v124, 0xffff, v25
	v_mul_u32_u24_e32 v123, 0x10001, v123
	v_lshrrev_b32_e32 v25, 16, v25
	v_mul_u32_u24_e32 v24, 0x10001, v24
	v_and_b32_e32 v125, 0xffff, v27
	ds_load_2addr_b64 v[12:15], v113 offset1:32
	s_wait_dscnt 0x6
	v_pk_fma_f16 v76, v69, v123, v76
	v_pk_fma_f16 v77, v68, v123, v77
	v_mul_u32_u24_e32 v123, 0x10001, v124
	v_mul_u32_u24_e32 v25, 0x10001, v25
	v_pk_fma_f16 v69, v69, v24, v121
	v_pk_fma_f16 v24, v68, v24, v122
	v_lshrrev_b32_e32 v124, 16, v27
	v_pk_fma_f16 v76, v71, v123, v76
	v_pk_fma_f16 v77, v70, v123, v77
	v_lshrrev_b32_e32 v123, 16, v26
	v_pk_fma_f16 v122, v70, v25, v24
	v_and_b32_e32 v24, 0xffff, v26
	v_pk_fma_f16 v121, v71, v25, v69
	v_mul_u32_u24_e32 v125, 0x10001, v125
	v_mul_u32_u24_e32 v123, 0x10001, v123
	;; [unrolled: 1-line block ×4, first 2 shown]
	ds_load_2addr_b64 v[20:23], v113 offset0:64 offset1:96
	ds_load_b128 v[68:71], v97 offset:272
	s_wait_dscnt 0x7
	v_pk_fma_f16 v76, v73, v24, v76
	v_pk_fma_f16 v77, v72, v24, v77
	;; [unrolled: 1-line block ×4, first 2 shown]
	s_wait_dscnt 0x6
	v_and_b32_e32 v123, 0xffff, v4
	v_lshrrev_b32_e32 v4, 16, v4
	v_pk_fma_f16 v76, v75, v125, v76
	v_pk_fma_f16 v121, v75, v124, v73
	;; [unrolled: 1-line block ×4, first 2 shown]
	v_and_b32_e32 v124, 0xffff, v5
	v_mul_u32_u24_e32 v123, 0x10001, v123
	v_lshrrev_b32_e32 v5, 16, v5
	v_mul_u32_u24_e32 v4, 0x10001, v4
	ds_load_2addr_b64 v[24:27], v113 offset0:128 offset1:160
	ds_load_2addr_b64 v[72:75], v113 offset0:192 offset1:224
	s_wait_dscnt 0x7
	v_pk_fma_f16 v76, v1, v123, v76
	v_pk_fma_f16 v77, v0, v123, v77
	v_mul_u32_u24_e32 v123, 0x10001, v124
	v_mul_u32_u24_e32 v5, 0x10001, v5
	v_pk_fma_f16 v1, v1, v4, v121
	v_pk_fma_f16 v0, v0, v4, v122
	v_lshrrev_b32_e32 v122, 16, v6
	v_pk_fma_f16 v4, v3, v123, v76
	v_pk_fma_f16 v77, v2, v123, v77
	;; [unrolled: 1-line block ×4, first 2 shown]
	v_and_b32_e32 v5, 0xffff, v6
	v_lshrrev_b32_e32 v123, 16, v7
	v_mul_u32_u24_e32 v122, 0x10001, v122
	v_and_b32_e32 v124, 0xffff, v7
	ds_load_b128 v[0:3], v97 offset:288
	v_mul_u32_u24_e32 v5, 0x10001, v5
	v_mul_u32_u24_e32 v123, 0x10001, v123
	;; [unrolled: 1-line block ×3, first 2 shown]
	s_wait_dscnt 0x6
	s_delay_alu instid0(VALU_DEP_3)
	v_pk_fma_f16 v125, v9, v5, v4
	v_pk_fma_f16 v77, v8, v5, v77
	v_pk_fma_f16 v9, v9, v122, v76
	v_pk_fma_f16 v8, v8, v122, v121
	ds_load_2addr_b64 v[4:7], v114 offset1:32
	v_pk_fma_f16 v76, v11, v124, v125
	v_pk_fma_f16 v77, v10, v124, v77
	v_pk_fma_f16 v121, v11, v123, v9
	v_pk_fma_f16 v122, v10, v123, v8
	v_and_b32_e32 v123, 0xffff, v16
	v_lshrrev_b32_e32 v16, 16, v16
	v_and_b32_e32 v124, 0xffff, v17
	v_lshrrev_b32_e32 v17, 16, v17
	ds_load_2addr_b64 v[8:11], v114 offset0:64 offset1:96
	v_mul_u32_u24_e32 v123, 0x10001, v123
	v_mul_u32_u24_e32 v16, 0x10001, v16
	;; [unrolled: 1-line block ×3, first 2 shown]
	s_wait_dscnt 0x7
	s_delay_alu instid0(VALU_DEP_3)
	v_pk_fma_f16 v76, v13, v123, v76
	v_pk_fma_f16 v77, v12, v123, v77
	v_mul_u32_u24_e32 v123, 0x10001, v124
	v_pk_fma_f16 v13, v13, v16, v121
	v_pk_fma_f16 v12, v12, v16, v122
	v_lshrrev_b32_e32 v122, 16, v18
	v_and_b32_e32 v124, 0xffff, v19
	v_pk_fma_f16 v16, v15, v123, v76
	v_pk_fma_f16 v76, v15, v17, v13
	;; [unrolled: 1-line block ×3, first 2 shown]
	v_and_b32_e32 v17, 0xffff, v18
	v_pk_fma_f16 v77, v14, v123, v77
	v_lshrrev_b32_e32 v123, 16, v19
	v_mul_u32_u24_e32 v122, 0x10001, v122
	v_mul_u32_u24_e32 v124, 0x10001, v124
	;; [unrolled: 1-line block ×3, first 2 shown]
	ds_load_b128 v[12:15], v97 offset:304
	v_mul_u32_u24_e32 v123, 0x10001, v123
	s_wait_dscnt 0x7
	v_pk_fma_f16 v125, v21, v17, v16
	v_pk_fma_f16 v77, v20, v17, v77
	;; [unrolled: 1-line block ×4, first 2 shown]
	ds_load_2addr_b64 v[16:19], v114 offset0:128 offset1:160
	v_pk_fma_f16 v76, v23, v124, v125
	v_pk_fma_f16 v77, v22, v124, v77
	;; [unrolled: 1-line block ×4, first 2 shown]
	s_wait_dscnt 0x7
	v_and_b32_e32 v123, 0xffff, v68
	v_lshrrev_b32_e32 v68, 16, v68
	v_and_b32_e32 v124, 0xffff, v69
	v_lshrrev_b32_e32 v69, 16, v69
	ds_load_2addr_b64 v[20:23], v114 offset0:192 offset1:224
	v_mul_u32_u24_e32 v123, 0x10001, v123
	v_mul_u32_u24_e32 v68, 0x10001, v68
	;; [unrolled: 1-line block ×3, first 2 shown]
	s_wait_dscnt 0x7
	s_delay_alu instid0(VALU_DEP_3)
	v_pk_fma_f16 v76, v25, v123, v76
	v_pk_fma_f16 v77, v24, v123, v77
	v_mul_u32_u24_e32 v123, 0x10001, v124
	v_pk_fma_f16 v25, v25, v68, v121
	v_pk_fma_f16 v24, v24, v68, v122
	v_lshrrev_b32_e32 v122, 16, v70
	v_and_b32_e32 v124, 0xffff, v71
	v_pk_fma_f16 v68, v27, v123, v76
	v_pk_fma_f16 v76, v27, v69, v25
	;; [unrolled: 1-line block ×3, first 2 shown]
	v_and_b32_e32 v69, 0xffff, v70
	v_pk_fma_f16 v77, v26, v123, v77
	v_lshrrev_b32_e32 v123, 16, v71
	v_mul_u32_u24_e32 v122, 0x10001, v122
	v_mul_u32_u24_e32 v124, 0x10001, v124
	;; [unrolled: 1-line block ×3, first 2 shown]
	ds_load_b128 v[24:27], v97 offset:320
	v_mul_u32_u24_e32 v123, 0x10001, v123
	s_wait_dscnt 0x7
	v_pk_fma_f16 v125, v73, v69, v68
	v_pk_fma_f16 v77, v72, v69, v77
	;; [unrolled: 1-line block ×4, first 2 shown]
	ds_load_2addr_b64 v[68:71], v115 offset1:32
	v_pk_fma_f16 v76, v75, v124, v125
	v_pk_fma_f16 v77, v74, v124, v77
	;; [unrolled: 1-line block ×4, first 2 shown]
	s_wait_dscnt 0x7
	v_and_b32_e32 v123, 0xffff, v0
	v_lshrrev_b32_e32 v0, 16, v0
	v_and_b32_e32 v124, 0xffff, v1
	v_lshrrev_b32_e32 v1, 16, v1
	v_and_b32_e32 v125, 0xffff, v3
	v_mul_u32_u24_e32 v123, 0x10001, v123
	v_mul_u32_u24_e32 v0, 0x10001, v0
	ds_load_2addr_b64 v[72:75], v115 offset0:64 offset1:96
	v_mul_u32_u24_e32 v1, 0x10001, v1
	v_mul_u32_u24_e32 v125, 0x10001, v125
	s_wait_dscnt 0x7
	v_pk_fma_f16 v76, v5, v123, v76
	v_pk_fma_f16 v77, v4, v123, v77
	v_mul_u32_u24_e32 v123, 0x10001, v124
	v_pk_fma_f16 v5, v5, v0, v121
	v_pk_fma_f16 v0, v4, v0, v122
	v_lshrrev_b32_e32 v124, 16, v3
	s_delay_alu instid0(VALU_DEP_4) | instskip(SKIP_1) | instid1(VALU_DEP_4)
	v_pk_fma_f16 v76, v7, v123, v76
	v_pk_fma_f16 v77, v6, v123, v77
	;; [unrolled: 1-line block ×3, first 2 shown]
	v_and_b32_e32 v0, 0xffff, v2
	v_lshrrev_b32_e32 v123, 16, v2
	v_pk_fma_f16 v121, v7, v1, v5
	v_mul_u32_u24_e32 v124, 0x10001, v124
	ds_load_b128 v[4:7], v97 offset:336
	v_mul_u32_u24_e32 v0, 0x10001, v0
	v_mul_u32_u24_e32 v123, 0x10001, v123
	s_wait_dscnt 0x7
	s_delay_alu instid0(VALU_DEP_2) | instskip(SKIP_1) | instid1(VALU_DEP_3)
	v_pk_fma_f16 v76, v9, v0, v76
	v_pk_fma_f16 v77, v8, v0, v77
	;; [unrolled: 1-line block ×4, first 2 shown]
	s_wait_dscnt 0x6
	v_and_b32_e32 v123, 0xffff, v12
	v_lshrrev_b32_e32 v12, 16, v12
	v_pk_fma_f16 v76, v11, v125, v76
	v_pk_fma_f16 v121, v11, v124, v9
	;; [unrolled: 1-line block ×4, first 2 shown]
	v_and_b32_e32 v124, 0xffff, v13
	v_mul_u32_u24_e32 v123, 0x10001, v123
	v_lshrrev_b32_e32 v13, 16, v13
	v_mul_u32_u24_e32 v12, 0x10001, v12
	v_and_b32_e32 v125, 0xffff, v15
	ds_load_2addr_b64 v[0:3], v115 offset0:128 offset1:160
	s_wait_dscnt 0x6
	v_pk_fma_f16 v76, v17, v123, v76
	v_pk_fma_f16 v77, v16, v123, v77
	v_mul_u32_u24_e32 v123, 0x10001, v124
	v_mul_u32_u24_e32 v13, 0x10001, v13
	v_pk_fma_f16 v17, v17, v12, v121
	v_pk_fma_f16 v12, v16, v12, v122
	v_lshrrev_b32_e32 v124, 16, v15
	v_pk_fma_f16 v76, v19, v123, v76
	v_pk_fma_f16 v77, v18, v123, v77
	v_lshrrev_b32_e32 v123, 16, v14
	v_pk_fma_f16 v122, v18, v13, v12
	v_and_b32_e32 v12, 0xffff, v14
	v_pk_fma_f16 v121, v19, v13, v17
	v_mul_u32_u24_e32 v125, 0x10001, v125
	v_mul_u32_u24_e32 v123, 0x10001, v123
	;; [unrolled: 1-line block ×4, first 2 shown]
	ds_load_b128 v[16:19], v97 offset:352
	ds_load_2addr_b64 v[8:11], v115 offset0:192 offset1:224
	s_wait_dscnt 0x7
	v_pk_fma_f16 v76, v21, v12, v76
	v_pk_fma_f16 v77, v20, v12, v77
	;; [unrolled: 1-line block ×4, first 2 shown]
	s_wait_dscnt 0x6
	v_and_b32_e32 v123, 0xffff, v24
	v_lshrrev_b32_e32 v24, 16, v24
	v_pk_fma_f16 v76, v23, v125, v76
	v_pk_fma_f16 v121, v23, v124, v21
	;; [unrolled: 1-line block ×4, first 2 shown]
	v_and_b32_e32 v124, 0xffff, v25
	v_mul_u32_u24_e32 v123, 0x10001, v123
	v_lshrrev_b32_e32 v25, 16, v25
	v_mul_u32_u24_e32 v24, 0x10001, v24
	v_and_b32_e32 v125, 0xffff, v27
	ds_load_2addr_b64 v[12:15], v116 offset1:32
	s_wait_dscnt 0x6
	v_pk_fma_f16 v76, v69, v123, v76
	v_pk_fma_f16 v77, v68, v123, v77
	v_mul_u32_u24_e32 v123, 0x10001, v124
	v_mul_u32_u24_e32 v25, 0x10001, v25
	v_pk_fma_f16 v69, v69, v24, v121
	v_pk_fma_f16 v24, v68, v24, v122
	v_lshrrev_b32_e32 v124, 16, v27
	v_pk_fma_f16 v76, v71, v123, v76
	v_pk_fma_f16 v77, v70, v123, v77
	v_lshrrev_b32_e32 v123, 16, v26
	v_pk_fma_f16 v122, v70, v25, v24
	v_and_b32_e32 v24, 0xffff, v26
	v_pk_fma_f16 v121, v71, v25, v69
	v_mul_u32_u24_e32 v125, 0x10001, v125
	v_mul_u32_u24_e32 v123, 0x10001, v123
	;; [unrolled: 1-line block ×4, first 2 shown]
	ds_load_2addr_b64 v[20:23], v116 offset0:64 offset1:96
	ds_load_b128 v[68:71], v97 offset:368
	s_wait_dscnt 0x7
	v_pk_fma_f16 v76, v73, v24, v76
	v_pk_fma_f16 v77, v72, v24, v77
	v_pk_fma_f16 v73, v73, v123, v121
	v_pk_fma_f16 v72, v72, v123, v122
	s_wait_dscnt 0x6
	v_and_b32_e32 v123, 0xffff, v4
	v_lshrrev_b32_e32 v4, 16, v4
	v_pk_fma_f16 v76, v75, v125, v76
	v_pk_fma_f16 v121, v75, v124, v73
	;; [unrolled: 1-line block ×4, first 2 shown]
	v_and_b32_e32 v124, 0xffff, v5
	v_mul_u32_u24_e32 v123, 0x10001, v123
	v_lshrrev_b32_e32 v5, 16, v5
	v_mul_u32_u24_e32 v4, 0x10001, v4
	ds_load_2addr_b64 v[24:27], v116 offset0:128 offset1:160
	ds_load_2addr_b64 v[72:75], v116 offset0:192 offset1:224
	s_wait_dscnt 0x7
	v_pk_fma_f16 v76, v1, v123, v76
	v_pk_fma_f16 v77, v0, v123, v77
	v_mul_u32_u24_e32 v123, 0x10001, v124
	v_mul_u32_u24_e32 v5, 0x10001, v5
	v_pk_fma_f16 v1, v1, v4, v121
	v_pk_fma_f16 v0, v0, v4, v122
	v_lshrrev_b32_e32 v122, 16, v6
	v_pk_fma_f16 v4, v3, v123, v76
	v_pk_fma_f16 v77, v2, v123, v77
	;; [unrolled: 1-line block ×4, first 2 shown]
	v_and_b32_e32 v5, 0xffff, v6
	v_lshrrev_b32_e32 v123, 16, v7
	v_mul_u32_u24_e32 v122, 0x10001, v122
	v_and_b32_e32 v124, 0xffff, v7
	ds_load_b128 v[0:3], v97 offset:384
	v_mul_u32_u24_e32 v5, 0x10001, v5
	v_mul_u32_u24_e32 v123, 0x10001, v123
	;; [unrolled: 1-line block ×3, first 2 shown]
	s_wait_dscnt 0x6
	s_delay_alu instid0(VALU_DEP_3)
	v_pk_fma_f16 v125, v9, v5, v4
	v_pk_fma_f16 v77, v8, v5, v77
	;; [unrolled: 1-line block ×4, first 2 shown]
	ds_load_2addr_b64 v[4:7], v117 offset1:32
	v_pk_fma_f16 v76, v11, v124, v125
	v_pk_fma_f16 v77, v10, v124, v77
	;; [unrolled: 1-line block ×4, first 2 shown]
	v_and_b32_e32 v123, 0xffff, v16
	v_lshrrev_b32_e32 v16, 16, v16
	v_and_b32_e32 v124, 0xffff, v17
	v_lshrrev_b32_e32 v17, 16, v17
	ds_load_2addr_b64 v[8:11], v117 offset0:64 offset1:96
	v_mul_u32_u24_e32 v123, 0x10001, v123
	v_mul_u32_u24_e32 v16, 0x10001, v16
	s_wait_dscnt 0x2
	v_lshrrev_b32_e32 v126, 16, v3
	v_mul_u32_u24_e32 v17, 0x10001, v17
	v_and_b32_e32 v3, 0xffff, v3
	v_pk_fma_f16 v76, v13, v123, v76
	v_pk_fma_f16 v77, v12, v123, v77
	v_mul_u32_u24_e32 v123, 0x10001, v124
	v_pk_fma_f16 v13, v13, v16, v121
	v_pk_fma_f16 v12, v12, v16, v122
	v_lshrrev_b32_e32 v122, 16, v18
	v_and_b32_e32 v124, 0xffff, v19
	v_pk_fma_f16 v16, v15, v123, v76
	v_pk_fma_f16 v76, v15, v17, v13
	;; [unrolled: 1-line block ×3, first 2 shown]
	v_and_b32_e32 v17, 0xffff, v18
	v_pk_fma_f16 v77, v14, v123, v77
	v_lshrrev_b32_e32 v123, 16, v19
	v_mul_u32_u24_e32 v122, 0x10001, v122
	v_mul_u32_u24_e32 v124, 0x10001, v124
	;; [unrolled: 1-line block ×3, first 2 shown]
	ds_load_b128 v[12:15], v97 offset:400
	v_mul_u32_u24_e32 v123, 0x10001, v123
	v_mul_u32_u24_e32 v3, 0x10001, v3
	v_pk_fma_f16 v125, v21, v17, v16
	v_pk_fma_f16 v77, v20, v17, v77
	;; [unrolled: 1-line block ×4, first 2 shown]
	ds_load_2addr_b64 v[16:19], v117 offset0:128 offset1:160
	v_pk_fma_f16 v76, v23, v124, v125
	v_pk_fma_f16 v77, v22, v124, v77
	;; [unrolled: 1-line block ×4, first 2 shown]
	v_and_b32_e32 v123, 0xffff, v68
	v_lshrrev_b32_e32 v68, 16, v68
	v_and_b32_e32 v124, 0xffff, v69
	v_lshrrev_b32_e32 v69, 16, v69
	ds_load_2addr_b64 v[20:23], v117 offset0:192 offset1:224
	v_mul_u32_u24_e32 v123, 0x10001, v123
	v_mul_u32_u24_e32 v68, 0x10001, v68
	v_mul_u32_u24_e32 v69, 0x10001, v69
	s_delay_alu instid0(VALU_DEP_3)
	v_pk_fma_f16 v76, v25, v123, v76
	v_pk_fma_f16 v77, v24, v123, v77
	v_mul_u32_u24_e32 v123, 0x10001, v124
	v_pk_fma_f16 v25, v25, v68, v121
	v_pk_fma_f16 v24, v24, v68, v122
	v_lshrrev_b32_e32 v122, 16, v70
	v_and_b32_e32 v124, 0xffff, v71
	v_pk_fma_f16 v68, v27, v123, v76
	v_pk_fma_f16 v76, v27, v69, v25
	v_pk_fma_f16 v121, v26, v69, v24
	v_and_b32_e32 v69, 0xffff, v70
	v_pk_fma_f16 v77, v26, v123, v77
	v_lshrrev_b32_e32 v123, 16, v71
	v_mul_u32_u24_e32 v122, 0x10001, v122
	v_mul_u32_u24_e32 v124, 0x10001, v124
	;; [unrolled: 1-line block ×3, first 2 shown]
	ds_load_b128 v[24:27], v97 offset:416
	v_mul_u32_u24_e32 v123, 0x10001, v123
	v_pk_fma_f16 v125, v73, v69, v68
	v_pk_fma_f16 v77, v72, v69, v77
	;; [unrolled: 1-line block ×4, first 2 shown]
	ds_load_2addr_b64 v[68:71], v118 offset1:32
	v_pk_fma_f16 v76, v75, v124, v125
	v_pk_fma_f16 v77, v74, v124, v77
	v_pk_fma_f16 v121, v75, v123, v73
	v_pk_fma_f16 v122, v74, v123, v72
	v_and_b32_e32 v123, 0xffff, v0
	v_lshrrev_b32_e32 v0, 16, v0
	v_and_b32_e32 v124, 0xffff, v1
	v_lshrrev_b32_e32 v1, 16, v1
	ds_load_2addr_b64 v[72:75], v118 offset0:64 offset1:96
	v_mul_u32_u24_e32 v123, 0x10001, v123
	v_mul_u32_u24_e32 v0, 0x10001, v0
	;; [unrolled: 1-line block ×3, first 2 shown]
	s_wait_dscnt 0x7
	s_delay_alu instid0(VALU_DEP_3) | instskip(NEXT) | instid1(VALU_DEP_3)
	v_pk_fma_f16 v76, v5, v123, v76
	v_pk_fma_f16 v5, v5, v0, v121
	;; [unrolled: 1-line block ×4, first 2 shown]
	v_mul_u32_u24_e32 v123, 0x10001, v124
	s_delay_alu instid0(VALU_DEP_4) | instskip(NEXT) | instid1(VALU_DEP_4)
	v_pk_fma_f16 v121, v7, v1, v5
	v_pk_fma_f16 v0, v6, v1, v0
	v_and_b32_e32 v1, 0xffff, v2
	s_delay_alu instid0(VALU_DEP_4)
	v_pk_fma_f16 v76, v7, v123, v76
	v_pk_fma_f16 v77, v6, v123, v77
	v_lshrrev_b32_e32 v2, 16, v2
	ds_load_b128 v[4:7], v97 offset:432
	v_mul_u32_u24_e32 v1, 0x10001, v1
	ds_load_2addr_b64 v[122:125], v118 offset0:128 offset1:160
	v_mul_u32_u24_e32 v2, 0x10001, v2
	s_wait_dscnt 0x8
	v_pk_fma_f16 v76, v9, v1, v76
	v_pk_fma_f16 v1, v8, v1, v77
	v_mul_u32_u24_e32 v77, 0x10001, v126
	v_pk_fma_f16 v9, v9, v2, v121
	v_pk_fma_f16 v0, v8, v2, v0
	;; [unrolled: 1-line block ×4, first 2 shown]
	s_wait_dscnt 0x7
	v_and_b32_e32 v3, 0xffff, v12
	v_pk_fma_f16 v8, v11, v77, v9
	v_lshrrev_b32_e32 v9, 16, v12
	v_pk_fma_f16 v0, v10, v77, v0
	v_and_b32_e32 v10, 0xffff, v13
	v_mul_u32_u24_e32 v3, 0x10001, v3
	v_and_b32_e32 v11, 0xffff, v15
	ds_load_2addr_b64 v[126:129], v118 offset0:192 offset1:224
	v_mul_u32_u24_e32 v10, 0x10001, v10
	s_wait_dscnt 0x7
	v_pk_fma_f16 v2, v17, v3, v2
	v_pk_fma_f16 v1, v16, v3, v1
	v_lshrrev_b32_e32 v3, 16, v13
	v_mul_u32_u24_e32 v9, 0x10001, v9
	s_delay_alu instid0(VALU_DEP_4) | instskip(NEXT) | instid1(VALU_DEP_4)
	v_pk_fma_f16 v2, v19, v10, v2
	v_pk_fma_f16 v1, v18, v10, v1
	s_delay_alu instid0(VALU_DEP_4) | instskip(NEXT) | instid1(VALU_DEP_4)
	v_mul_u32_u24_e32 v3, 0x10001, v3
	v_pk_fma_f16 v8, v17, v9, v8
	v_pk_fma_f16 v0, v16, v9, v0
	v_dual_lshrrev_b32 v9, 16, v14 :: v_dual_lshrrev_b32 v10, 16, v15
	s_delay_alu instid0(VALU_DEP_3) | instskip(NEXT) | instid1(VALU_DEP_3)
	v_pk_fma_f16 v8, v19, v3, v8
	v_pk_fma_f16 v0, v18, v3, v0
	v_and_b32_e32 v3, 0xffff, v14
	s_delay_alu instid0(VALU_DEP_4)
	v_mul_u32_u24_e32 v10, 0x10001, v10
	ds_load_b128 v[16:19], v97 offset:448
	ds_load_2addr_b64 v[12:15], v119 offset1:32
	s_wait_dscnt 0x4
	v_dual_lshrrev_b32 v76, 16, v6 :: v_dual_lshrrev_b32 v77, 16, v7
	v_mul_u32_u24_e32 v3, 0x10001, v3
	v_and_b32_e32 v121, 0xffff, v7
	s_delay_alu instid0(VALU_DEP_3) | instskip(NEXT) | instid1(VALU_DEP_3)
	v_mul_u32_u24_e32 v76, 0x10001, v76
	v_pk_fma_f16 v2, v21, v3, v2
	v_pk_fma_f16 v1, v20, v3, v1
	v_mul_u32_u24_e32 v3, 0x10001, v9
	v_mul_u32_u24_e32 v9, 0x10001, v11
	;; [unrolled: 1-line block ×3, first 2 shown]
	s_delay_alu instid0(VALU_DEP_3)
	v_pk_fma_f16 v0, v20, v3, v0
	v_and_b32_e32 v20, 0xffff, v24
	v_pk_fma_f16 v8, v21, v3, v8
	v_pk_fma_f16 v2, v23, v9, v2
	;; [unrolled: 1-line block ×3, first 2 shown]
	v_lshrrev_b32_e32 v21, 16, v24
	v_mul_u32_u24_e32 v20, 0x10001, v20
	v_pk_fma_f16 v3, v23, v10, v8
	v_pk_fma_f16 v0, v22, v10, v0
	v_and_b32_e32 v22, 0xffff, v25
	v_and_b32_e32 v24, 0xffff, v26
	v_pk_fma_f16 v2, v69, v20, v2
	v_pk_fma_f16 v1, v68, v20, v1
	v_lshrrev_b32_e32 v20, 16, v25
	v_mul_u32_u24_e32 v21, 0x10001, v21
	v_mul_u32_u24_e32 v22, 0x10001, v22
	;; [unrolled: 1-line block ×3, first 2 shown]
	ds_load_2addr_b64 v[8:11], v119 offset0:64 offset1:96
	v_mul_u32_u24_e32 v20, 0x10001, v20
	v_pk_fma_f16 v3, v69, v21, v3
	v_pk_fma_f16 v0, v68, v21, v0
	v_dual_lshrrev_b32 v68, 16, v26 :: v_dual_lshrrev_b32 v69, 16, v27
	v_pk_fma_f16 v1, v70, v22, v1
	s_delay_alu instid0(VALU_DEP_4) | instskip(NEXT) | instid1(VALU_DEP_4)
	v_pk_fma_f16 v3, v71, v20, v3
	v_pk_fma_f16 v0, v70, v20, v0
	s_delay_alu instid0(VALU_DEP_4)
	v_mul_u32_u24_e32 v68, 0x10001, v68
	v_pk_fma_f16 v2, v71, v22, v2
	v_and_b32_e32 v70, 0xffff, v27
	v_pk_fma_f16 v1, v72, v24, v1
	v_mul_u32_u24_e32 v69, 0x10001, v69
	v_pk_fma_f16 v3, v73, v68, v3
	v_pk_fma_f16 v0, v72, v68, v0
	v_and_b32_e32 v72, 0xffff, v4
	v_lshrrev_b32_e32 v4, 16, v4
	v_pk_fma_f16 v2, v73, v24, v2
	v_mul_u32_u24_e32 v70, 0x10001, v70
	v_pk_fma_f16 v71, v75, v69, v3
	v_pk_fma_f16 v69, v74, v69, v0
	v_and_b32_e32 v73, 0xffff, v5
	v_lshrrev_b32_e32 v5, 16, v5
	v_mul_u32_u24_e32 v4, 0x10001, v4
	v_pk_fma_f16 v68, v75, v70, v2
	v_pk_fma_f16 v70, v74, v70, v1
	v_mul_u32_u24_e32 v72, 0x10001, v72
	v_mul_u32_u24_e32 v5, 0x10001, v5
	s_wait_dscnt 0x4
	v_pk_fma_f16 v71, v123, v4, v71
	v_pk_fma_f16 v4, v122, v4, v69
	ds_load_b128 v[20:23], v97 offset:464
	v_pk_fma_f16 v68, v123, v72, v68
	v_pk_fma_f16 v70, v122, v72, v70
	v_mul_u32_u24_e32 v72, 0x10001, v73
	v_pk_fma_f16 v75, v124, v5, v4
	v_and_b32_e32 v4, 0xffff, v6
	v_pk_fma_f16 v74, v125, v5, v71
	s_wait_dscnt 0x3
	v_lshrrev_b32_e32 v122, 16, v17
	v_pk_fma_f16 v73, v125, v72, v68
	v_pk_fma_f16 v72, v124, v72, v70
	v_mul_u32_u24_e32 v4, 0x10001, v4
	v_pk_fma_f16 v74, v127, v76, v74
	v_pk_fma_f16 v75, v126, v76, v75
	v_and_b32_e32 v76, 0xffff, v16
	v_and_b32_e32 v123, 0xffff, v18
	v_pk_fma_f16 v73, v127, v4, v73
	v_pk_fma_f16 v72, v126, v4, v72
	v_dual_lshrrev_b32 v124, 16, v18 :: v_dual_lshrrev_b32 v125, 16, v19
	ds_load_2addr_b64 v[24:27], v119 offset0:128 offset1:160
	v_pk_fma_f16 v73, v129, v121, v73
	v_pk_fma_f16 v72, v128, v121, v72
	v_lshrrev_b32_e32 v121, 16, v16
	v_mul_u32_u24_e32 v16, 0x10001, v77
	v_and_b32_e32 v77, 0xffff, v17
	v_and_b32_e32 v126, 0xffff, v19
	ds_load_b128 v[68:71], v97 offset:480
	ds_load_2addr_b64 v[0:3], v119 offset0:192 offset1:224
	v_pk_fma_f16 v74, v129, v16, v74
	v_pk_fma_f16 v75, v128, v16, v75
	v_mul_u32_u24_e32 v16, 0x10001, v76
	v_mul_u32_u24_e32 v76, 0x10001, v121
	ds_load_2addr_b64 v[4:7], v120 offset1:32
	s_wait_dscnt 0x4
	v_and_b32_e32 v121, 0xffff, v22
	v_lshrrev_b32_e32 v22, 16, v22
	v_pk_fma_f16 v73, v13, v16, v73
	v_pk_fma_f16 v72, v12, v16, v72
	;; [unrolled: 1-line block ×3, first 2 shown]
	v_mul_u32_u24_e32 v75, 0x10001, v77
	v_pk_fma_f16 v13, v13, v76, v74
	v_and_b32_e32 v74, 0xffff, v20
	v_lshrrev_b32_e32 v20, 16, v20
	v_and_b32_e32 v77, 0xffff, v21
	v_pk_fma_f16 v73, v15, v75, v73
	v_pk_fma_f16 v72, v14, v75, v72
	v_mul_u32_u24_e32 v75, 0x10001, v122
	v_lshrrev_b32_e32 v21, 16, v21
	v_mul_u32_u24_e32 v20, 0x10001, v20
	v_lshrrev_b32_e32 v122, 16, v23
	v_and_b32_e32 v23, 0xffff, v23
	v_pk_fma_f16 v76, v15, v75, v13
	v_pk_fma_f16 v75, v14, v75, v12
	v_mul_u32_u24_e32 v12, 0x10001, v123
	v_mul_u32_u24_e32 v123, 0x10001, v124
	;; [unrolled: 1-line block ×3, first 2 shown]
	ds_load_2addr_b64 v[16:19], v120 offset0:64 offset1:96
	v_mul_u32_u24_e32 v23, 0x10001, v23
	v_pk_fma_f16 v73, v9, v12, v73
	v_pk_fma_f16 v72, v8, v12, v72
	ds_load_b128 v[12:15], v97 offset:496
	v_pk_fma_f16 v9, v9, v123, v76
	v_mul_u32_u24_e32 v76, 0x10001, v126
	v_pk_fma_f16 v8, v8, v123, v75
	s_wait_dscnt 0x4
	v_and_b32_e32 v75, 0xffff, v68
	v_lshrrev_b32_e32 v68, 16, v68
	v_and_b32_e32 v124, 0xffff, v69
	v_pk_fma_f16 v73, v11, v76, v73
	v_pk_fma_f16 v72, v10, v76, v72
	v_mul_u32_u24_e32 v76, 0x10001, v125
	v_lshrrev_b32_e32 v69, 16, v69
	v_mul_u32_u24_e32 v75, 0x10001, v75
	v_mul_u32_u24_e32 v68, 0x10001, v68
	v_and_b32_e32 v125, 0xffff, v70
	v_pk_fma_f16 v123, v11, v76, v9
	v_pk_fma_f16 v76, v10, v76, v8
	v_mul_u32_u24_e32 v8, 0x10001, v74
	v_mul_u32_u24_e32 v74, 0x10001, v77
	v_dual_lshrrev_b32 v70, 16, v70 :: v_dual_lshrrev_b32 v126, 16, v71
	v_mul_u32_u24_e32 v69, 0x10001, v69
	s_delay_alu instid0(VALU_DEP_4)
	v_pk_fma_f16 v73, v25, v8, v73
	v_pk_fma_f16 v72, v24, v8, v72
	;; [unrolled: 1-line block ×4, first 2 shown]
	s_wait_dscnt 0x0
	v_and_b32_e32 v24, 0xffff, v12
	v_pk_fma_f16 v73, v27, v74, v73
	v_pk_fma_f16 v72, v26, v74, v72
	v_lshrrev_b32_e32 v74, 16, v12
	v_mul_u32_u24_e32 v12, 0x10001, v21
	ds_load_2addr_b64 v[8:11], v120 offset0:128 offset1:160
	v_and_b32_e32 v71, 0xffff, v71
	v_mul_u32_u24_e32 v70, 0x10001, v70
	v_dual_lshrrev_b32 v76, 16, v14 :: v_dual_lshrrev_b32 v77, 16, v15
	v_pk_fma_f16 v21, v27, v12, v25
	v_pk_fma_f16 v20, v26, v12, v20
	v_mul_u32_u24_e32 v12, 0x10001, v121
	v_mul_u32_u24_e32 v121, 0x10001, v122
	;; [unrolled: 1-line block ×4, first 2 shown]
	v_and_b32_e32 v25, 0xffff, v13
	v_pk_fma_f16 v73, v1, v12, v73
	v_pk_fma_f16 v72, v0, v12, v72
	;; [unrolled: 1-line block ×4, first 2 shown]
	v_lshrrev_b32_e32 v26, 16, v13
	v_pk_fma_f16 v21, v3, v23, v73
	v_and_b32_e32 v27, 0xffff, v14
	v_pk_fma_f16 v1, v3, v121, v1
	v_pk_fma_f16 v3, v2, v23, v72
	v_pk_fma_f16 v0, v2, v121, v0
	v_pk_fma_f16 v21, v5, v75, v21
	v_and_b32_e32 v123, 0xffff, v15
	v_pk_fma_f16 v1, v5, v68, v1
	v_pk_fma_f16 v3, v4, v75, v3
	;; [unrolled: 1-line block ×4, first 2 shown]
	ds_load_2addr_b64 v[12:15], v120 offset0:192 offset1:224
	v_pk_fma_f16 v1, v7, v69, v1
	v_pk_fma_f16 v3, v6, v122, v3
	;; [unrolled: 1-line block ×3, first 2 shown]
	v_mul_u32_u24_e32 v71, 0x10001, v71
	v_mul_u32_u24_e32 v125, 0x10001, v126
	v_pk_fma_f16 v5, v17, v124, v5
	v_pk_fma_f16 v1, v17, v70, v1
	;; [unrolled: 1-line block ×4, first 2 shown]
	s_wait_dscnt 0x0
	s_barrier_signal -1
	s_barrier_wait -1
	s_load_b32 s2, s[36:37], 0x4
	v_mul_u32_u24_e32 v20, 0x10001, v24
	v_mul_u32_u24_e32 v2, 0x10001, v74
	v_pk_fma_f16 v5, v19, v71, v5
	v_pk_fma_f16 v1, v19, v125, v1
	v_pk_fma_f16 v3, v18, v71, v3
	v_pk_fma_f16 v0, v18, v125, v0
	v_mul_u32_u24_e32 v4, 0x10001, v25
	v_mul_u32_u24_e32 v6, 0x10001, v26
	v_pk_fma_f16 v5, v9, v20, v5
	v_pk_fma_f16 v1, v9, v2, v1
	v_pk_fma_f16 v3, v8, v20, v3
	v_pk_fma_f16 v0, v8, v2, v0
	;; [unrolled: 6-line block ×4, first 2 shown]
	s_wait_kmcnt 0x0
	s_lshl_b32 s2, s2, 7
	v_pk_fma_f16 v124, v15, v2, v5
	v_pk_fma_f16 v121, v15, v4, v1
	;; [unrolled: 1-line block ×4, first 2 shown]
	s_add_co_i32 s10, s2, s10
	s_delay_alu instid0(SALU_CYCLE_1)
	s_cmp_ge_i32 s10, s30
	s_cbranch_scc0 .LBB24_9
; %bb.10:
	v_mov_b32_e32 v3, v81
.LBB24_11:
	v_cmp_lt_i32_e32 vcc_lo, v90, v82
	s_cmp_lg_u64 s[12:13], 0
	s_cselect_b32 s2, -1, 0
	s_cmp_eq_u32 s31, 0
	v_cndmask_b32_e32 v0, v3, v90, vcc_lo
	v_cmp_lt_i32_e32 vcc_lo, v87, v82
	s_cselect_b32 s3, -1, 0
	s_delay_alu instid0(SALU_CYCLE_1) | instskip(NEXT) | instid1(VALU_DEP_2)
	s_and_b32 s2, s3, s2
	v_dual_cndmask_b32 v2, v3, v87 :: v_dual_lshlrev_b32 v1, 2, v0
	v_cmp_lt_i32_e32 vcc_lo, v86, v82
	s_delay_alu instid0(VALU_DEP_2)
	v_lshlrev_b32_e32 v2, 2, v2
	ds_bpermute_b32 v0, v1, v54
	ds_bpermute_b32 v1, v1, v55
	s_wait_dscnt 0x0
	v_pk_add_f32 v[0:1], v[54:55], v[0:1]
	ds_bpermute_b32 v4, v2, v0
	ds_bpermute_b32 v5, v2, v1
	v_cndmask_b32_e32 v2, v3, v86, vcc_lo
	v_cmp_lt_i32_e32 vcc_lo, v85, v82
	s_delay_alu instid0(VALU_DEP_2)
	v_lshlrev_b32_e32 v2, 2, v2
	s_wait_dscnt 0x0
	v_pk_add_f32 v[0:1], v[0:1], v[4:5]
	ds_bpermute_b32 v4, v2, v0
	ds_bpermute_b32 v5, v2, v1
	v_cndmask_b32_e32 v2, v3, v85, vcc_lo
	v_cmp_lt_i32_e32 vcc_lo, v83, v82
	s_delay_alu instid0(VALU_DEP_2)
	v_lshlrev_b32_e32 v2, 2, v2
	s_wait_dscnt 0x0
	v_pk_add_f32 v[0:1], v[0:1], v[4:5]
	ds_bpermute_b32 v4, v2, v0
	ds_bpermute_b32 v5, v2, v1
	v_cndmask_b32_e32 v2, v3, v83, vcc_lo
	s_and_b32 vcc_lo, exec_lo, s2
	s_delay_alu instid0(VALU_DEP_1)
	v_lshlrev_b32_e32 v3, 2, v2
	s_wait_dscnt 0x0
	v_pk_add_f32 v[0:1], v[0:1], v[4:5]
	ds_bpermute_b32 v2, v3, v0
	ds_bpermute_b32 v3, v3, v1
	s_wait_dscnt 0x0
	v_pk_add_f32 v[0:1], v[0:1], v[2:3]
	v_add_nc_u32_e32 v2, s33, v28
	s_cbranch_vccz .LBB24_13
; %bb.12:
	s_delay_alu instid0(VALU_DEP_1) | instskip(NEXT) | instid1(VALU_DEP_1)
	v_dual_ashrrev_i32 v3, 31, v2 :: v_dual_max_num_f32 v7, v67, v67
	v_lshl_add_u64 v[4:5], v[2:3], 2, s[12:13]
	v_max_num_f32_e32 v3, v66, v66
	global_load_b64 v[4:5], v[4:5], off
	s_wait_loadcnt 0x0
	v_dual_max_num_f32 v6, v4, v4 :: v_dual_max_num_f32 v8, v5, v5
	s_delay_alu instid0(VALU_DEP_1) | instskip(NEXT) | instid1(VALU_DEP_1)
	v_max_num_f32_e32 v6, v3, v6
	v_dual_max_num_f32 v7, v7, v8 :: v_dual_sub_f32 v3, v66, v6
	s_delay_alu instid0(VALU_DEP_1) | instskip(SKIP_2) | instid1(VALU_DEP_3)
	v_dual_sub_f32 v8, v4, v6 :: v_dual_sub_f32 v9, v67, v7
	v_sub_f32_e32 v10, v5, v7
	v_mov_b64_e32 v[66:67], v[6:7]
	v_dual_mul_f32 v4, 0x3fb8aa3b, v3 :: v_dual_mul_f32 v5, 0x3fb8aa3b, v8
	s_delay_alu instid0(VALU_DEP_4) | instskip(SKIP_1) | instid1(VALU_DEP_3)
	v_mul_f32_e32 v11, 0x3fb8aa3b, v9
	v_cmp_ngt_f32_e32 vcc_lo, 0xc2ce8ed0, v3
	v_fma_f32 v13, 0x3fb8aa3b, v3, -v4
	v_rndne_f32_e32 v14, v4
	s_delay_alu instid0(VALU_DEP_4) | instskip(SKIP_2) | instid1(VALU_DEP_4)
	v_rndne_f32_e32 v18, v11
	v_fma_f32 v17, 0x3fb8aa3b, v9, -v11
	v_rndne_f32_e32 v16, v5
	v_dual_fmac_f32 v13, 0x32a5705f, v3 :: v_dual_sub_f32 v4, v4, v14
	s_delay_alu instid0(VALU_DEP_4) | instskip(SKIP_4) | instid1(VALU_DEP_4)
	v_sub_f32_e32 v11, v11, v18
	v_mul_f32_e32 v12, 0x3fb8aa3b, v10
	v_fma_f32 v15, 0x3fb8aa3b, v8, -v5
	v_cvt_i32_f32_e32 v14, v14
	v_dual_add_f32 v4, v4, v13 :: v_dual_sub_f32 v5, v5, v16
	v_fma_f32 v19, 0x3fb8aa3b, v10, -v12
	v_rndne_f32_e32 v20, v12
	v_fmac_f32_e32 v17, 0x32a5705f, v9
	s_delay_alu instid0(VALU_DEP_4) | instskip(SKIP_1) | instid1(VALU_DEP_3)
	v_exp_f32_e32 v4, v4
	v_cvt_i32_f32_e32 v13, v16
	v_sub_f32_e32 v12, v12, v20
	v_cvt_i32_f32_e32 v16, v20
	s_delay_alu instid0(TRANS32_DEP_1) | instskip(NEXT) | instid1(VALU_DEP_1)
	v_ldexp_f32 v4, v4, v14
	v_dual_fmac_f32 v19, 0x32a5705f, v10 :: v_dual_cndmask_b32 v4, 0, v4
	s_delay_alu instid0(VALU_DEP_1) | instskip(SKIP_2) | instid1(VALU_DEP_3)
	v_dual_fmac_f32 v15, 0x32a5705f, v8 :: v_dual_add_f32 v12, v12, v19
	v_add_f32_e32 v11, v11, v17
	v_cmp_ngt_f32_e32 vcc_lo, 0xc2ce8ed0, v9
	v_add_f32_e32 v5, v5, v15
	v_cvt_i32_f32_e32 v15, v18
	s_delay_alu instid0(VALU_DEP_4) | instskip(SKIP_1) | instid1(VALU_DEP_2)
	v_exp_f32_e32 v11, v11
	v_exp_f32_e32 v12, v12
	;; [unrolled: 1-line block ×3, first 2 shown]
	s_delay_alu instid0(TRANS32_DEP_3) | instskip(NEXT) | instid1(VALU_DEP_1)
	v_ldexp_f32 v11, v11, v15
	v_cndmask_b32_e32 v11, 0, v11, vcc_lo
	v_cmp_nlt_f32_e32 vcc_lo, 0x42b17218, v3
	s_delay_alu instid0(TRANS32_DEP_1)
	v_ldexp_f32 v3, v5, v13
	v_cndmask_b32_e32 v4, 0x7f800000, v4, vcc_lo
	v_cmp_nlt_f32_e32 vcc_lo, 0x42b17218, v9
	v_ldexp_f32 v9, v12, v16
	v_cndmask_b32_e32 v5, 0x7f800000, v11, vcc_lo
	v_cmp_ngt_f32_e32 vcc_lo, 0xc2ce8ed0, v8
	v_cvt_f16_f32_e32 v11, v4
	s_delay_alu instid0(VALU_DEP_3) | instskip(SKIP_2) | instid1(VALU_DEP_4)
	v_cvt_f16_f32_e32 v12, v5
	v_cndmask_b32_e32 v3, 0, v3, vcc_lo
	v_cmp_ngt_f32_e32 vcc_lo, 0xc2ce8ed0, v10
	v_and_b32_e32 v11, 0xffff, v11
	v_cndmask_b32_e32 v9, 0, v9, vcc_lo
	v_cmp_nlt_f32_e32 vcc_lo, 0x42b17218, v8
	v_cndmask_b32_e32 v8, 0x7f800000, v3, vcc_lo
	v_and_b32_e32 v3, 0xffff, v12
	v_cmp_nlt_f32_e32 vcc_lo, 0x42b17218, v10
	v_mul_u32_u24_e32 v10, 0x10001, v11
	s_delay_alu instid0(VALU_DEP_3) | instskip(SKIP_1) | instid1(VALU_DEP_3)
	v_mul_u32_u24_e32 v3, 0x10001, v3
	v_cndmask_b32_e32 v9, 0x7f800000, v9, vcc_lo
	v_pk_mul_f16 v123, v123, v10
	v_pk_mul_f16 v124, v124, v10
	s_delay_alu instid0(VALU_DEP_4) | instskip(NEXT) | instid1(VALU_DEP_4)
	v_pk_mul_f16 v122, v122, v3
	v_pk_fma_f32 v[0:1], v[0:1], v[4:5], v[8:9]
	v_pk_mul_f16 v121, v121, v3
.LBB24_13:
	s_mov_b32 s2, exec_lo
	v_cmpx_gt_i32_e64 s22, v78
	s_cbranch_execz .LBB24_22
; %bb.14:
	s_load_b32 s0, s[0:1], 0xd4
	v_mov_b32_e32 v4, 1.0
	s_wait_kmcnt 0x0
	s_cmp_lg_u32 s0, 1
	s_cselect_b32 s2, -1, 0
	s_cmp_eq_u32 s0, 1
	s_cselect_b32 s1, -1, 0
	s_and_b32 vcc_lo, exec_lo, s2
	s_cbranch_vccnz .LBB24_16
; %bb.15:
	v_div_scale_f32 v3, null, v0, v0, 1.0
	s_delay_alu instid0(VALU_DEP_1) | instskip(SKIP_1) | instid1(TRANS32_DEP_1)
	v_rcp_f32_e32 v4, v3
	v_nop
	v_fma_f32 v5, -v3, v4, 1.0
	s_delay_alu instid0(VALU_DEP_1) | instskip(SKIP_1) | instid1(VALU_DEP_1)
	v_fmac_f32_e32 v4, v5, v4
	v_div_scale_f32 v5, vcc_lo, 1.0, v0, 1.0
	v_mul_f32_e32 v6, v5, v4
	s_delay_alu instid0(VALU_DEP_1) | instskip(NEXT) | instid1(VALU_DEP_1)
	v_fma_f32 v7, -v3, v6, v5
	v_fmac_f32_e32 v6, v7, v4
	s_delay_alu instid0(VALU_DEP_1) | instskip(NEXT) | instid1(VALU_DEP_1)
	v_fma_f32 v3, -v3, v6, v5
	v_div_fmas_f32 v3, v3, v4, v6
	s_delay_alu instid0(VALU_DEP_1)
	v_div_fixup_f32 v4, v3, v0, 1.0
.LBB24_16:
	v_mad_u32 v3, s28, s22, v78
	v_lshrrev_b32_e32 v5, 16, v124
	v_cvt_f32_f16_e32 v6, v123
	v_cvt_f32_f16_e32 v10, v124
	v_cmp_eq_u32_e32 vcc_lo, 0, v29
	v_mov_b32_e32 v9, 0
	v_cvt_f32_f16_e32 v11, v5
	s_and_b32 s2, vcc_lo, s2
	v_mad_u32 v2, v3, s23, v2
	v_lshrrev_b32_e32 v3, 16, v123
	s_delay_alu instid0(VALU_DEP_1) | instskip(NEXT) | instid1(VALU_DEP_1)
	v_cvt_f32_f16_e32 v7, v3
	v_pk_mul_f32 v[6:7], v[4:5], v[6:7] op_sel_hi:[0,1]
	s_delay_alu instid0(VALU_DEP_4) | instskip(NEXT) | instid1(VALU_DEP_1)
	v_mad_u32 v2, s0, v2, s31
	v_lshl_add_u32 v8, v2, 7, v79
	s_delay_alu instid0(VALU_DEP_1)
	v_lshl_add_u64 v[12:13], v[8:9], 2, s[16:17]
	v_pk_mul_f32 v[8:9], v[4:5], v[10:11] op_sel_hi:[0,1]
	global_store_b128 v[12:13], v[6:9], off
	s_wait_xcnt 0x0
	s_and_saveexec_b32 s3, s2
	s_cbranch_execz .LBB24_18
; %bb.17:
	v_dual_mov_b32 v4, v66 :: v_dual_mov_b32 v5, v0
	global_store_b64 v2, v[4:5], s[18:19] scale_offset
.LBB24_18:
	s_wait_xcnt 0x0
	s_or_b32 exec_lo, exec_lo, s3
	v_mov_b32_e32 v0, 1.0
	s_and_not1_b32 vcc_lo, exec_lo, s1
	s_cbranch_vccnz .LBB24_20
; %bb.19:
	v_div_scale_f32 v0, null, v1, v1, 1.0
	s_delay_alu instid0(VALU_DEP_1) | instskip(SKIP_1) | instid1(TRANS32_DEP_1)
	v_rcp_f32_e32 v3, v0
	v_nop
	v_fma_f32 v4, -v0, v3, 1.0
	s_delay_alu instid0(VALU_DEP_1) | instskip(SKIP_1) | instid1(VALU_DEP_1)
	v_fmac_f32_e32 v3, v4, v3
	v_div_scale_f32 v4, vcc_lo, 1.0, v1, 1.0
	v_mul_f32_e32 v5, v4, v3
	s_delay_alu instid0(VALU_DEP_1) | instskip(NEXT) | instid1(VALU_DEP_1)
	v_fma_f32 v6, -v0, v5, v4
	v_fmac_f32_e32 v5, v6, v3
	s_delay_alu instid0(VALU_DEP_1) | instskip(NEXT) | instid1(VALU_DEP_1)
	v_fma_f32 v0, -v0, v5, v4
	v_div_fmas_f32 v0, v0, v3, v5
	s_delay_alu instid0(VALU_DEP_1)
	v_div_fixup_f32 v0, v0, v1, 1.0
.LBB24_20:
	v_dual_mov_b32 v5, 0 :: v_dual_add_nc_u32 v2, s0, v2
	v_dual_lshrrev_b32 v3, 16, v122 :: v_dual_lshrrev_b32 v9, 16, v121
	v_cvt_f32_f16_e32 v6, v122
	s_delay_alu instid0(VALU_DEP_3) | instskip(SKIP_1) | instid1(VALU_DEP_4)
	v_lshl_add_u32 v4, v2, 7, v79
	v_cvt_f32_f16_e32 v8, v121
	v_cvt_f32_f16_e32 v7, v3
	;; [unrolled: 1-line block ×3, first 2 shown]
	s_delay_alu instid0(VALU_DEP_4) | instskip(NEXT) | instid1(VALU_DEP_3)
	v_lshl_add_u64 v[10:11], v[4:5], 2, s[16:17]
	v_pk_mul_f32 v[4:5], v[0:1], v[6:7] op_sel_hi:[0,1]
	s_delay_alu instid0(VALU_DEP_3)
	v_pk_mul_f32 v[6:7], v[0:1], v[8:9] op_sel_hi:[0,1]
	global_store_b128 v[10:11], v[4:7], off
	s_wait_xcnt 0x0
	s_and_b32 exec_lo, exec_lo, s2
	s_cbranch_execz .LBB24_22
; %bb.21:
	v_mov_b32_e32 v0, v67
	global_store_b64 v2, v[0:1], s[18:19] scale_offset
.LBB24_22:
	s_sendmsg sendmsg(MSG_DEALLOC_VGPRS)
	s_endpgm
	.section	.rodata,"a",@progbits
	.p2align	6, 0x0
	.amdhsa_kernel _ZL15flash_attn_tileILi128ELi128ELi4ELi4ELb0EEvPKcS1_S1_S1_S1_PKiPfP15HIP_vector_typeIfLj2EEffffjfiS5_IjLj3EEiiiiiiiiiiiliiliiiiil
		.amdhsa_group_segment_fixed_size 43008
		.amdhsa_private_segment_fixed_size 0
		.amdhsa_kernarg_size 464
		.amdhsa_user_sgpr_count 2
		.amdhsa_user_sgpr_dispatch_ptr 0
		.amdhsa_user_sgpr_queue_ptr 0
		.amdhsa_user_sgpr_kernarg_segment_ptr 1
		.amdhsa_user_sgpr_dispatch_id 0
		.amdhsa_user_sgpr_kernarg_preload_length 0
		.amdhsa_user_sgpr_kernarg_preload_offset 0
		.amdhsa_user_sgpr_private_segment_size 0
		.amdhsa_wavefront_size32 1
		.amdhsa_uses_dynamic_stack 0
		.amdhsa_enable_private_segment 0
		.amdhsa_system_sgpr_workgroup_id_x 1
		.amdhsa_system_sgpr_workgroup_id_y 1
		.amdhsa_system_sgpr_workgroup_id_z 1
		.amdhsa_system_sgpr_workgroup_info 0
		.amdhsa_system_vgpr_workitem_id 1
		.amdhsa_next_free_vgpr 138
		.amdhsa_next_free_sgpr 42
		.amdhsa_named_barrier_count 0
		.amdhsa_reserve_vcc 1
		.amdhsa_float_round_mode_32 0
		.amdhsa_float_round_mode_16_64 0
		.amdhsa_float_denorm_mode_32 3
		.amdhsa_float_denorm_mode_16_64 3
		.amdhsa_fp16_overflow 0
		.amdhsa_memory_ordered 1
		.amdhsa_forward_progress 1
		.amdhsa_inst_pref_size 125
		.amdhsa_round_robin_scheduling 0
		.amdhsa_exception_fp_ieee_invalid_op 0
		.amdhsa_exception_fp_denorm_src 0
		.amdhsa_exception_fp_ieee_div_zero 0
		.amdhsa_exception_fp_ieee_overflow 0
		.amdhsa_exception_fp_ieee_underflow 0
		.amdhsa_exception_fp_ieee_inexact 0
		.amdhsa_exception_int_div_zero 0
	.end_amdhsa_kernel
	.section	.text._ZL15flash_attn_tileILi128ELi128ELi4ELi4ELb0EEvPKcS1_S1_S1_S1_PKiPfP15HIP_vector_typeIfLj2EEffffjfiS5_IjLj3EEiiiiiiiiiiiliiliiiiil,"axG",@progbits,_ZL15flash_attn_tileILi128ELi128ELi4ELi4ELb0EEvPKcS1_S1_S1_S1_PKiPfP15HIP_vector_typeIfLj2EEffffjfiS5_IjLj3EEiiiiiiiiiiiliiliiiiil,comdat
.Lfunc_end24:
	.size	_ZL15flash_attn_tileILi128ELi128ELi4ELi4ELb0EEvPKcS1_S1_S1_S1_PKiPfP15HIP_vector_typeIfLj2EEffffjfiS5_IjLj3EEiiiiiiiiiiiliiliiiiil, .Lfunc_end24-_ZL15flash_attn_tileILi128ELi128ELi4ELi4ELb0EEvPKcS1_S1_S1_S1_PKiPfP15HIP_vector_typeIfLj2EEffffjfiS5_IjLj3EEiiiiiiiiiiiliiliiiiil
                                        ; -- End function
	.set _ZL15flash_attn_tileILi128ELi128ELi4ELi4ELb0EEvPKcS1_S1_S1_S1_PKiPfP15HIP_vector_typeIfLj2EEffffjfiS5_IjLj3EEiiiiiiiiiiiliiliiiiil.num_vgpr, 138
	.set _ZL15flash_attn_tileILi128ELi128ELi4ELi4ELb0EEvPKcS1_S1_S1_S1_PKiPfP15HIP_vector_typeIfLj2EEffffjfiS5_IjLj3EEiiiiiiiiiiiliiliiiiil.num_agpr, 0
	.set _ZL15flash_attn_tileILi128ELi128ELi4ELi4ELb0EEvPKcS1_S1_S1_S1_PKiPfP15HIP_vector_typeIfLj2EEffffjfiS5_IjLj3EEiiiiiiiiiiiliiliiiiil.numbered_sgpr, 42
	.set _ZL15flash_attn_tileILi128ELi128ELi4ELi4ELb0EEvPKcS1_S1_S1_S1_PKiPfP15HIP_vector_typeIfLj2EEffffjfiS5_IjLj3EEiiiiiiiiiiiliiliiiiil.num_named_barrier, 0
	.set _ZL15flash_attn_tileILi128ELi128ELi4ELi4ELb0EEvPKcS1_S1_S1_S1_PKiPfP15HIP_vector_typeIfLj2EEffffjfiS5_IjLj3EEiiiiiiiiiiiliiliiiiil.private_seg_size, 0
	.set _ZL15flash_attn_tileILi128ELi128ELi4ELi4ELb0EEvPKcS1_S1_S1_S1_PKiPfP15HIP_vector_typeIfLj2EEffffjfiS5_IjLj3EEiiiiiiiiiiiliiliiiiil.uses_vcc, 1
	.set _ZL15flash_attn_tileILi128ELi128ELi4ELi4ELb0EEvPKcS1_S1_S1_S1_PKiPfP15HIP_vector_typeIfLj2EEffffjfiS5_IjLj3EEiiiiiiiiiiiliiliiiiil.uses_flat_scratch, 0
	.set _ZL15flash_attn_tileILi128ELi128ELi4ELi4ELb0EEvPKcS1_S1_S1_S1_PKiPfP15HIP_vector_typeIfLj2EEffffjfiS5_IjLj3EEiiiiiiiiiiiliiliiiiil.has_dyn_sized_stack, 0
	.set _ZL15flash_attn_tileILi128ELi128ELi4ELi4ELb0EEvPKcS1_S1_S1_S1_PKiPfP15HIP_vector_typeIfLj2EEffffjfiS5_IjLj3EEiiiiiiiiiiiliiliiiiil.has_recursion, 0
	.set _ZL15flash_attn_tileILi128ELi128ELi4ELi4ELb0EEvPKcS1_S1_S1_S1_PKiPfP15HIP_vector_typeIfLj2EEffffjfiS5_IjLj3EEiiiiiiiiiiiliiliiiiil.has_indirect_call, 0
	.section	.AMDGPU.csdata,"",@progbits
; Kernel info:
; codeLenInByte = 15988
; TotalNumSgprs: 44
; NumVgprs: 138
; ScratchSize: 0
; MemoryBound: 0
; FloatMode: 240
; IeeeMode: 1
; LDSByteSize: 43008 bytes/workgroup (compile time only)
; SGPRBlocks: 0
; VGPRBlocks: 8
; NumSGPRsForWavesPerEU: 44
; NumVGPRsForWavesPerEU: 138
; NamedBarCnt: 0
; Occupancy: 7
; WaveLimiterHint : 1
; COMPUTE_PGM_RSRC2:SCRATCH_EN: 0
; COMPUTE_PGM_RSRC2:USER_SGPR: 2
; COMPUTE_PGM_RSRC2:TRAP_HANDLER: 0
; COMPUTE_PGM_RSRC2:TGID_X_EN: 1
; COMPUTE_PGM_RSRC2:TGID_Y_EN: 1
; COMPUTE_PGM_RSRC2:TGID_Z_EN: 1
; COMPUTE_PGM_RSRC2:TIDIG_COMP_CNT: 1
	.section	.text._ZL33flash_attn_stream_k_fixup_uniformILi128ELi4ELi4EEvPfPK15HIP_vector_typeIfLj2EEiiiiiiS1_IjLj3EES5_S5_,"axG",@progbits,_ZL33flash_attn_stream_k_fixup_uniformILi128ELi4ELi4EEvPfPK15HIP_vector_typeIfLj2EEiiiiiiS1_IjLj3EES5_S5_,comdat
	.globl	_ZL33flash_attn_stream_k_fixup_uniformILi128ELi4ELi4EEvPfPK15HIP_vector_typeIfLj2EEiiiiiiS1_IjLj3EES5_S5_ ; -- Begin function _ZL33flash_attn_stream_k_fixup_uniformILi128ELi4ELi4EEvPfPK15HIP_vector_typeIfLj2EEiiiiiiS1_IjLj3EES5_S5_
	.p2align	8
	.type	_ZL33flash_attn_stream_k_fixup_uniformILi128ELi4ELi4EEvPfPK15HIP_vector_typeIfLj2EEiiiiiiS1_IjLj3EES5_S5_,@function
_ZL33flash_attn_stream_k_fixup_uniformILi128ELi4ELi4EEvPfPK15HIP_vector_typeIfLj2EEiiiiiiS1_IjLj3EES5_S5_: ; @_ZL33flash_attn_stream_k_fixup_uniformILi128ELi4ELi4EEvPfPK15HIP_vector_typeIfLj2EEiiiiiiS1_IjLj3EES5_S5_
; %bb.0:
	s_load_b256 s[4:11], s[0:1], 0x1c
	s_bfe_u32 s2, ttmp6, 0x40014
	s_lshr_b32 s3, ttmp7, 16
	s_add_co_i32 s2, s2, 1
	s_bfe_u32 s13, ttmp6, 0x40010
	s_mul_i32 s2, s3, s2
	s_bfe_u32 s12, ttmp6, 0x40008
	s_and_b32 s15, ttmp7, 0xffff
	s_add_co_i32 s13, s13, 1
	s_bfe_u32 s14, ttmp6, 0x4000c
	s_add_co_i32 s12, s12, s2
	s_mul_i32 s2, s15, s13
	s_bfe_u32 s13, ttmp6, 0x40004
	s_add_co_i32 s14, s14, 1
	s_add_co_i32 s13, s13, s2
	s_and_b32 s2, ttmp6, 15
	s_mul_i32 s14, ttmp9, s14
	s_getreg_b32 s20, hwreg(HW_REG_IB_STS2, 6, 4)
	s_add_co_i32 s2, s2, s14
	s_load_b128 s[16:19], s[0:1], 0x3c
	s_cmp_eq_u32 s20, 0
	s_cselect_b32 s14, ttmp9, s2
	s_cselect_b32 s13, s15, s13
	s_wait_kmcnt 0x0
	s_mul_hi_u32 s2, s7, s14
	s_cselect_b32 s12, s3, s12
	s_add_co_i32 s2, s14, s2
	s_delay_alu instid0(SALU_CYCLE_1) | instskip(NEXT) | instid1(SALU_CYCLE_1)
	s_lshr_b32 s7, s2, s8
	s_mul_i32 s2, s7, s9
	s_delay_alu instid0(SALU_CYCLE_1) | instskip(NEXT) | instid1(SALU_CYCLE_1)
	s_sub_co_i32 s8, s14, s2
	s_mul_hi_u32 s2, s8, s10
	s_delay_alu instid0(SALU_CYCLE_1) | instskip(SKIP_2) | instid1(SALU_CYCLE_1)
	s_add_co_i32 s9, s8, s2
	s_load_b64 s[2:3], s[0:1], 0x10
	s_lshr_b32 s15, s9, s11
	s_mul_i32 s9, s15, s16
	s_delay_alu instid0(SALU_CYCLE_1) | instskip(NEXT) | instid1(SALU_CYCLE_1)
	s_sub_co_i32 s8, s8, s9
	s_mul_hi_u32 s9, s8, s17
	s_delay_alu instid0(SALU_CYCLE_1) | instskip(NEXT) | instid1(SALU_CYCLE_1)
	s_add_co_i32 s9, s8, s9
	s_lshr_b32 s9, s9, s18
	s_delay_alu instid0(SALU_CYCLE_1) | instskip(SKIP_2) | instid1(SALU_CYCLE_1)
	s_mul_i32 s10, s9, s19
	s_lshl_b32 s17, s9, 2
	s_sub_co_i32 s16, s8, s10
	s_lshl_b32 s8, s16, 2
	s_delay_alu instid0(SALU_CYCLE_1) | instskip(SKIP_4) | instid1(SALU_CYCLE_1)
	s_add_co_i32 s8, s8, s13
	s_wait_kmcnt 0x0
	s_cmp_lt_i32 s8, s2
	s_cselect_b32 s8, -1, 0
	s_add_co_i32 s9, s17, s12
	s_cmp_lt_i32 s9, s5
	s_cselect_b32 s9, -1, 0
	s_delay_alu instid0(SALU_CYCLE_1) | instskip(NEXT) | instid1(SALU_CYCLE_1)
	s_and_b32 s8, s8, s9
	s_and_not1_b32 vcc_lo, exec_lo, s8
	s_cbranch_vccnz .LBB25_6
; %bb.1:
	s_mul_i32 s2, s7, s2
	s_load_b128 s[8:11], s[0:1], 0x0
	s_wait_xcnt 0x0
	s_add_co_i32 s0, s2, s13
	s_mul_i32 s15, s15, s5
	s_mul_i32 s0, s0, s3
	s_mul_i32 s1, s3, s16
	s_add_co_i32 s0, s0, s12
	s_lshl_b32 s1, s1, 9
	s_add_co_i32 s0, s0, s15
	s_mul_i32 s7, s6, s14
	s_add_co_i32 s0, s0, s17
	s_lshl_b32 s5, s13, 2
	s_lshl_b32 s0, s0, 7
	s_add_co_i32 s15, s7, s6
	s_add_co_i32 s1, s1, s0
	;; [unrolled: 1-line block ×3, first 2 shown]
	v_or_b32_e32 v4, s1, v0
	s_lshl_b32 s1, s15, 4
	s_add_co_i32 s2, s15, -2
	s_add_co_i32 s0, s0, s1
	s_delay_alu instid0(SALU_CYCLE_1)
	s_add_co_i32 s0, s0, -16
	s_wait_kmcnt 0x0
	global_load_b32 v3, v4, s[8:9] scale_offset
	s_ashr_i32 s1, s0, 31
	v_ashrrev_i32_e32 v5, 31, v4
	s_lshl_b64 s[0:1], s[0:1], 3
	s_cmp_lt_i32 s2, s7
	s_add_nc_u64 s[0:1], s[10:11], s[0:1]
	s_load_b32 s16, s[0:1], 0x4
	s_cbranch_scc1 .LBB25_4
; %bb.2:
	s_wait_xcnt 0x0
	s_load_b32 s0, s[0:1], 0x0
	s_add_co_i32 s14, s14, 1
	s_lshl_b32 s3, s13, 9
	s_wait_xcnt 0x0
	s_mul_i32 s1, s6, s14
	s_lshl_b32 s6, s12, 7
	s_lshl_b32 s13, s1, 11
	s_add_co_i32 s6, s6, s3
	s_lshl_b32 s1, s1, 4
	s_add_co_i32 s6, s6, s13
	s_lshl_b32 s2, s4, 6
	s_wait_kmcnt 0x0
	v_dual_mov_b32 v2, s16 :: v_dual_bitop2_b32 v0, s6, v0 bitop3:0x54
	s_add_co_i32 s1, s12, s1
	s_lshl_b32 s4, s4, 4
	s_ashr_i32 s3, s2, 31
	s_add_co_i32 s1, s1, s4
	v_add_nc_u32_e32 v0, 0xfffff000, v0
	s_lshl_b64 s[2:3], s[2:3], 2
	s_add_co_i32 s4, s1, s5
	s_add_nc_u64 s[2:3], s[10:11], s[2:3]
	s_add_co_i32 s1, s15, -1
	s_sub_co_i32 s4, s4, 32
.LBB25_3:                               ; =>This Inner Loop Header: Depth=1
	global_load_b32 v7, v0, s[2:3] scale_offset
	s_ashr_i32 s5, s4, 31
	v_max_num_f32_e64 v1, s0, s0
	s_lshl_b64 s[12:13], s[4:5], 3
	s_delay_alu instid0(SALU_CYCLE_1) | instskip(SKIP_1) | instid1(VALU_DEP_1)
	s_add_nc_u64 s[12:13], s[10:11], s[12:13]
	s_load_b64 s[12:13], s[12:13], 0x0
	v_readfirstlane_b32 s5, v1
	v_add_nc_u32_e32 v0, 0xfffff800, v0
	s_wait_kmcnt 0x0
	v_max_num_f32_e64 v1, s12, s12
	s_delay_alu instid0(VALU_DEP_1) | instskip(SKIP_1) | instid1(SALU_CYCLE_3)
	v_readfirstlane_b32 s6, v1
	s_max_num_f32 s5, s5, s6
	s_sub_f32 s0, s0, s5
	s_sub_f32 s6, s12, s5
	s_delay_alu instid0(SALU_CYCLE_2) | instskip(NEXT) | instid1(SALU_CYCLE_2)
	s_mul_f32 s12, s0, 0x3fb8aa3b
	s_mul_f32 s14, s6, 0x3fb8aa3b
	s_delay_alu instid0(SALU_CYCLE_2)
	s_xor_b32 s15, s12, 0x80000000
	s_rndne_f32 s16, s12
	s_fmamk_f32 s15, s0, 0x3fb8aa3b, s15
	s_cmp_nlt_f32 s0, 0xc2ce8ed0
	s_rndne_f32 s17, s14
	s_sub_f32 s12, s12, s16
	s_fmamk_f32 s15, s0, 0x32a5705f, s15
	s_cselect_b32 vcc_lo, -1, 0
	s_cmp_ngt_f32 s0, 0x42b17218
	s_delay_alu instid0(SALU_CYCLE_1) | instskip(SKIP_2) | instid1(SALU_CYCLE_1)
	s_add_f32 s12, s12, s15
	s_cvt_i32_f32 s15, s16
	s_sub_f32 s16, s14, s17
	v_s_exp_f32 s12, s12
	v_nop
	s_delay_alu instid0(TRANS32_DEP_1) | instskip(SKIP_1) | instid1(VALU_DEP_1)
	v_ldexp_f32 v1, s12, s15
	s_cvt_i32_f32 s12, s17
	v_cndmask_b32_e32 v1, 0, v1, vcc_lo
	s_cselect_b32 vcc_lo, -1, 0
	s_cmp_ge_f32 s0, 0xc1a00000
	s_delay_alu instid0(VALU_DEP_1)
	v_cndmask_b32_e32 v1, 0x7f800000, v1, vcc_lo
	s_cselect_b32 vcc_lo, -1, 0
	s_xor_b32 s0, s14, 0x80000000
	s_cmp_nlt_f32 s6, 0xc2ce8ed0
	s_fmamk_f32 s0, s6, 0x3fb8aa3b, s0
	v_cndmask_b32_e32 v10, 0, v1, vcc_lo
	s_delay_alu instid0(SALU_CYCLE_2) | instskip(NEXT) | instid1(SALU_CYCLE_3)
	s_fmamk_f32 s0, s6, 0x32a5705f, s0
	s_add_f32 s0, s16, s0
	s_delay_alu instid0(SALU_CYCLE_3) | instskip(SKIP_1) | instid1(TRANS32_DEP_1)
	v_s_exp_f32 s0, s0
	v_nop
	v_ldexp_f32 v6, s0, s12
	s_cselect_b32 s0, -1, 0
	s_cmp_ngt_f32 s6, 0x42b17218
	s_delay_alu instid0(VALU_DEP_1) | instskip(SKIP_2) | instid1(VALU_DEP_1)
	v_cndmask_b32_e64 v6, 0, v6, s0
	s_cselect_b32 s0, -1, 0
	s_cmp_ge_f32 s6, 0xc1a00000
	v_cndmask_b32_e64 v8, 0x7f800000, v6, s0
	s_cselect_b32 s0, -1, 0
	v_mov_b32_e32 v6, s13
	s_add_co_i32 s1, s1, -1
	s_add_co_i32 s4, s4, -16
	v_cndmask_b32_e64 v8, 0, v8, s0
	s_cmp_le_i32 s1, s7
	s_mov_b32 s0, s5
	s_wait_loadcnt 0x0
	s_delay_alu instid0(VALU_DEP_1) | instskip(NEXT) | instid1(VALU_DEP_1)
	v_pk_mul_f32 v[6:7], v[6:7], v[8:9] op_sel_hi:[1,0]
	v_pk_fma_f32 v[2:3], v[2:3], v[10:11], v[6:7] op_sel_hi:[1,0,1]
	s_cbranch_scc0 .LBB25_3
	s_branch .LBB25_5
.LBB25_4:
	s_wait_kmcnt 0x0
	v_mov_b32_e32 v2, s16
.LBB25_5:
	v_lshl_add_u64 v[0:1], v[4:5], 2, s[8:9]
	s_wait_loadcnt 0x0
	s_delay_alu instid0(VALU_DEP_2) | instskip(NEXT) | instid1(VALU_DEP_1)
	v_div_scale_f32 v4, null, v2, v2, v3
	v_rcp_f32_e32 v5, v4
	v_nop
	s_delay_alu instid0(TRANS32_DEP_1) | instskip(NEXT) | instid1(VALU_DEP_1)
	v_fma_f32 v6, -v4, v5, 1.0
	v_fmac_f32_e32 v5, v6, v5
	v_div_scale_f32 v6, vcc_lo, v3, v2, v3
	s_delay_alu instid0(VALU_DEP_1) | instskip(NEXT) | instid1(VALU_DEP_1)
	v_mul_f32_e32 v7, v6, v5
	v_fma_f32 v8, -v4, v7, v6
	s_delay_alu instid0(VALU_DEP_1) | instskip(NEXT) | instid1(VALU_DEP_1)
	v_fmac_f32_e32 v7, v8, v5
	v_fma_f32 v4, -v4, v7, v6
	s_delay_alu instid0(VALU_DEP_1) | instskip(NEXT) | instid1(VALU_DEP_1)
	v_div_fmas_f32 v4, v4, v5, v7
	v_div_fixup_f32 v2, v4, v2, v3
	global_store_b32 v[0:1], v2, off
.LBB25_6:
	s_endpgm
	.section	.rodata,"a",@progbits
	.p2align	6, 0x0
	.amdhsa_kernel _ZL33flash_attn_stream_k_fixup_uniformILi128ELi4ELi4EEvPfPK15HIP_vector_typeIfLj2EEiiiiiiS1_IjLj3EES5_S5_
		.amdhsa_group_segment_fixed_size 0
		.amdhsa_private_segment_fixed_size 0
		.amdhsa_kernarg_size 76
		.amdhsa_user_sgpr_count 2
		.amdhsa_user_sgpr_dispatch_ptr 0
		.amdhsa_user_sgpr_queue_ptr 0
		.amdhsa_user_sgpr_kernarg_segment_ptr 1
		.amdhsa_user_sgpr_dispatch_id 0
		.amdhsa_user_sgpr_kernarg_preload_length 0
		.amdhsa_user_sgpr_kernarg_preload_offset 0
		.amdhsa_user_sgpr_private_segment_size 0
		.amdhsa_wavefront_size32 1
		.amdhsa_uses_dynamic_stack 0
		.amdhsa_enable_private_segment 0
		.amdhsa_system_sgpr_workgroup_id_x 1
		.amdhsa_system_sgpr_workgroup_id_y 1
		.amdhsa_system_sgpr_workgroup_id_z 1
		.amdhsa_system_sgpr_workgroup_info 0
		.amdhsa_system_vgpr_workitem_id 0
		.amdhsa_next_free_vgpr 12
		.amdhsa_next_free_sgpr 21
		.amdhsa_named_barrier_count 0
		.amdhsa_reserve_vcc 1
		.amdhsa_float_round_mode_32 0
		.amdhsa_float_round_mode_16_64 0
		.amdhsa_float_denorm_mode_32 3
		.amdhsa_float_denorm_mode_16_64 3
		.amdhsa_fp16_overflow 0
		.amdhsa_memory_ordered 1
		.amdhsa_forward_progress 1
		.amdhsa_inst_pref_size 9
		.amdhsa_round_robin_scheduling 0
		.amdhsa_exception_fp_ieee_invalid_op 0
		.amdhsa_exception_fp_denorm_src 0
		.amdhsa_exception_fp_ieee_div_zero 0
		.amdhsa_exception_fp_ieee_overflow 0
		.amdhsa_exception_fp_ieee_underflow 0
		.amdhsa_exception_fp_ieee_inexact 0
		.amdhsa_exception_int_div_zero 0
	.end_amdhsa_kernel
	.section	.text._ZL33flash_attn_stream_k_fixup_uniformILi128ELi4ELi4EEvPfPK15HIP_vector_typeIfLj2EEiiiiiiS1_IjLj3EES5_S5_,"axG",@progbits,_ZL33flash_attn_stream_k_fixup_uniformILi128ELi4ELi4EEvPfPK15HIP_vector_typeIfLj2EEiiiiiiS1_IjLj3EES5_S5_,comdat
.Lfunc_end25:
	.size	_ZL33flash_attn_stream_k_fixup_uniformILi128ELi4ELi4EEvPfPK15HIP_vector_typeIfLj2EEiiiiiiS1_IjLj3EES5_S5_, .Lfunc_end25-_ZL33flash_attn_stream_k_fixup_uniformILi128ELi4ELi4EEvPfPK15HIP_vector_typeIfLj2EEiiiiiiS1_IjLj3EES5_S5_
                                        ; -- End function
	.set _ZL33flash_attn_stream_k_fixup_uniformILi128ELi4ELi4EEvPfPK15HIP_vector_typeIfLj2EEiiiiiiS1_IjLj3EES5_S5_.num_vgpr, 12
	.set _ZL33flash_attn_stream_k_fixup_uniformILi128ELi4ELi4EEvPfPK15HIP_vector_typeIfLj2EEiiiiiiS1_IjLj3EES5_S5_.num_agpr, 0
	.set _ZL33flash_attn_stream_k_fixup_uniformILi128ELi4ELi4EEvPfPK15HIP_vector_typeIfLj2EEiiiiiiS1_IjLj3EES5_S5_.numbered_sgpr, 21
	.set _ZL33flash_attn_stream_k_fixup_uniformILi128ELi4ELi4EEvPfPK15HIP_vector_typeIfLj2EEiiiiiiS1_IjLj3EES5_S5_.num_named_barrier, 0
	.set _ZL33flash_attn_stream_k_fixup_uniformILi128ELi4ELi4EEvPfPK15HIP_vector_typeIfLj2EEiiiiiiS1_IjLj3EES5_S5_.private_seg_size, 0
	.set _ZL33flash_attn_stream_k_fixup_uniformILi128ELi4ELi4EEvPfPK15HIP_vector_typeIfLj2EEiiiiiiS1_IjLj3EES5_S5_.uses_vcc, 1
	.set _ZL33flash_attn_stream_k_fixup_uniformILi128ELi4ELi4EEvPfPK15HIP_vector_typeIfLj2EEiiiiiiS1_IjLj3EES5_S5_.uses_flat_scratch, 0
	.set _ZL33flash_attn_stream_k_fixup_uniformILi128ELi4ELi4EEvPfPK15HIP_vector_typeIfLj2EEiiiiiiS1_IjLj3EES5_S5_.has_dyn_sized_stack, 0
	.set _ZL33flash_attn_stream_k_fixup_uniformILi128ELi4ELi4EEvPfPK15HIP_vector_typeIfLj2EEiiiiiiS1_IjLj3EES5_S5_.has_recursion, 0
	.set _ZL33flash_attn_stream_k_fixup_uniformILi128ELi4ELi4EEvPfPK15HIP_vector_typeIfLj2EEiiiiiiS1_IjLj3EES5_S5_.has_indirect_call, 0
	.section	.AMDGPU.csdata,"",@progbits
; Kernel info:
; codeLenInByte = 1092
; TotalNumSgprs: 23
; NumVgprs: 12
; ScratchSize: 0
; MemoryBound: 0
; FloatMode: 240
; IeeeMode: 1
; LDSByteSize: 0 bytes/workgroup (compile time only)
; SGPRBlocks: 0
; VGPRBlocks: 0
; NumSGPRsForWavesPerEU: 23
; NumVGPRsForWavesPerEU: 12
; NamedBarCnt: 0
; Occupancy: 16
; WaveLimiterHint : 0
; COMPUTE_PGM_RSRC2:SCRATCH_EN: 0
; COMPUTE_PGM_RSRC2:USER_SGPR: 2
; COMPUTE_PGM_RSRC2:TRAP_HANDLER: 0
; COMPUTE_PGM_RSRC2:TGID_X_EN: 1
; COMPUTE_PGM_RSRC2:TGID_Y_EN: 1
; COMPUTE_PGM_RSRC2:TGID_Z_EN: 1
; COMPUTE_PGM_RSRC2:TIDIG_COMP_CNT: 0
	.section	.text._ZL33flash_attn_stream_k_fixup_generalILi128ELi4ELi4EEvPfPK15HIP_vector_typeIfLj2EEiiiiS1_IjLj3EES5_S5_S5_,"axG",@progbits,_ZL33flash_attn_stream_k_fixup_generalILi128ELi4ELi4EEvPfPK15HIP_vector_typeIfLj2EEiiiiS1_IjLj3EES5_S5_S5_,comdat
	.globl	_ZL33flash_attn_stream_k_fixup_generalILi128ELi4ELi4EEvPfPK15HIP_vector_typeIfLj2EEiiiiS1_IjLj3EES5_S5_S5_ ; -- Begin function _ZL33flash_attn_stream_k_fixup_generalILi128ELi4ELi4EEvPfPK15HIP_vector_typeIfLj2EEiiiiS1_IjLj3EES5_S5_S5_
	.p2align	8
	.type	_ZL33flash_attn_stream_k_fixup_generalILi128ELi4ELi4EEvPfPK15HIP_vector_typeIfLj2EEiiiiS1_IjLj3EES5_S5_S5_,@function
_ZL33flash_attn_stream_k_fixup_generalILi128ELi4ELi4EEvPfPK15HIP_vector_typeIfLj2EEiiiiS1_IjLj3EES5_S5_S5_: ; @_ZL33flash_attn_stream_k_fixup_generalILi128ELi4ELi4EEvPfPK15HIP_vector_typeIfLj2EEiiiiS1_IjLj3EES5_S5_S5_
; %bb.0:
	s_clause 0x1
	s_load_b128 s[4:7], s[0:1], 0x10
	s_load_b32 s16, s[0:1], 0x50
	s_bfe_u32 s2, ttmp6, 0x4000c
	s_and_b32 s3, ttmp6, 15
	s_add_co_i32 s2, s2, 1
	s_getreg_b32 s15, hwreg(HW_REG_IB_STS2, 6, 4)
	s_mul_i32 s2, ttmp9, s2
	s_mov_b32 s17, 0
	s_add_co_i32 s3, s3, s2
	s_cmp_eq_u32 s15, 0
	s_cselect_b32 s2, ttmp9, s3
	s_delay_alu instid0(SALU_CYCLE_1) | instskip(SKIP_3) | instid1(SALU_CYCLE_1)
	s_ashr_i32 s3, s2, 31
	s_wait_kmcnt 0x0
	s_ashr_i32 s19, s7, 31
	s_mov_b32 s18, s7
	s_mul_u64 s[8:9], s[18:19], s[2:3]
	s_delay_alu instid0(SALU_CYCLE_1) | instskip(NEXT) | instid1(SALU_CYCLE_1)
	s_and_b64 s[10:11], s[8:9], 0xffffffff00000000
	s_cmp_lg_u64 s[10:11], 0
	s_cbranch_scc0 .LBB26_21
; %bb.1:
	s_add_nc_u64 s[10:11], s[16:17], 0
	s_mov_b32 s23, s17
	s_xor_b64 s[10:11], s[10:11], 0
	s_mov_b32 s27, s17
	s_cvt_f32_u32 s3, s10
	s_cvt_f32_u32 s7, s11
	s_sub_nc_u64 s[20:21], 0, s[10:11]
	s_delay_alu instid0(SALU_CYCLE_2) | instskip(NEXT) | instid1(SALU_CYCLE_3)
	s_fmamk_f32 s3, s7, 0x4f800000, s3
	v_s_rcp_f32 s3, s3
	s_delay_alu instid0(TRANS32_DEP_1) | instskip(NEXT) | instid1(SALU_CYCLE_3)
	s_mul_f32 s3, s3, 0x5f7ffffc
	s_mul_f32 s7, s3, 0x2f800000
	s_delay_alu instid0(SALU_CYCLE_3) | instskip(NEXT) | instid1(SALU_CYCLE_3)
	s_trunc_f32 s7, s7
	s_fmamk_f32 s3, s7, 0xcf800000, s3
	s_cvt_u32_f32 s13, s7
	s_delay_alu instid0(SALU_CYCLE_2) | instskip(NEXT) | instid1(SALU_CYCLE_3)
	s_cvt_u32_f32 s12, s3
	s_mul_u64 s[24:25], s[20:21], s[12:13]
	s_delay_alu instid0(SALU_CYCLE_1)
	s_mul_hi_u32 s29, s12, s25
	s_mul_i32 s28, s12, s25
	s_mul_hi_u32 s22, s12, s24
	s_mul_i32 s7, s13, s24
	s_add_nc_u64 s[22:23], s[22:23], s[28:29]
	s_mul_hi_u32 s3, s13, s24
	s_mul_hi_u32 s14, s13, s25
	s_add_co_u32 s7, s22, s7
	s_add_co_ci_u32 s26, s23, s3
	s_mul_i32 s24, s13, s25
	s_add_co_ci_u32 s25, s14, 0
	s_delay_alu instid0(SALU_CYCLE_1) | instskip(SKIP_3) | instid1(SALU_CYCLE_1)
	s_add_nc_u64 s[22:23], s[26:27], s[24:25]
	s_mov_b32 s25, s17
	s_add_co_u32 s12, s12, s22
	s_cselect_b32 s3, -1, 0
	s_cmp_lg_u32 s3, 0
	s_add_co_ci_u32 s13, s13, s23
	s_mov_b32 s23, s17
	s_mul_u64 s[20:21], s[20:21], s[12:13]
	s_delay_alu instid0(SALU_CYCLE_1)
	s_mul_hi_u32 s27, s12, s21
	s_mul_i32 s26, s12, s21
	s_mul_hi_u32 s22, s12, s20
	s_mul_i32 s7, s13, s20
	s_add_nc_u64 s[22:23], s[22:23], s[26:27]
	s_mul_hi_u32 s3, s13, s20
	s_mul_hi_u32 s14, s13, s21
	s_add_co_u32 s7, s22, s7
	s_add_co_ci_u32 s24, s23, s3
	s_mul_i32 s20, s13, s21
	s_add_co_ci_u32 s21, s14, 0
	s_mov_b32 s23, s17
	s_add_nc_u64 s[20:21], s[24:25], s[20:21]
	s_delay_alu instid0(SALU_CYCLE_1) | instskip(SKIP_1) | instid1(SALU_CYCLE_1)
	s_add_co_u32 s3, s12, s20
	s_cselect_b32 s7, -1, 0
	s_cmp_lg_u32 s7, 0
	s_add_co_ci_u32 s7, s13, s21
	s_ashr_i32 s12, s9, 31
	s_delay_alu instid0(SALU_CYCLE_1) | instskip(NEXT) | instid1(SALU_CYCLE_1)
	s_mov_b32 s13, s12
	s_add_nc_u64 s[20:21], s[8:9], s[12:13]
	s_delay_alu instid0(SALU_CYCLE_1) | instskip(NEXT) | instid1(SALU_CYCLE_1)
	s_xor_b64 s[20:21], s[20:21], s[12:13]
	s_mul_hi_u32 s27, s20, s7
	s_mul_i32 s26, s20, s7
	s_mul_hi_u32 s22, s20, s3
	s_mul_hi_u32 s14, s21, s3
	s_mul_i32 s3, s21, s3
	s_add_nc_u64 s[22:23], s[22:23], s[26:27]
	s_mul_hi_u32 s9, s21, s7
	s_add_co_u32 s3, s22, s3
	s_add_co_ci_u32 s24, s23, s14
	s_mul_i32 s26, s21, s7
	s_add_co_ci_u32 s27, s9, 0
	s_delay_alu instid0(SALU_CYCLE_1) | instskip(NEXT) | instid1(SALU_CYCLE_1)
	s_add_nc_u64 s[22:23], s[24:25], s[26:27]
	s_and_b64 s[24:25], s[22:23], 0xffffffff00000000
	s_delay_alu instid0(SALU_CYCLE_1) | instskip(NEXT) | instid1(SALU_CYCLE_1)
	s_or_b32 s24, s24, s22
	s_mul_u64 s[22:23], s[10:11], s[24:25]
	s_add_nc_u64 s[26:27], s[24:25], 1
	s_sub_co_u32 s3, s20, s22
	s_cselect_b32 s7, -1, 0
	s_sub_co_i32 s9, s21, s23
	s_cmp_lg_u32 s7, 0
	s_add_nc_u64 s[28:29], s[24:25], 2
	s_sub_co_ci_u32 s9, s9, s11
	s_sub_co_u32 s14, s3, s10
	s_cselect_b32 s20, -1, 0
	s_delay_alu instid0(SALU_CYCLE_1) | instskip(SKIP_1) | instid1(SALU_CYCLE_1)
	s_cmp_lg_u32 s20, 0
	s_sub_co_ci_u32 s9, s9, 0
	s_cmp_ge_u32 s9, s11
	s_cselect_b32 s20, -1, 0
	s_cmp_ge_u32 s14, s10
	s_cselect_b32 s14, -1, 0
	s_cmp_eq_u32 s9, s11
	s_cselect_b32 s9, s14, s20
	s_delay_alu instid0(SALU_CYCLE_1) | instskip(SKIP_4) | instid1(SALU_CYCLE_1)
	s_cmp_lg_u32 s9, 0
	s_cselect_b32 s9, s28, s26
	s_cselect_b32 s14, s29, s27
	s_cmp_lg_u32 s7, 0
	s_sub_co_ci_u32 s7, s21, s23
	s_cmp_ge_u32 s7, s11
	s_cselect_b32 s20, -1, 0
	s_cmp_ge_u32 s3, s10
	s_cselect_b32 s3, -1, 0
	s_cmp_eq_u32 s7, s11
	s_cselect_b32 s3, s3, s20
	s_delay_alu instid0(SALU_CYCLE_1) | instskip(SKIP_4) | instid1(SALU_CYCLE_1)
	s_cmp_lg_u32 s3, 0
	s_mov_b32 s3, s17
	s_cselect_b32 s11, s14, s25
	s_cselect_b32 s10, s9, s24
	s_xor_b64 s[12:13], s[12:13], 0
	s_xor_b64 s[10:11], s[10:11], s[12:13]
	s_delay_alu instid0(SALU_CYCLE_1)
	s_sub_nc_u64 s[20:21], s[10:11], s[12:13]
	s_and_not1_b32 vcc_lo, exec_lo, s3
	s_cbranch_vccnz .LBB26_3
.LBB26_2:
	v_cvt_f32_u32_e32 v1, s16
	s_sub_co_i32 s7, 0, s16
	s_mov_b32 s21, 0
	s_delay_alu instid0(VALU_DEP_1) | instskip(SKIP_1) | instid1(TRANS32_DEP_1)
	v_rcp_iflag_f32_e32 v1, v1
	v_nop
	v_mul_f32_e32 v1, 0x4f7ffffe, v1
	s_delay_alu instid0(VALU_DEP_1) | instskip(NEXT) | instid1(VALU_DEP_1)
	v_cvt_u32_f32_e32 v1, v1
	v_readfirstlane_b32 s3, v1
	s_mul_i32 s7, s7, s3
	s_delay_alu instid0(SALU_CYCLE_1) | instskip(NEXT) | instid1(SALU_CYCLE_1)
	s_mul_hi_u32 s7, s3, s7
	s_add_co_i32 s3, s3, s7
	s_delay_alu instid0(SALU_CYCLE_1) | instskip(NEXT) | instid1(SALU_CYCLE_1)
	s_mul_hi_u32 s3, s8, s3
	s_mul_i32 s7, s3, s16
	s_delay_alu instid0(SALU_CYCLE_1)
	s_sub_co_i32 s7, s8, s7
	s_add_co_i32 s8, s3, 1
	s_sub_co_i32 s9, s7, s16
	s_cmp_ge_u32 s7, s16
	s_cselect_b32 s3, s8, s3
	s_cselect_b32 s7, s9, s7
	s_add_co_i32 s8, s3, 1
	s_cmp_ge_u32 s7, s16
	s_cselect_b32 s20, s8, s3
.LBB26_3:
	s_add_co_i32 s8, s2, 1
	s_delay_alu instid0(SALU_CYCLE_1) | instskip(NEXT) | instid1(SALU_CYCLE_1)
	s_ashr_i32 s9, s8, 31
	s_mul_u64 s[8:9], s[18:19], s[8:9]
	s_delay_alu instid0(SALU_CYCLE_1) | instskip(NEXT) | instid1(SALU_CYCLE_1)
	s_and_b64 s[10:11], s[8:9], 0xffffffff00000000
	s_cmp_lg_u64 s[10:11], 0
	s_cbranch_scc0 .LBB26_22
; %bb.4:
	s_add_nc_u64 s[10:11], s[16:17], 0
	s_delay_alu instid0(SALU_CYCLE_1) | instskip(SKIP_4) | instid1(SALU_CYCLE_2)
	s_xor_b64 s[12:13], s[10:11], 0
	s_mov_b32 s11, 0
	s_cvt_f32_u32 s3, s12
	s_cvt_f32_u32 s7, s13
	s_sub_nc_u64 s[24:25], 0, s[12:13]
	s_fmamk_f32 s3, s7, 0x4f800000, s3
	s_delay_alu instid0(SALU_CYCLE_3) | instskip(NEXT) | instid1(TRANS32_DEP_1)
	v_s_rcp_f32 s3, s3
	s_mul_f32 s3, s3, 0x5f7ffffc
	s_delay_alu instid0(SALU_CYCLE_3) | instskip(NEXT) | instid1(SALU_CYCLE_3)
	s_mul_f32 s7, s3, 0x2f800000
	s_trunc_f32 s7, s7
	s_delay_alu instid0(SALU_CYCLE_3) | instskip(SKIP_1) | instid1(SALU_CYCLE_2)
	s_fmamk_f32 s3, s7, 0xcf800000, s3
	s_cvt_u32_f32 s23, s7
	s_cvt_u32_f32 s22, s3
	s_delay_alu instid0(SALU_CYCLE_3) | instskip(NEXT) | instid1(SALU_CYCLE_1)
	s_mul_u64 s[26:27], s[24:25], s[22:23]
	s_mul_hi_u32 s29, s22, s27
	s_mul_i32 s28, s22, s27
	s_mul_hi_u32 s10, s22, s26
	s_mul_i32 s7, s23, s26
	s_add_nc_u64 s[28:29], s[10:11], s[28:29]
	s_mul_hi_u32 s3, s23, s26
	s_mul_hi_u32 s14, s23, s27
	s_add_co_u32 s7, s28, s7
	s_add_co_ci_u32 s10, s29, s3
	s_mul_i32 s26, s23, s27
	s_add_co_ci_u32 s27, s14, 0
	s_delay_alu instid0(SALU_CYCLE_1) | instskip(NEXT) | instid1(SALU_CYCLE_1)
	s_add_nc_u64 s[26:27], s[10:11], s[26:27]
	s_add_co_u32 s22, s22, s26
	s_cselect_b32 s3, -1, 0
	s_delay_alu instid0(SALU_CYCLE_1) | instskip(SKIP_1) | instid1(SALU_CYCLE_1)
	s_cmp_lg_u32 s3, 0
	s_add_co_ci_u32 s23, s23, s27
	s_mul_u64 s[24:25], s[24:25], s[22:23]
	s_delay_alu instid0(SALU_CYCLE_1)
	s_mul_hi_u32 s27, s22, s25
	s_mul_i32 s26, s22, s25
	s_mul_hi_u32 s10, s22, s24
	s_mul_i32 s7, s23, s24
	s_add_nc_u64 s[26:27], s[10:11], s[26:27]
	s_mul_hi_u32 s3, s23, s24
	s_mul_hi_u32 s14, s23, s25
	s_add_co_u32 s7, s26, s7
	s_add_co_ci_u32 s10, s27, s3
	s_mul_i32 s24, s23, s25
	s_add_co_ci_u32 s25, s14, 0
	s_delay_alu instid0(SALU_CYCLE_1) | instskip(NEXT) | instid1(SALU_CYCLE_1)
	s_add_nc_u64 s[24:25], s[10:11], s[24:25]
	s_add_co_u32 s3, s22, s24
	s_cselect_b32 s7, -1, 0
	s_delay_alu instid0(SALU_CYCLE_1) | instskip(SKIP_2) | instid1(SALU_CYCLE_1)
	s_cmp_lg_u32 s7, 0
	s_add_co_ci_u32 s7, s23, s25
	s_ashr_i32 s22, s9, 31
	s_mov_b32 s23, s22
	s_delay_alu instid0(SALU_CYCLE_1) | instskip(NEXT) | instid1(SALU_CYCLE_1)
	s_add_nc_u64 s[24:25], s[8:9], s[22:23]
	s_xor_b64 s[24:25], s[24:25], s[22:23]
	s_delay_alu instid0(SALU_CYCLE_1)
	s_mul_hi_u32 s27, s24, s7
	s_mul_i32 s26, s24, s7
	s_mul_hi_u32 s10, s24, s3
	s_mul_hi_u32 s14, s25, s3
	s_mul_i32 s3, s25, s3
	s_add_nc_u64 s[26:27], s[10:11], s[26:27]
	s_mul_hi_u32 s9, s25, s7
	s_add_co_u32 s3, s26, s3
	s_add_co_ci_u32 s10, s27, s14
	s_mul_i32 s28, s25, s7
	s_add_co_ci_u32 s29, s9, 0
	s_delay_alu instid0(SALU_CYCLE_1) | instskip(NEXT) | instid1(SALU_CYCLE_1)
	s_add_nc_u64 s[26:27], s[10:11], s[28:29]
	s_and_b64 s[28:29], s[26:27], 0xffffffff00000000
	s_delay_alu instid0(SALU_CYCLE_1) | instskip(NEXT) | instid1(SALU_CYCLE_1)
	s_or_b32 s28, s28, s26
	s_mul_u64 s[26:27], s[12:13], s[28:29]
	s_add_nc_u64 s[30:31], s[28:29], 1
	s_sub_co_u32 s3, s24, s26
	s_cselect_b32 s7, -1, 0
	s_sub_co_i32 s9, s25, s27
	s_cmp_lg_u32 s7, 0
	s_add_nc_u64 s[34:35], s[28:29], 2
	s_sub_co_ci_u32 s9, s9, s13
	s_sub_co_u32 s10, s3, s12
	s_cselect_b32 s14, -1, 0
	s_delay_alu instid0(SALU_CYCLE_1) | instskip(SKIP_1) | instid1(SALU_CYCLE_1)
	s_cmp_lg_u32 s14, 0
	s_sub_co_ci_u32 s9, s9, 0
	s_cmp_ge_u32 s9, s13
	s_cselect_b32 s14, -1, 0
	s_cmp_ge_u32 s10, s12
	s_cselect_b32 s10, -1, 0
	s_cmp_eq_u32 s9, s13
	s_cselect_b32 s9, s10, s14
	s_delay_alu instid0(SALU_CYCLE_1) | instskip(SKIP_4) | instid1(SALU_CYCLE_1)
	s_cmp_lg_u32 s9, 0
	s_cselect_b32 s9, s34, s30
	s_cselect_b32 s10, s35, s31
	s_cmp_lg_u32 s7, 0
	s_sub_co_ci_u32 s7, s25, s27
	s_cmp_ge_u32 s7, s13
	s_cselect_b32 s14, -1, 0
	s_cmp_ge_u32 s3, s12
	s_cselect_b32 s3, -1, 0
	s_cmp_eq_u32 s7, s13
	s_cselect_b32 s3, s3, s14
	s_delay_alu instid0(SALU_CYCLE_1) | instskip(SKIP_3) | instid1(SALU_CYCLE_1)
	s_cmp_lg_u32 s3, 0
	s_cselect_b32 s13, s10, s29
	s_cselect_b32 s12, s9, s28
	s_xor_b64 s[22:23], s[22:23], 0
	s_xor_b64 s[12:13], s[12:13], s[22:23]
	s_delay_alu instid0(SALU_CYCLE_1)
	s_sub_nc_u64 s[24:25], s[12:13], s[22:23]
	s_load_b96 s[12:14], s[0:1], 0x44
	s_cbranch_execnz .LBB26_6
.LBB26_5:
	v_cvt_f32_u32_e32 v1, s16
	s_sub_co_i32 s7, 0, s16
	s_delay_alu instid0(VALU_DEP_1) | instskip(SKIP_1) | instid1(TRANS32_DEP_1)
	v_rcp_iflag_f32_e32 v1, v1
	v_nop
	v_mul_f32_e32 v1, 0x4f7ffffe, v1
	s_delay_alu instid0(VALU_DEP_1) | instskip(NEXT) | instid1(VALU_DEP_1)
	v_cvt_u32_f32_e32 v1, v1
	v_readfirstlane_b32 s3, v1
	s_mul_i32 s7, s7, s3
	s_delay_alu instid0(SALU_CYCLE_1) | instskip(NEXT) | instid1(SALU_CYCLE_1)
	s_mul_hi_u32 s7, s3, s7
	s_add_co_i32 s3, s3, s7
	s_delay_alu instid0(SALU_CYCLE_1) | instskip(NEXT) | instid1(SALU_CYCLE_1)
	s_mul_hi_u32 s3, s8, s3
	s_mul_i32 s7, s3, s16
	s_delay_alu instid0(SALU_CYCLE_1)
	s_sub_co_i32 s7, s8, s7
	s_add_co_i32 s8, s3, 1
	s_sub_co_i32 s9, s7, s16
	s_cmp_ge_u32 s7, s16
	s_cselect_b32 s3, s8, s3
	s_cselect_b32 s7, s9, s7
	s_add_co_i32 s8, s3, 1
	s_cmp_ge_u32 s7, s16
	s_cselect_b32 s24, s8, s3
.LBB26_6:
	s_delay_alu instid0(SALU_CYCLE_1)
	s_cmp_eq_u32 s20, s24
	s_mov_b64 s[8:9], 0xffffffff
	s_cselect_b32 s3, -1, 0
	s_and_b64 s[8:9], s[20:21], s[8:9]
	s_mov_b32 s23, 0
	s_wait_kmcnt 0x0
	s_mov_b32 s22, s12
	s_mov_b32 s25, s23
	s_mul_u64 s[10:11], s[8:9], s[22:23]
	s_delay_alu instid0(SALU_CYCLE_1) | instskip(SKIP_2) | instid1(SALU_CYCLE_1)
	s_add_co_i32 s7, s11, s20
	s_mul_u64 s[10:11], s[24:25], s[22:23]
	s_lshr_b32 s12, s7, s13
	s_mul_i32 s7, s12, s14
	s_delay_alu instid0(SALU_CYCLE_1) | instskip(SKIP_2) | instid1(SALU_CYCLE_1)
	s_cmp_eq_u32 s7, s20
	s_cselect_b32 s7, -1, 0
	s_add_co_i32 s10, s11, s24
	s_lshr_b32 s10, s10, s13
	s_delay_alu instid0(SALU_CYCLE_1)
	s_cmp_eq_u32 s12, s10
	s_mul_i32 s10, s10, s14
	s_cselect_b32 s11, -1, 0
	s_cmp_lg_u32 s10, s24
	s_cselect_b32 s10, -1, 0
	s_or_b32 s3, s3, s7
	s_and_b32 s10, s11, s10
	s_delay_alu instid0(SALU_CYCLE_1) | instskip(NEXT) | instid1(SALU_CYCLE_1)
	s_or_b32 s3, s3, s10
	s_and_b32 vcc_lo, exec_lo, s3
	s_cbranch_vccnz .LBB26_24
; %bb.7:
	s_load_b256 s[24:31], s[0:1], 0x20
	s_bfe_u32 s7, ttmp6, 0x40014
	s_bfe_u32 s33, ttmp6, 0x40010
	s_lshr_b32 s3, ttmp7, 16
	s_add_co_i32 s7, s7, 1
	s_and_b32 s21, ttmp7, 0xffff
	s_add_co_i32 s33, s33, 1
	s_bfe_u32 s10, ttmp6, 0x40008
	s_mul_i32 s7, s3, s7
	s_bfe_u32 s34, ttmp6, 0x40004
	s_mul_i32 s33, s21, s33
	s_mov_b32 s11, s23
	s_add_co_i32 s35, s10, s7
	s_add_co_i32 s34, s34, s33
	s_cmp_eq_u32 s15, 0
	s_cselect_b32 s7, s21, s34
	s_cselect_b32 s3, s3, s35
	s_wait_kmcnt 0x0
	s_mov_b32 s10, s24
	s_delay_alu instid0(SALU_CYCLE_1) | instskip(NEXT) | instid1(SALU_CYCLE_1)
	s_mul_u64 s[8:9], s[8:9], s[10:11]
	s_add_co_i32 s8, s9, s20
	s_load_b32 s9, s[0:1], 0x40
	s_lshr_b32 s8, s8, s25
	s_delay_alu instid0(SALU_CYCLE_1) | instskip(NEXT) | instid1(SALU_CYCLE_1)
	s_mul_i32 s10, s8, s26
	s_sub_co_i32 s10, s20, s10
	s_delay_alu instid0(SALU_CYCLE_1) | instskip(NEXT) | instid1(SALU_CYCLE_1)
	s_mul_hi_u32 s11, s10, s27
	s_add_co_i32 s11, s10, s11
	s_delay_alu instid0(SALU_CYCLE_1) | instskip(NEXT) | instid1(SALU_CYCLE_1)
	s_lshr_b32 s15, s11, s28
	s_mul_i32 s11, s15, s29
	s_delay_alu instid0(SALU_CYCLE_1) | instskip(NEXT) | instid1(SALU_CYCLE_1)
	s_sub_co_i32 s10, s10, s11
	s_mul_hi_u32 s11, s10, s30
	s_delay_alu instid0(SALU_CYCLE_1) | instskip(NEXT) | instid1(SALU_CYCLE_1)
	s_add_co_i32 s11, s10, s11
	s_lshr_b32 s26, s11, s31
	s_mov_b32 s11, s23
	s_wait_kmcnt 0x0
	s_mul_i32 s9, s26, s9
	s_delay_alu instid0(SALU_CYCLE_1) | instskip(NEXT) | instid1(SALU_CYCLE_1)
	s_sub_co_i32 s10, s10, s9
	s_mul_u64 s[24:25], s[10:11], s[22:23]
	s_lshl_b32 s24, s26, 2
	s_add_co_i32 s9, s10, s25
	s_delay_alu instid0(SALU_CYCLE_1) | instskip(NEXT) | instid1(SALU_CYCLE_1)
	s_lshr_b32 s21, s9, s13
	s_lshl_b32 s9, s21, 2
	s_delay_alu instid0(SALU_CYCLE_1) | instskip(NEXT) | instid1(SALU_CYCLE_1)
	s_add_co_i32 s9, s9, s7
	s_cmp_lt_i32 s9, s4
	s_cselect_b32 s9, -1, 0
	s_add_co_i32 s10, s24, s3
	s_delay_alu instid0(SALU_CYCLE_1) | instskip(SKIP_1) | instid1(SALU_CYCLE_1)
	s_cmp_lt_i32 s10, s6
	s_cselect_b32 s10, -1, 0
	s_and_b32 s9, s9, s10
	s_delay_alu instid0(SALU_CYCLE_1)
	s_and_not1_b32 vcc_lo, exec_lo, s9
	s_cbranch_vccnz .LBB26_24
; %bb.8:
	s_mul_i32 s4, s8, s4
	s_load_b128 s[8:11], s[0:1], 0x0
	s_wait_xcnt 0x0
	s_add_co_i32 s0, s4, s7
	s_mul_i32 s15, s15, s6
	s_mul_i32 s0, s0, s5
	;; [unrolled: 1-line block ×3, first 2 shown]
	s_add_co_i32 s0, s0, s3
	s_lshl_b32 s1, s1, 9
	s_add_co_i32 s0, s0, s15
	s_lshl_b32 s15, s7, 2
	s_add_co_i32 s0, s0, s24
	s_add_co_i32 s15, s15, s3
	s_lshl_b32 s0, s0, 7
	v_lshl_or_b32 v6, s15, 7, v0
	s_add_co_i32 s1, s1, s0
	v_cvt_f32_u32_e32 v4, s16
	v_or_b32_e32 v2, s1, v0
	s_add_nc_u64 s[0:1], s[16:17], 0
	s_lshl_b32 s24, s16, 6
	s_xor_b64 s[6:7], s[0:1], 0
	s_lshl_b32 s0, s2, 4
	s_cvt_f32_u32 s3, s6
	s_add_co_i32 s0, s15, s0
	s_cvt_f32_u32 s4, s7
	s_ashr_i32 s1, s0, 31
	v_rcp_iflag_f32_e32 v4, v4
	s_lshl_b64 s[0:1], s[0:1], 3
	s_fmamk_f32 s3, s4, 0x4f800000, s3
	s_wait_kmcnt 0x0
	s_add_nc_u64 s[0:1], s[10:11], s[0:1]
	s_mov_b32 s25, 0
	s_load_b64 s[28:29], s[0:1], 0x0
	v_s_rcp_f32 s3, s3
	s_wait_xcnt 0x0
	s_lshl_b64 s[0:1], s[24:25], 2
	s_add_co_i32 s36, s2, -1
	s_add_nc_u64 s[26:27], s[10:11], s[0:1]
	s_sub_nc_u64 s[34:35], 0, s[6:7]
	v_mul_f32_e32 v4, 0x4f7ffffe, v4
	s_delay_alu instid0(TRANS32_DEP_1) | instskip(NEXT) | instid1(VALU_DEP_1)
	s_mul_f32 s3, s3, 0x5f7ffffc
	v_cvt_u32_f32_e32 v7, v4
	s_delay_alu instid0(SALU_CYCLE_2) | instskip(NEXT) | instid1(SALU_CYCLE_3)
	s_mul_f32 s4, s3, 0x2f800000
	s_trunc_f32 s4, s4
	s_wait_kmcnt 0x0
	v_mov_b32_e32 v0, s29
	global_load_b32 v1, v2, s[8:9] scale_offset
	v_ashrrev_i32_e32 v3, 31, v2
	s_fmamk_f32 s0, s4, 0xcf800000, s3
	s_cvt_u32_f32 s31, s4
	s_wait_xcnt 0x0
	s_delay_alu instid0(VALU_DEP_1)
	v_lshl_add_u64 v[2:3], v[2:3], 2, s[8:9]
	s_cvt_u32_f32 s30, s0
	s_mov_b64 s[8:9], 0xffffffff
.LBB26_9:                               ; =>This Inner Loop Header: Depth=1
	s_ashr_i32 s37, s36, 31
                                        ; implicit-def: $sgpr40_sgpr41
	s_delay_alu instid0(SALU_CYCLE_1) | instskip(NEXT) | instid1(SALU_CYCLE_1)
	s_mul_u64 s[0:1], s[36:37], s[18:19]
	s_and_b64 s[2:3], s[0:1], 0xffffffff00000000
	s_delay_alu instid0(SALU_CYCLE_1)
	s_cmp_lg_u64 s[2:3], 0
	s_mov_b32 s2, -1
	s_cbranch_scc0 .LBB26_11
; %bb.10:                               ;   in Loop: Header=BB26_9 Depth=1
	s_mul_u64 s[2:3], s[34:35], s[30:31]
	s_delay_alu instid0(SALU_CYCLE_1)
	s_mul_hi_u32 s5, s30, s3
	s_mul_i32 s4, s30, s3
	s_mul_hi_u32 s24, s30, s2
	s_mul_hi_u32 s17, s31, s2
	s_add_nc_u64 s[4:5], s[24:25], s[4:5]
	s_mul_i32 s2, s31, s2
	s_mul_hi_u32 s21, s31, s3
	s_add_co_u32 s2, s4, s2
	s_add_co_ci_u32 s24, s5, s17
	s_add_co_ci_u32 s5, s21, 0
	s_mul_i32 s4, s31, s3
	s_delay_alu instid0(SALU_CYCLE_1) | instskip(NEXT) | instid1(SALU_CYCLE_1)
	s_add_nc_u64 s[2:3], s[24:25], s[4:5]
	s_add_co_u32 s2, s30, s2
	s_cselect_b32 s4, -1, 0
	s_delay_alu instid0(SALU_CYCLE_1) | instskip(SKIP_1) | instid1(SALU_CYCLE_1)
	s_cmp_lg_u32 s4, 0
	s_add_co_ci_u32 s3, s31, s3
	s_mul_u64 s[4:5], s[34:35], s[2:3]
	s_delay_alu instid0(SALU_CYCLE_1)
	s_mul_hi_u32 s39, s2, s5
	s_mul_i32 s38, s2, s5
	s_mul_hi_u32 s24, s2, s4
	s_mul_hi_u32 s17, s3, s4
	s_mul_i32 s4, s3, s4
	s_add_nc_u64 s[38:39], s[24:25], s[38:39]
	s_mul_hi_u32 s21, s3, s5
	s_add_co_u32 s4, s38, s4
	s_add_co_ci_u32 s24, s39, s17
	s_mul_i32 s4, s3, s5
	s_add_co_ci_u32 s5, s21, 0
	s_delay_alu instid0(SALU_CYCLE_1) | instskip(NEXT) | instid1(SALU_CYCLE_1)
	s_add_nc_u64 s[4:5], s[24:25], s[4:5]
	s_add_co_u32 s17, s2, s4
	s_cselect_b32 s2, -1, 0
	s_delay_alu instid0(SALU_CYCLE_1) | instskip(SKIP_2) | instid1(SALU_CYCLE_1)
	s_cmp_lg_u32 s2, 0
	s_add_co_ci_u32 s21, s3, s5
	s_ashr_i32 s2, s1, 31
	s_mov_b32 s3, s2
	s_delay_alu instid0(SALU_CYCLE_1) | instskip(NEXT) | instid1(SALU_CYCLE_1)
	s_add_nc_u64 s[4:5], s[0:1], s[2:3]
	s_xor_b64 s[4:5], s[4:5], s[2:3]
	s_delay_alu instid0(SALU_CYCLE_1)
	s_mul_hi_u32 s39, s4, s21
	s_mul_i32 s38, s4, s21
	s_mul_hi_u32 s24, s4, s17
	s_mul_hi_u32 s29, s5, s17
	s_mul_i32 s17, s5, s17
	s_add_nc_u64 s[38:39], s[24:25], s[38:39]
	s_mul_hi_u32 s1, s5, s21
	s_add_co_u32 s17, s38, s17
	s_add_co_ci_u32 s24, s39, s29
	s_mul_i32 s40, s5, s21
	s_add_co_ci_u32 s41, s1, 0
	s_delay_alu instid0(SALU_CYCLE_1) | instskip(NEXT) | instid1(SALU_CYCLE_1)
	s_add_nc_u64 s[38:39], s[24:25], s[40:41]
	s_and_b64 s[40:41], s[38:39], 0xffffffff00000000
	s_delay_alu instid0(SALU_CYCLE_1) | instskip(NEXT) | instid1(SALU_CYCLE_1)
	s_or_b32 s40, s40, s38
	s_mul_u64 s[38:39], s[6:7], s[40:41]
	s_add_nc_u64 s[42:43], s[40:41], 1
	s_sub_co_u32 s1, s4, s38
	s_cselect_b32 s4, -1, 0
	s_sub_co_i32 s17, s5, s39
	s_cmp_lg_u32 s4, 0
	s_add_nc_u64 s[44:45], s[40:41], 2
	s_sub_co_ci_u32 s17, s17, s7
	s_sub_co_u32 s21, s1, s6
	s_cselect_b32 s24, -1, 0
	s_delay_alu instid0(SALU_CYCLE_1) | instskip(SKIP_1) | instid1(SALU_CYCLE_1)
	s_cmp_lg_u32 s24, 0
	s_sub_co_ci_u32 s17, s17, 0
	s_cmp_ge_u32 s17, s7
	s_cselect_b32 s24, -1, 0
	s_cmp_ge_u32 s21, s6
	s_cselect_b32 s21, -1, 0
	s_cmp_eq_u32 s17, s7
	s_cselect_b32 s17, s21, s24
	s_delay_alu instid0(SALU_CYCLE_1) | instskip(SKIP_4) | instid1(SALU_CYCLE_1)
	s_cmp_lg_u32 s17, 0
	s_cselect_b32 s17, s44, s42
	s_cselect_b32 s21, s45, s43
	s_cmp_lg_u32 s4, 0
	s_sub_co_ci_u32 s4, s5, s39
	s_cmp_ge_u32 s4, s7
	s_cselect_b32 s5, -1, 0
	s_cmp_ge_u32 s1, s6
	s_cselect_b32 s1, -1, 0
	s_cmp_eq_u32 s4, s7
	s_cselect_b32 s1, s1, s5
	s_delay_alu instid0(SALU_CYCLE_1) | instskip(SKIP_3) | instid1(SALU_CYCLE_1)
	s_cmp_lg_u32 s1, 0
	s_cselect_b32 s5, s21, s41
	s_cselect_b32 s4, s17, s40
	s_xor_b64 s[2:3], s[2:3], 0
	s_xor_b64 s[4:5], s[4:5], s[2:3]
	s_delay_alu instid0(SALU_CYCLE_1)
	s_sub_nc_u64 s[40:41], s[4:5], s[2:3]
	s_mov_b32 s2, 0
.LBB26_11:                              ;   in Loop: Header=BB26_9 Depth=1
	s_delay_alu instid0(SALU_CYCLE_1)
	s_and_not1_b32 vcc_lo, exec_lo, s2
	s_cbranch_vccnz .LBB26_13
; %bb.12:                               ;   in Loop: Header=BB26_9 Depth=1
	v_readfirstlane_b32 s1, v7
	s_sub_co_i32 s2, 0, s16
	s_delay_alu instid0(SALU_CYCLE_1) | instskip(NEXT) | instid1(SALU_CYCLE_1)
	s_mul_i32 s2, s2, s1
	s_mul_hi_u32 s2, s1, s2
	s_delay_alu instid0(SALU_CYCLE_1) | instskip(NEXT) | instid1(SALU_CYCLE_1)
	s_add_co_i32 s1, s1, s2
	s_mul_hi_u32 s1, s0, s1
	s_delay_alu instid0(SALU_CYCLE_1) | instskip(NEXT) | instid1(SALU_CYCLE_1)
	s_mul_i32 s2, s1, s16
	s_sub_co_i32 s0, s0, s2
	s_add_co_i32 s2, s1, 1
	s_sub_co_i32 s3, s0, s16
	s_cmp_ge_u32 s0, s16
	s_cselect_b32 s1, s2, s1
	s_cselect_b32 s0, s3, s0
	s_add_co_i32 s2, s1, 1
	s_cmp_ge_u32 s0, s16
	s_cselect_b32 s24, s2, s1
	s_delay_alu instid0(SALU_CYCLE_1)
	s_mov_b64 s[40:41], s[24:25]
.LBB26_13:                              ;   in Loop: Header=BB26_9 Depth=1
	s_delay_alu instid0(SALU_CYCLE_1)
	s_cmp_lg_u32 s20, s40
	s_mov_b32 s0, -1
                                        ; implicit-def: $vgpr4_vgpr5
                                        ; implicit-def: $sgpr24
                                        ; implicit-def: $sgpr17
                                        ; implicit-def: $sgpr21
                                        ; implicit-def: $sgpr29
	s_cbranch_scc0 .LBB26_18
; %bb.14:                               ;   in Loop: Header=BB26_9 Depth=1
	s_add_co_i32 s0, s36, s16
	v_max_num_f32_e64 v4, s28, s28
	s_lshl_b32 s0, s0, 4
	s_mov_b32 s29, s20
	s_add_co_i32 s0, s0, s15
	s_load_b64 s[38:39], s[10:11], s0 offset:0x0 scale_offset
	s_wait_xcnt 0x0
	v_readfirstlane_b32 s0, v4
	s_wait_kmcnt 0x0
	v_max_num_f32_e64 v5, s38, s38
	s_delay_alu instid0(VALU_DEP_1) | instskip(SKIP_1) | instid1(SALU_CYCLE_3)
	v_readfirstlane_b32 s1, v5
	s_max_num_f32 s17, s0, s1
	s_sub_f32 s33, s28, s17
	s_sub_f32 s37, s38, s17
	s_delay_alu instid0(SALU_CYCLE_2)
	s_cmp_nlt_f32 s33, 0xc2ce8ed0
	s_cselect_b32 s1, -1, 0
	s_cmp_ngt_f32 s33, 0x42b17218
	s_cselect_b32 s2, -1, 0
	s_cmp_ge_f32 s33, 0xc1a00000
	s_cselect_b32 s0, -1, 0
	s_cmp_nlt_f32 s37, 0xc2ce8ed0
	s_cselect_b32 s3, -1, 0
	s_cmp_ngt_f32 s37, 0x42b17218
	s_cselect_b32 s4, -1, 0
	s_cmp_ge_f32 s37, 0xc1a00000
	s_cselect_b32 s5, -1, 0
	s_and_b64 s[42:43], s[40:41], s[8:9]
	s_delay_alu instid0(SALU_CYCLE_1) | instskip(NEXT) | instid1(SALU_CYCLE_1)
	s_mul_u64 s[42:43], s[42:43], s[22:23]
	s_add_co_i32 s21, s43, s40
	s_delay_alu instid0(SALU_CYCLE_1) | instskip(NEXT) | instid1(SALU_CYCLE_1)
	s_lshr_b32 s21, s21, s13
	s_mul_i32 s24, s21, s14
	s_delay_alu instid0(SALU_CYCLE_1) | instskip(SKIP_3) | instid1(SALU_CYCLE_1)
	s_cmp_eq_u32 s24, s40
	s_cselect_b32 s24, -1, 0
	s_cmp_lt_u32 s21, s12
	s_cselect_b32 s21, -1, 0
	s_or_b32 s21, s21, s24
	s_mov_b32 s24, -1
	s_and_b32 vcc_lo, exec_lo, s21
	s_mov_b32 s21, s36
	s_cbranch_vccnz .LBB26_16
; %bb.15:                               ;   in Loop: Header=BB26_9 Depth=1
	s_add_co_i32 s21, s36, -1
	s_mov_b32 s24, 0
	s_mov_b32 s29, s40
.LBB26_16:                              ;   in Loop: Header=BB26_9 Depth=1
	v_lshl_add_u32 v4, s36, 11, v6
	s_mul_f32 s40, s33, 0x3fb8aa3b
	s_mul_f32 s38, s37, 0x3fb8aa3b
	s_delay_alu instid0(SALU_CYCLE_2)
	s_xor_b32 s42, s40, 0x80000000
	global_load_b32 v5, v4, s[26:27] scale_offset
	s_fmamk_f32 s42, s33, 0x3fb8aa3b, s42
	s_rndne_f32 s44, s40
	s_xor_b32 s41, s38, 0x80000000
	s_rndne_f32 s43, s38
	s_fmamk_f32 s33, s33, 0x32a5705f, s42
	s_sub_f32 s40, s40, s44
	s_fmamk_f32 s41, s37, 0x3fb8aa3b, s41
	s_sub_f32 s38, s38, s43
	s_delay_alu instid0(SALU_CYCLE_1) | instskip(NEXT) | instid1(SALU_CYCLE_1)
	s_add_f32 s33, s40, s33
	s_fmamk_f32 s37, s37, 0x32a5705f, s41
	s_cvt_i32_f32 s40, s44
	s_delay_alu instid0(SALU_CYCLE_1) | instskip(NEXT) | instid1(SALU_CYCLE_1)
	v_s_exp_f32 s33, s33
	s_add_f32 s37, s38, s37
	s_cvt_i32_f32 s38, s43
	s_delay_alu instid0(SALU_CYCLE_2) | instskip(NEXT) | instid1(TRANS32_DEP_2)
	v_s_exp_f32 s37, s37
	v_ldexp_f32 v8, s33, s40
	s_wait_xcnt 0x0
	s_delay_alu instid0(TRANS32_DEP_1) | instskip(NEXT) | instid1(VALU_DEP_2)
	v_ldexp_f32 v4, s37, s38
	v_cndmask_b32_e64 v8, 0, v8, s1
	s_delay_alu instid0(VALU_DEP_1) | instskip(NEXT) | instid1(VALU_DEP_1)
	v_cndmask_b32_e64 v9, 0x7f800000, v8, s2
	v_dual_cndmask_b32 v4, 0, v4, s3 :: v_dual_cndmask_b32 v10, 0, v9, s0
	s_delay_alu instid0(VALU_DEP_1) | instskip(NEXT) | instid1(VALU_DEP_1)
	v_cndmask_b32_e64 v4, 0x7f800000, v4, s4
	v_dual_cndmask_b32 v8, 0, v4, s5 :: v_dual_mov_b32 v4, s39
	s_wait_loadcnt 0x0
	s_delay_alu instid0(VALU_DEP_1) | instskip(NEXT) | instid1(VALU_DEP_1)
	v_pk_mul_f32 v[4:5], v[4:5], v[8:9] op_sel_hi:[1,0]
	v_pk_fma_f32 v[4:5], v[0:1], v[10:11], v[4:5] op_sel_hi:[1,0,1]
	s_cbranch_execz .LBB26_19
.LBB26_17:                              ;   in Loop: Header=BB26_9 Depth=1
	s_and_not1_b32 vcc_lo, exec_lo, s24
	s_cbranch_vccnz .LBB26_20
	s_branch .LBB26_23
.LBB26_18:                              ;   in Loop: Header=BB26_9 Depth=1
	s_and_not1_b32 vcc_lo, exec_lo, s0
	s_cbranch_vccnz .LBB26_17
.LBB26_19:                              ;   in Loop: Header=BB26_9 Depth=1
	s_wait_loadcnt 0x0
	v_mov_b64_e32 v[4:5], v[0:1]
	s_add_co_i32 s21, s36, -1
	s_mov_b32 s29, s20
	s_mov_b32 s17, s28
	s_cbranch_execz .LBB26_23
.LBB26_20:                              ;   in Loop: Header=BB26_9 Depth=1
	s_wait_loadcnt 0x0
	s_delay_alu instid0(VALU_DEP_1)
	v_mov_b64_e32 v[0:1], v[4:5]
	s_mov_b32 s20, s29
	s_mov_b32 s36, s21
	;; [unrolled: 1-line block ×3, first 2 shown]
	s_branch .LBB26_9
.LBB26_21:
                                        ; implicit-def: $sgpr20_sgpr21
	s_branch .LBB26_2
.LBB26_22:
                                        ; implicit-def: $sgpr24_sgpr25
	s_load_b96 s[12:14], s[0:1], 0x44
	s_branch .LBB26_5
.LBB26_23:
	s_delay_alu instid0(VALU_DEP_1) | instskip(SKIP_1) | instid1(VALU_DEP_1)
	v_div_scale_f32 v0, null, v4, v4, v5
	s_wait_loadcnt 0x0
	v_rcp_f32_e32 v1, v0
	v_nop
	s_delay_alu instid0(TRANS32_DEP_1) | instskip(NEXT) | instid1(VALU_DEP_1)
	v_fma_f32 v6, -v0, v1, 1.0
	v_fmac_f32_e32 v1, v6, v1
	v_div_scale_f32 v6, vcc_lo, v5, v4, v5
	s_delay_alu instid0(VALU_DEP_1) | instskip(NEXT) | instid1(VALU_DEP_1)
	v_mul_f32_e32 v7, v6, v1
	v_fma_f32 v8, -v0, v7, v6
	s_delay_alu instid0(VALU_DEP_1) | instskip(NEXT) | instid1(VALU_DEP_1)
	v_fmac_f32_e32 v7, v8, v1
	v_fma_f32 v0, -v0, v7, v6
	s_delay_alu instid0(VALU_DEP_1) | instskip(NEXT) | instid1(VALU_DEP_1)
	v_div_fmas_f32 v0, v0, v1, v7
	v_div_fixup_f32 v0, v0, v4, v5
	global_store_b32 v[2:3], v0, off
.LBB26_24:
	s_endpgm
	.section	.rodata,"a",@progbits
	.p2align	6, 0x0
	.amdhsa_kernel _ZL33flash_attn_stream_k_fixup_generalILi128ELi4ELi4EEvPfPK15HIP_vector_typeIfLj2EEiiiiS1_IjLj3EES5_S5_S5_
		.amdhsa_group_segment_fixed_size 0
		.amdhsa_private_segment_fixed_size 0
		.amdhsa_kernarg_size 336
		.amdhsa_user_sgpr_count 2
		.amdhsa_user_sgpr_dispatch_ptr 0
		.amdhsa_user_sgpr_queue_ptr 0
		.amdhsa_user_sgpr_kernarg_segment_ptr 1
		.amdhsa_user_sgpr_dispatch_id 0
		.amdhsa_user_sgpr_kernarg_preload_length 0
		.amdhsa_user_sgpr_kernarg_preload_offset 0
		.amdhsa_user_sgpr_private_segment_size 0
		.amdhsa_wavefront_size32 1
		.amdhsa_uses_dynamic_stack 0
		.amdhsa_enable_private_segment 0
		.amdhsa_system_sgpr_workgroup_id_x 1
		.amdhsa_system_sgpr_workgroup_id_y 1
		.amdhsa_system_sgpr_workgroup_id_z 1
		.amdhsa_system_sgpr_workgroup_info 0
		.amdhsa_system_vgpr_workitem_id 0
		.amdhsa_next_free_vgpr 12
		.amdhsa_next_free_sgpr 46
		.amdhsa_named_barrier_count 0
		.amdhsa_reserve_vcc 1
		.amdhsa_float_round_mode_32 0
		.amdhsa_float_round_mode_16_64 0
		.amdhsa_float_denorm_mode_32 3
		.amdhsa_float_denorm_mode_16_64 3
		.amdhsa_fp16_overflow 0
		.amdhsa_memory_ordered 1
		.amdhsa_forward_progress 1
		.amdhsa_inst_pref_size 27
		.amdhsa_round_robin_scheduling 0
		.amdhsa_exception_fp_ieee_invalid_op 0
		.amdhsa_exception_fp_denorm_src 0
		.amdhsa_exception_fp_ieee_div_zero 0
		.amdhsa_exception_fp_ieee_overflow 0
		.amdhsa_exception_fp_ieee_underflow 0
		.amdhsa_exception_fp_ieee_inexact 0
		.amdhsa_exception_int_div_zero 0
	.end_amdhsa_kernel
	.section	.text._ZL33flash_attn_stream_k_fixup_generalILi128ELi4ELi4EEvPfPK15HIP_vector_typeIfLj2EEiiiiS1_IjLj3EES5_S5_S5_,"axG",@progbits,_ZL33flash_attn_stream_k_fixup_generalILi128ELi4ELi4EEvPfPK15HIP_vector_typeIfLj2EEiiiiS1_IjLj3EES5_S5_S5_,comdat
.Lfunc_end26:
	.size	_ZL33flash_attn_stream_k_fixup_generalILi128ELi4ELi4EEvPfPK15HIP_vector_typeIfLj2EEiiiiS1_IjLj3EES5_S5_S5_, .Lfunc_end26-_ZL33flash_attn_stream_k_fixup_generalILi128ELi4ELi4EEvPfPK15HIP_vector_typeIfLj2EEiiiiS1_IjLj3EES5_S5_S5_
                                        ; -- End function
	.set _ZL33flash_attn_stream_k_fixup_generalILi128ELi4ELi4EEvPfPK15HIP_vector_typeIfLj2EEiiiiS1_IjLj3EES5_S5_S5_.num_vgpr, 12
	.set _ZL33flash_attn_stream_k_fixup_generalILi128ELi4ELi4EEvPfPK15HIP_vector_typeIfLj2EEiiiiS1_IjLj3EES5_S5_S5_.num_agpr, 0
	.set _ZL33flash_attn_stream_k_fixup_generalILi128ELi4ELi4EEvPfPK15HIP_vector_typeIfLj2EEiiiiS1_IjLj3EES5_S5_S5_.numbered_sgpr, 46
	.set _ZL33flash_attn_stream_k_fixup_generalILi128ELi4ELi4EEvPfPK15HIP_vector_typeIfLj2EEiiiiS1_IjLj3EES5_S5_S5_.num_named_barrier, 0
	.set _ZL33flash_attn_stream_k_fixup_generalILi128ELi4ELi4EEvPfPK15HIP_vector_typeIfLj2EEiiiiS1_IjLj3EES5_S5_S5_.private_seg_size, 0
	.set _ZL33flash_attn_stream_k_fixup_generalILi128ELi4ELi4EEvPfPK15HIP_vector_typeIfLj2EEiiiiS1_IjLj3EES5_S5_S5_.uses_vcc, 1
	.set _ZL33flash_attn_stream_k_fixup_generalILi128ELi4ELi4EEvPfPK15HIP_vector_typeIfLj2EEiiiiS1_IjLj3EES5_S5_S5_.uses_flat_scratch, 0
	.set _ZL33flash_attn_stream_k_fixup_generalILi128ELi4ELi4EEvPfPK15HIP_vector_typeIfLj2EEiiiiS1_IjLj3EES5_S5_S5_.has_dyn_sized_stack, 0
	.set _ZL33flash_attn_stream_k_fixup_generalILi128ELi4ELi4EEvPfPK15HIP_vector_typeIfLj2EEiiiiS1_IjLj3EES5_S5_S5_.has_recursion, 0
	.set _ZL33flash_attn_stream_k_fixup_generalILi128ELi4ELi4EEvPfPK15HIP_vector_typeIfLj2EEiiiiS1_IjLj3EES5_S5_S5_.has_indirect_call, 0
	.section	.AMDGPU.csdata,"",@progbits
; Kernel info:
; codeLenInByte = 3360
; TotalNumSgprs: 48
; NumVgprs: 12
; ScratchSize: 0
; MemoryBound: 0
; FloatMode: 240
; IeeeMode: 1
; LDSByteSize: 0 bytes/workgroup (compile time only)
; SGPRBlocks: 0
; VGPRBlocks: 0
; NumSGPRsForWavesPerEU: 48
; NumVGPRsForWavesPerEU: 12
; NamedBarCnt: 0
; Occupancy: 16
; WaveLimiterHint : 0
; COMPUTE_PGM_RSRC2:SCRATCH_EN: 0
; COMPUTE_PGM_RSRC2:USER_SGPR: 2
; COMPUTE_PGM_RSRC2:TRAP_HANDLER: 0
; COMPUTE_PGM_RSRC2:TGID_X_EN: 1
; COMPUTE_PGM_RSRC2:TGID_Y_EN: 1
; COMPUTE_PGM_RSRC2:TGID_Z_EN: 1
; COMPUTE_PGM_RSRC2:TIDIG_COMP_CNT: 0
	.section	.text._ZL15flash_attn_tileILi128ELi128ELi2ELi4ELb0EEvPKcS1_S1_S1_S1_PKiPfP15HIP_vector_typeIfLj2EEffffjfiS5_IjLj3EEiiiiiiiiiiiliiliiiiil,"axG",@progbits,_ZL15flash_attn_tileILi128ELi128ELi2ELi4ELb0EEvPKcS1_S1_S1_S1_PKiPfP15HIP_vector_typeIfLj2EEffffjfiS5_IjLj3EEiiiiiiiiiiiliiliiiiil,comdat
	.globl	_ZL15flash_attn_tileILi128ELi128ELi2ELi4ELb0EEvPKcS1_S1_S1_S1_PKiPfP15HIP_vector_typeIfLj2EEffffjfiS5_IjLj3EEiiiiiiiiiiiliiliiiiil ; -- Begin function _ZL15flash_attn_tileILi128ELi128ELi2ELi4ELb0EEvPKcS1_S1_S1_S1_PKiPfP15HIP_vector_typeIfLj2EEffffjfiS5_IjLj3EEiiiiiiiiiiiliiliiiiil
	.p2align	8
	.type	_ZL15flash_attn_tileILi128ELi128ELi2ELi4ELb0EEvPKcS1_S1_S1_S1_PKiPfP15HIP_vector_typeIfLj2EEffffjfiS5_IjLj3EEiiiiiiiiiiiliiliiiiil,@function
_ZL15flash_attn_tileILi128ELi128ELi2ELi4ELb0EEvPKcS1_S1_S1_S1_PKiPfP15HIP_vector_typeIfLj2EEffffjfiS5_IjLj3EEiiiiiiiiiiiliiliiiiil: ; @_ZL15flash_attn_tileILi128ELi128ELi2ELi4ELb0EEvPKcS1_S1_S1_S1_PKiPfP15HIP_vector_typeIfLj2EEffffjfiS5_IjLj3EEiiiiiiiiiiiliiliiiiil
; %bb.0:
	s_clause 0x1
	s_load_b128 s[20:23], s[0:1], 0x5c
	s_load_b64 s[30:31], s[0:1], 0x80
	s_bfe_u32 s5, ttmp6, 0x40014
	s_lshr_b32 s4, ttmp7, 16
	s_add_co_i32 s5, s5, 1
	s_bfe_u32 s6, ttmp6, 0x40008
	s_mul_i32 s5, s4, s5
	s_getreg_b32 s27, hwreg(HW_REG_IB_STS2, 6, 4)
	s_add_co_i32 s6, s6, s5
	s_load_b64 s[36:37], s[0:1], 0xb8
	s_mov_b64 s[34:35], 0
	s_wait_kmcnt 0x0
	s_ashr_i32 s2, s23, 31
	s_delay_alu instid0(SALU_CYCLE_1) | instskip(NEXT) | instid1(SALU_CYCLE_1)
	s_lshr_b32 s2, s2, 30
	s_add_co_i32 s2, s23, s2
	s_delay_alu instid0(SALU_CYCLE_1) | instskip(NEXT) | instid1(SALU_CYCLE_1)
	s_ashr_i32 s2, s2, 2
	s_cvt_f32_u32 s3, s2
	s_sub_co_i32 s7, 0, s2
	s_delay_alu instid0(SALU_CYCLE_2) | instskip(SKIP_1) | instid1(TRANS32_DEP_1)
	v_rcp_iflag_f32_e32 v1, s3
	v_nop
	v_readfirstlane_b32 s3, v1
	s_mul_f32 s3, s3, 0x4f7ffffe
	s_delay_alu instid0(SALU_CYCLE_3) | instskip(NEXT) | instid1(SALU_CYCLE_3)
	s_cvt_u32_f32 s3, s3
	s_mul_i32 s7, s7, s3
	s_delay_alu instid0(SALU_CYCLE_1) | instskip(NEXT) | instid1(SALU_CYCLE_1)
	s_mul_hi_u32 s7, s3, s7
	s_add_co_i32 s3, s3, s7
	s_cmp_eq_u32 s27, 0
	s_cselect_b32 s4, s4, s6
	s_delay_alu instid0(SALU_CYCLE_1) | instskip(NEXT) | instid1(SALU_CYCLE_1)
	s_mul_hi_u32 s3, s4, s3
	s_mul_i32 s5, s3, s2
	s_add_co_i32 s6, s3, 1
	s_sub_co_i32 s5, s4, s5
	s_delay_alu instid0(SALU_CYCLE_1)
	s_sub_co_i32 s7, s5, s2
	s_cmp_ge_u32 s5, s2
	s_cselect_b32 s3, s6, s3
	s_cselect_b32 s5, s7, s5
	s_add_co_i32 s6, s3, 1
	s_cmp_ge_u32 s5, s2
	s_cselect_b32 s28, s6, s3
	s_abs_i32 s2, s31
	s_abs_i32 s7, s23
	s_cvt_f32_u32 s3, s2
	s_sub_co_i32 s5, 0, s2
	s_lshl_b32 s4, s4, 2
	s_mul_i32 s6, s28, s23
	v_rcp_iflag_f32_e32 v1, s3
	s_sub_co_i32 s33, s4, s6
	s_xor_b32 s4, s23, s31
	s_delay_alu instid0(SALU_CYCLE_1) | instskip(SKIP_1) | instid1(TRANS32_DEP_1)
	s_ashr_i32 s24, s4, 31
	v_nop
	v_readfirstlane_b32 s3, v1
	s_mul_f32 s3, s3, 0x4f7ffffe
	s_delay_alu instid0(SALU_CYCLE_3) | instskip(NEXT) | instid1(SALU_CYCLE_3)
	s_cvt_u32_f32 s3, s3
	s_mul_i32 s5, s5, s3
	s_delay_alu instid0(SALU_CYCLE_1) | instskip(NEXT) | instid1(SALU_CYCLE_1)
	s_mul_hi_u32 s5, s3, s5
	s_add_co_i32 s3, s3, s5
	s_delay_alu instid0(SALU_CYCLE_1) | instskip(NEXT) | instid1(SALU_CYCLE_1)
	s_mul_hi_u32 s3, s7, s3
	s_mul_i32 s5, s3, s2
	s_delay_alu instid0(SALU_CYCLE_1)
	s_sub_co_i32 s4, s7, s5
	s_add_co_i32 s5, s3, 1
	s_sub_co_i32 s6, s4, s2
	s_cmp_ge_u32 s4, s2
	s_cselect_b32 s3, s5, s3
	s_cselect_b32 s4, s6, s4
	s_add_co_i32 s5, s3, 1
	s_cmp_ge_u32 s4, s2
	s_cselect_b32 s2, s5, s3
	s_load_b512 s[4:19], s[0:1], 0x0
	s_xor_b32 s2, s2, s24
	s_mov_b32 s3, 0
	s_sub_co_i32 s29, s2, s24
	s_delay_alu instid0(SALU_CYCLE_1) | instskip(NEXT) | instid1(SALU_CYCLE_1)
	s_abs_i32 s38, s29
	s_cvt_f32_u32 s2, s38
	s_delay_alu instid0(SALU_CYCLE_3) | instskip(SKIP_1) | instid1(TRANS32_DEP_1)
	v_rcp_iflag_f32_e32 v1, s2
	v_nop
	v_readfirstlane_b32 s2, v1
	s_wait_kmcnt 0x0
	s_cmp_eq_u64 s[10:11], 0
	s_cbranch_scc1 .LBB27_2
; %bb.1:
	s_abs_i32 s26, s36
	s_abs_i32 s31, s28
	s_cvt_f32_u32 s24, s26
	s_sub_co_i32 s25, 0, s26
	s_delay_alu instid0(SALU_CYCLE_2) | instskip(SKIP_1) | instid1(TRANS32_DEP_1)
	v_rcp_iflag_f32_e32 v1, s24
	v_nop
	v_readfirstlane_b32 s24, v1
	s_mul_f32 s24, s24, 0x4f7ffffe
	s_delay_alu instid0(SALU_CYCLE_3) | instskip(NEXT) | instid1(SALU_CYCLE_3)
	s_cvt_u32_f32 s24, s24
	s_mul_i32 s25, s25, s24
	s_delay_alu instid0(SALU_CYCLE_1) | instskip(NEXT) | instid1(SALU_CYCLE_1)
	s_mul_hi_u32 s25, s24, s25
	s_add_co_i32 s24, s24, s25
	s_delay_alu instid0(SALU_CYCLE_1) | instskip(SKIP_2) | instid1(SALU_CYCLE_1)
	s_mul_hi_u32 s34, s31, s24
	s_load_b64 s[24:25], s[0:1], 0xc8
	s_mul_i32 s34, s34, s26
	s_sub_co_i32 s31, s31, s34
	s_ashr_i32 s34, s28, 31
	s_sub_co_i32 s35, s31, s26
	s_cmp_ge_u32 s31, s26
	s_cselect_b32 s31, s35, s31
	s_delay_alu instid0(SALU_CYCLE_1) | instskip(SKIP_2) | instid1(SALU_CYCLE_1)
	s_sub_co_i32 s35, s31, s26
	s_cmp_ge_u32 s31, s26
	s_cselect_b32 s26, s35, s31
	s_xor_b32 s26, s26, s34
	s_delay_alu instid0(SALU_CYCLE_1) | instskip(NEXT) | instid1(SALU_CYCLE_1)
	s_sub_co_i32 s34, s26, s34
	s_ashr_i32 s35, s34, 31
	s_wait_kmcnt 0x0
	s_mul_u64 s[24:25], s[24:25], s[34:35]
	s_delay_alu instid0(SALU_CYCLE_1)
	s_add_nc_u64 s[34:35], s[10:11], s[24:25]
.LBB27_2:
	s_bfe_u32 s10, ttmp6, 0x4000c
	v_dual_lshrrev_b32 v1, 10, v0 :: v_dual_mov_b32 v3, 0
	s_add_co_i32 s10, s10, 1
	s_and_b32 s11, ttmp6, 15
	s_mul_i32 s10, ttmp9, s10
	s_delay_alu instid0(VALU_DEP_1)
	v_bfe_u32 v1, v1, 1, 9
	s_add_co_i32 s11, s11, s10
	s_cmp_eq_u32 s27, 0
	s_load_b96 s[24:26], s[0:1], 0x70
	s_cselect_b32 s10, ttmp9, s11
	v_mov_b32_e32 v17, v3
	v_lshl_add_u32 v48, s10, 1, v1
	s_delay_alu instid0(VALU_DEP_1) | instskip(NEXT) | instid1(VALU_DEP_1)
	v_mul_hi_u32 v1, s20, v48
	v_add_nc_u32_e32 v1, v48, v1
	s_wait_kmcnt 0x0
	s_mul_i32 s20, s33, s25
	s_ashr_i32 s41, s25, 31
	s_mov_b32 s40, s25
	s_ashr_i32 s25, s24, 31
	v_lshrrev_b32_e32 v1, s21, v1
	s_lshr_b64 s[24:25], s[24:25], 2
	s_ashr_i32 s21, s20, 31
	s_delay_alu instid0(VALU_DEP_1) | instskip(NEXT) | instid1(VALU_DEP_1)
	v_mul_lo_u32 v1, v1, s22
	v_sub_nc_u32_e32 v2, v48, v1
	v_bfe_u32 v1, v0, 10, 10
	s_delay_alu instid0(VALU_DEP_1) | instskip(NEXT) | instid1(VALU_DEP_3)
	v_lshlrev_b32_e32 v4, 1, v1
	v_mul_u64_e32 v[6:7], s[24:25], v[2:3]
	s_lshr_b64 s[24:25], s[40:41], 2
	s_delay_alu instid0(VALU_DEP_2) | instskip(SKIP_2) | instid1(VALU_DEP_3)
	v_and_b32_e32 v16, 2, v4
	v_bitop3_b32 v8, v4, 3, 1 bitop3:0xc8
	v_or_b32_e32 v5, 1, v4
	v_mul_u64_e32 v[10:11], s[24:25], v[16:17]
	v_and_b32_e32 v17, 0x3ff, v0
	v_dual_mov_b32 v9, v3 :: v_dual_mov_b32 v13, v3
	v_lshlrev_b32_e32 v0, 9, v1
	s_delay_alu instid0(VALU_DEP_3) | instskip(NEXT) | instid1(VALU_DEP_3)
	v_lshlrev_b32_e32 v12, 4, v17
	v_mul_u64_e32 v[8:9], s[24:25], v[8:9]
	s_mul_i32 s24, s28, s26
	v_lshlrev_b32_e32 v50, 3, v17
	s_ashr_i32 s25, s24, 31
	s_cmp_eq_u64 s[14:15], 0
	s_add_nc_u64 s[4:5], s[4:5], s[24:25]
	s_delay_alu instid0(SALU_CYCLE_1) | instskip(SKIP_3) | instid1(VALU_DEP_1)
	s_add_nc_u64 s[4:5], s[4:5], s[20:21]
	v_add_nc_u32_e32 v3, 0x2400, v50
	v_lshl_add_u64 v[6:7], v[6:7], 2, s[4:5]
	s_load_b32 s4, s[0:1], 0x40
	v_add_nc_u64_e32 v[6:7], v[6:7], v[12:13]
	s_delay_alu instid0(VALU_DEP_1)
	v_lshl_add_u64 v[14:15], v[10:11], 2, v[6:7]
	v_lshl_add_u64 v[18:19], v[8:9], 2, v[6:7]
	s_clause 0x1
	global_load_b128 v[6:9], v[14:15], off
	global_load_b128 v[10:13], v[18:19], off
	s_wait_loadcnt 0x1
	s_wait_kmcnt 0x0
	v_fma_mixlo_f16 v6, s4, v6, 0
	v_fma_mixlo_f16 v7, s4, v7, 0
	;; [unrolled: 1-line block ×3, first 2 shown]
	s_wait_loadcnt 0x0
	v_fma_mixlo_f16 v10, s4, v10, 0
	v_fma_mixlo_f16 v11, s4, v11, 0
	v_dual_add_nc_u32 v14, v3, v0 :: v_dual_lshlrev_b32 v7, 16, v7
	v_fma_mixlo_f16 v8, s4, v8, 0
	v_fma_mixlo_f16 v13, s4, v13, 0
	v_and_b32_e32 v6, 0xffff, v6
	v_fma_mixlo_f16 v12, s4, v12, 0
	v_dual_lshlrev_b32 v9, 16, v9 :: v_dual_lshlrev_b32 v11, 16, v11
	v_and_b32_e32 v10, 0xffff, v10
	v_and_b32_e32 v8, 0xffff, v8
	v_dual_lshlrev_b32 v13, 16, v13 :: v_dual_bitop2_b32 v6, v7, v6 bitop3:0x54
	v_and_b32_e32 v12, 0xffff, v12
	s_delay_alu instid0(VALU_DEP_4) | instskip(NEXT) | instid1(VALU_DEP_4)
	v_or_b32_e32 v10, v11, v10
	v_or3_b32 v7, v9, v8, 0
	v_lshl_add_u32 v3, v5, 8, v3
	v_or3_b32 v6, 0, 0, v6
	v_or3_b32 v9, v13, v12, 0
	;; [unrolled: 1-line block ×3, first 2 shown]
	ds_store_b64 v14, v[6:7]
	ds_store_b64 v3, v[8:9]
	s_wait_dscnt 0x0
	s_barrier_signal -1
	s_barrier_wait -1
	s_cbranch_scc1 .LBB27_4
; %bb.3:
	s_load_b32 s4, s[0:1], 0xd0
	s_wait_kmcnt 0x0
	s_mul_i32 s4, s4, s28
	s_delay_alu instid0(SALU_CYCLE_1)
	s_add_co_i32 s4, s4, s10
	s_load_b32 s30, s[14:15], s4 offset:0x0 scale_offset
.LBB27_4:
	s_wait_xcnt 0x0
	s_bfe_u32 s4, ttmp6, 0x40010
	s_and_b32 s5, ttmp7, 0xffff
	s_add_co_i32 s4, s4, 1
	s_bfe_u32 s10, ttmp6, 0x40004
	s_mul_i32 s4, s5, s4
	v_mbcnt_lo_u32_b32 v51, -1, 0
	s_add_co_i32 s10, s10, s4
	s_cmp_eq_u32 s27, 0
	s_mov_b32 s4, 0
	s_cselect_b32 s31, s5, s10
	s_delay_alu instid0(SALU_CYCLE_1)
	s_lshl_b32 s10, s31, 6
	s_wait_kmcnt 0x0
	s_cmp_lt_i32 s10, s30
	s_cbranch_scc1 .LBB27_7
; %bb.5:
	v_mbcnt_lo_u32_b32 v5, -1, 0
	s_delay_alu instid0(VALU_DEP_1)
	v_dual_mov_b32 v3, 32 :: v_dual_bitop2_b32 v56, 16, v5 bitop3:0x14
	v_xor_b32_e32 v55, 8, v5
	v_xor_b32_e32 v54, 4, v5
	;; [unrolled: 1-line block ×4, first 2 shown]
	v_lshlrev_b32_e32 v49, 2, v17
	s_and_not1_b32 vcc_lo, exec_lo, s4
	s_cbranch_vccz .LBB27_8
; %bb.6:
	v_dual_mov_b32 v41, 0xfeffffff :: v_dual_mov_b32 v76, 0
	v_dual_mov_b32 v21, 0 :: v_dual_mov_b32 v75, 0
	;; [unrolled: 1-line block ×3, first 2 shown]
	s_delay_alu instid0(VALU_DEP_2)
	v_dual_mov_b32 v40, v41 :: v_dual_mov_b32 v20, v21
	s_branch .LBB27_11
.LBB27_7:
                                        ; implicit-def: $vgpr5
                                        ; implicit-def: $vgpr3
                                        ; implicit-def: $vgpr56
                                        ; implicit-def: $vgpr55
                                        ; implicit-def: $vgpr54
                                        ; implicit-def: $vgpr53
                                        ; implicit-def: $vgpr52
	v_lshlrev_b32_e32 v49, 2, v17
.LBB27_8:
	s_clause 0x1
	s_load_b64 s[4:5], s[0:1], 0x8c
	s_load_b128 s[24:27], s[0:1], 0x98
	s_mul_f32 s2, s2, 0x4f7ffffe
	s_sub_co_i32 s11, 0, s38
	s_mov_b32 s15, s3
	s_ashr_i32 s20, s33, 31
	s_cvt_u32_f32 s14, s2
	s_abs_i32 s2, s33
	s_ashr_i32 s21, s29, 31
	s_load_b64 s[40:41], s[0:1], 0xa8
	s_mul_i32 s11, s11, s14
	s_ashr_i32 s29, s28, 31
	s_mul_hi_u32 s11, s14, s11
	s_xor_b32 s21, s20, s21
	s_add_co_i32 s14, s14, s11
	s_ashr_i32 s11, s37, 1
	s_mul_u64 s[14:15], s[2:3], s[14:15]
	v_dual_lshrrev_b32 v3, 3, v17 :: v_dual_lshrrev_b32 v5, 4, v17
	s_mul_i32 s3, s15, s38
	s_wait_kmcnt 0x0
	s_ashr_i32 s20, s4, 2
	s_sub_co_i32 s2, s2, s3
	s_ashr_i32 s14, s26, 2
	s_add_co_i32 s3, s15, 1
	s_sub_co_i32 s4, s2, s38
	s_cmp_ge_u32 s2, s38
	v_lshl_add_u32 v3, v1, 2, v3
	s_cselect_b32 s3, s3, s15
	s_cselect_b32 s2, s4, s2
	s_add_co_i32 s4, s3, 1
	s_cmp_ge_u32 s2, s38
	v_mul_lo_u32 v18, s20, v3
	s_cselect_b32 s2, s4, s3
	v_dual_add_nc_u32 v5, v5, v4 :: v_dual_bitop2_b32 v6, 28, v49 bitop3:0x40
	s_xor_b32 s2, s2, s21
	v_mov_b32_e32 v25, 0
	s_sub_co_i32 s15, s2, s21
	s_mul_u64 s[2:3], s[24:25], s[28:29]
	s_mul_i32 s4, s15, s5
	s_add_nc_u64 s[2:3], s[6:7], s[2:3]
	s_ashr_i32 s5, s4, 31
	v_mul_lo_u32 v4, s14, v5
	s_add_nc_u64 s[24:25], s[2:3], s[4:5]
	s_mul_u64 s[2:3], s[40:41], s[28:29]
	s_mul_i32 s4, s15, s27
	s_add_nc_u64 s[2:3], s[8:9], s[2:3]
	s_ashr_i32 s5, s4, 31
	v_ashrrev_i32_e32 v19, 31, v18
	s_add_nc_u64 s[8:9], s[2:3], s[4:5]
	s_lshl_b32 s2, s20, 4
	v_lshlrev_b32_e32 v7, 2, v6
	v_add_nc_u32_e32 v22, s2, v18
	v_dual_mov_b32 v76, v25 :: v_dual_add_nc_u32 v61, 0x2400, v0
	v_mad_u32 v64, v2, s11, v17
	s_delay_alu instid0(VALU_DEP_4) | instskip(NEXT) | instid1(VALU_DEP_4)
	v_mad_u32_u24 v57, 0x90, v3, v7
	v_dual_add_nc_u32 v26, s2, v22 :: v_dual_ashrrev_i32 v23, 31, v22
	v_and_b32_e32 v8, 60, v49
	v_lshl_add_u32 v65, v1, 8, 0x2c00
	s_delay_alu instid0(VALU_DEP_3) | instskip(NEXT) | instid1(VALU_DEP_3)
	v_dual_mov_b32 v40, 0xfeffffff :: v_dual_ashrrev_i32 v27, 31, v26
	v_dual_add_nc_u32 v28, s2, v26 :: v_dual_lshlrev_b32 v3, 2, v8
	s_lshl_b32 s2, s14, 3
	v_dual_mov_b32 v33, v25 :: v_dual_add_nc_u32 v58, 0x900, v57
	v_add_nc_u32_e32 v10, s2, v4
	s_delay_alu instid0(VALU_DEP_3) | instskip(SKIP_4) | instid1(VALU_DEP_4)
	v_lshl_or_b32 v63, v5, 8, v3
	v_ashrrev_i32_e32 v5, 31, v4
	v_ashrrev_i32_e32 v29, 31, v28
	v_dual_mov_b32 v74, v25 :: v_dual_add_nc_u32 v59, 0x1200, v57
	v_dual_add_nc_u32 v0, s2, v10 :: v_dual_ashrrev_i32 v11, 31, v10
	v_lshlrev_b64_e32 v[30:31], 2, v[4:5]
	v_dual_mov_b32 v73, v25 :: v_dual_add_nc_u32 v60, 0x1b00, v57
	s_delay_alu instid0(VALU_DEP_3) | instskip(NEXT) | instid1(VALU_DEP_4)
	v_dual_add_nc_u32 v2, s2, v0 :: v_dual_ashrrev_i32 v1, 31, v0
	v_lshlrev_b64_e32 v[34:35], 2, v[10:11]
	v_mul_u32_u24_e32 v62, 0x90, v17
	v_dual_mov_b32 v75, v25 :: v_dual_add_nc_u32 v66, 0x800, v63
	s_delay_alu instid0(VALU_DEP_4) | instskip(SKIP_3) | instid1(VALU_DEP_4)
	v_ashrrev_i32_e32 v3, 31, v2
	v_lshlrev_b64_e32 v[36:37], 2, v[0:1]
	v_dual_mov_b32 v20, v25 :: v_dual_add_nc_u32 v67, 0x1000, v63
	v_dual_lshlrev_b32 v24, 2, v6 :: v_dual_bitop2_b32 v56, 16, v51 bitop3:0x14
	v_lshlrev_b64_e32 v[38:39], 2, v[2:3]
	v_dual_lshlrev_b32 v32, 2, v8 :: v_dual_bitop2_b32 v55, 8, v51 bitop3:0x14
	v_dual_mov_b32 v21, v25 :: v_dual_bitop2_b32 v54, 4, v51 bitop3:0x14
	v_xor_b32_e32 v53, 2, v51
	v_dual_add_nc_u32 v69, v65, v49 :: v_dual_bitop2_b32 v52, 1, v51 bitop3:0x14
	v_dual_mov_b32 v41, v40 :: v_dual_add_nc_u32 v68, 0x1800, v63
	v_add_nc_u32_e32 v70, 0x800, v50
	v_add_nc_u32_e32 v71, 0x1000, v50
	;; [unrolled: 1-line block ×3, first 2 shown]
	s_ashr_i32 s21, s20, 31
	s_ashr_i32 s15, s14, 31
	s_add_nc_u64 s[26:27], s[0:1], 0xd0
.LBB27_9:                               ; =>This Inner Loop Header: Depth=1
	v_cmp_gt_i32_e32 vcc_lo, 32, v56
	v_dual_mov_b32 v42, v41 :: v_dual_mov_b32 v43, v40
	s_ashr_i32 s11, s10, 31
	v_dual_mov_b32 v77, 0 :: v_dual_mov_b32 v78, 0
	v_cndmask_b32_e32 v0, v51, v56, vcc_lo
	v_cmp_gt_i32_e32 vcc_lo, 32, v55
	v_add_nc_u32_e32 v40, s10, v64
	s_mul_u64 s[2:3], s[10:11], s[20:21]
	v_dual_mov_b32 v79, 0 :: v_dual_mov_b32 v80, 0
	v_cndmask_b32_e32 v1, v51, v55, vcc_lo
	v_cmp_gt_i32_e32 vcc_lo, 32, v54
	s_lshl_b64 s[2:3], s[2:3], 2
	s_mul_u64 s[4:5], s[10:11], s[14:15]
	s_add_nc_u64 s[6:7], s[24:25], s[2:3]
	v_dual_lshlrev_b32 v46, 2, v1 :: v_dual_cndmask_b32 v2, v51, v54, vcc_lo
	v_cmp_gt_i32_e32 vcc_lo, 32, v53
	v_lshlrev_b32_e32 v47, 2, v0
	v_lshl_add_u64 v[0:1], v[18:19], 2, s[6:7]
	v_lshl_add_u64 v[6:7], v[28:29], 2, s[6:7]
	s_lshl_b64 s[4:5], s[4:5], 2
	v_cndmask_b32_e32 v3, v51, v53, vcc_lo
	v_cmp_gt_i32_e32 vcc_lo, 32, v52
	v_add_nc_u64_e32 v[0:1], v[0:1], v[24:25]
	v_add_nc_u64_e32 v[6:7], v[6:7], v[24:25]
	s_add_nc_u64 s[2:3], s[8:9], s[4:5]
	v_dual_cndmask_b32 v4, v51, v52 :: v_dual_lshlrev_b32 v45, 2, v2
	v_lshlrev_b32_e32 v44, 2, v3
	v_lshl_add_u64 v[2:3], v[22:23], 2, s[6:7]
	v_add_nc_u64_e32 v[8:9], s[2:3], v[30:31]
	s_delay_alu instid0(VALU_DEP_4) | instskip(SKIP_4) | instid1(VALU_DEP_4)
	v_lshlrev_b32_e32 v41, 2, v4
	v_lshl_add_u64 v[4:5], v[26:27], 2, s[6:7]
	v_add_nc_u64_e32 v[12:13], s[2:3], v[36:37]
	v_add_nc_u64_e32 v[2:3], v[2:3], v[24:25]
	;; [unrolled: 1-line block ×4, first 2 shown]
	s_clause 0x3
	global_load_b128 v[82:85], v[0:1], off
	global_load_b128 v[86:89], v[2:3], off
	;; [unrolled: 1-line block ×4, first 2 shown]
	v_add_nc_u64_e32 v[14:15], v[8:9], v[32:33]
	v_add_nc_u64_e32 v[8:9], v[12:13], v[32:33]
	;; [unrolled: 1-line block ×3, first 2 shown]
	s_wait_loadcnt 0x3
	ds_store_b128 v57, v[82:85]
	s_wait_loadcnt 0x2
	ds_store_b128 v58, v[86:89]
	;; [unrolled: 2-line block ×4, first 2 shown]
	s_wait_dscnt 0x0
	s_barrier_signal -1
	s_barrier_wait -1
	ds_load_b128 v[82:85], v62
	ds_load_b128 v[86:89], v61
	ds_load_b128 v[90:93], v61 offset:256
	ds_load_b128 v[94:97], v62 offset:4608
	s_wait_dscnt 0x2
	;;#ASMSTART
	v_dot2_f32_f16 v77, v82, v86, v77
	;;#ASMEND
	;;#ASMSTART
	v_dot2_f32_f16 v77, v83, v87, v77
	;;#ASMEND
	;;#ASMSTART
	v_dot2_f32_f16 v77, v84, v88, v77
	;;#ASMEND
	;;#ASMSTART
	v_dot2_f32_f16 v77, v85, v89, v77
	;;#ASMEND
	s_wait_dscnt 0x1
	;;#ASMSTART
	v_dot2_f32_f16 v78, v82, v90, v78
	;;#ASMEND
	;;#ASMSTART
	v_dot2_f32_f16 v78, v83, v91, v78
	;;#ASMEND
	;;#ASMSTART
	v_dot2_f32_f16 v78, v84, v92, v78
	;;#ASMEND
	;;#ASMSTART
	v_dot2_f32_f16 v78, v85, v93, v78
	;;#ASMEND
	s_wait_dscnt 0x0
	;;#ASMSTART
	v_dot2_f32_f16 v79, v94, v86, v79
	;;#ASMEND
	;;#ASMSTART
	v_dot2_f32_f16 v79, v95, v87, v79
	;;#ASMEND
	;;#ASMSTART
	v_dot2_f32_f16 v79, v96, v88, v79
	;;#ASMEND
	;;#ASMSTART
	v_dot2_f32_f16 v79, v97, v89, v79
	;;#ASMEND
	;;#ASMSTART
	v_dot2_f32_f16 v80, v94, v90, v80
	;;#ASMEND
	;;#ASMSTART
	v_dot2_f32_f16 v80, v95, v91, v80
	;;#ASMEND
	;;#ASMSTART
	v_dot2_f32_f16 v80, v96, v92, v80
	;;#ASMEND
	;;#ASMSTART
	v_dot2_f32_f16 v80, v97, v93, v80
	;;#ASMEND
	ds_load_b128 v[82:85], v62 offset:16
	ds_load_b128 v[86:89], v61 offset:16
	ds_load_b128 v[90:93], v61 offset:272
	ds_load_b128 v[94:97], v62 offset:4624
	s_wait_dscnt 0x2
	;;#ASMSTART
	v_dot2_f32_f16 v77, v82, v86, v77
	;;#ASMEND
	;;#ASMSTART
	v_dot2_f32_f16 v77, v83, v87, v77
	;;#ASMEND
	;;#ASMSTART
	v_dot2_f32_f16 v77, v84, v88, v77
	;;#ASMEND
	;;#ASMSTART
	v_dot2_f32_f16 v77, v85, v89, v77
	;;#ASMEND
	s_wait_dscnt 0x1
	;;#ASMSTART
	v_dot2_f32_f16 v78, v82, v90, v78
	;;#ASMEND
	;;#ASMSTART
	v_dot2_f32_f16 v78, v83, v91, v78
	;;#ASMEND
	;;#ASMSTART
	v_dot2_f32_f16 v78, v84, v92, v78
	;;#ASMEND
	;;#ASMSTART
	v_dot2_f32_f16 v78, v85, v93, v78
	;;#ASMEND
	s_wait_dscnt 0x0
	;;#ASMSTART
	v_dot2_f32_f16 v79, v94, v86, v79
	;;#ASMEND
	;;#ASMSTART
	v_dot2_f32_f16 v79, v95, v87, v79
	;;#ASMEND
	;;#ASMSTART
	v_dot2_f32_f16 v79, v96, v88, v79
	;;#ASMEND
	;;#ASMSTART
	v_dot2_f32_f16 v79, v97, v89, v79
	;;#ASMEND
	;;#ASMSTART
	v_dot2_f32_f16 v80, v94, v90, v80
	;;#ASMEND
	;;#ASMSTART
	v_dot2_f32_f16 v80, v95, v91, v80
	;;#ASMEND
	;;#ASMSTART
	v_dot2_f32_f16 v80, v96, v92, v80
	;;#ASMEND
	;;#ASMSTART
	v_dot2_f32_f16 v80, v97, v93, v80
	;;#ASMEND
	ds_load_b128 v[82:85], v62 offset:32
	ds_load_b128 v[86:89], v61 offset:32
	;; [unrolled: 55-line block ×7, first 2 shown]
	ds_load_b128 v[90:93], v61 offset:368
	ds_load_b128 v[94:97], v62 offset:4720
	s_wait_dscnt 0x2
	;;#ASMSTART
	v_dot2_f32_f16 v77, v82, v86, v77
	;;#ASMEND
	;;#ASMSTART
	v_dot2_f32_f16 v77, v83, v87, v77
	;;#ASMEND
	;; [unrolled: 3-line block ×4, first 2 shown]
	s_wait_dscnt 0x1
	;;#ASMSTART
	v_dot2_f32_f16 v78, v82, v90, v78
	;;#ASMEND
	;;#ASMSTART
	v_dot2_f32_f16 v78, v83, v91, v78
	;;#ASMEND
	;; [unrolled: 3-line block ×3, first 2 shown]
	v_add_nc_u64_e32 v[82:83], s[2:3], v[38:39]
	;;#ASMSTART
	v_dot2_f32_f16 v78, v85, v93, v78
	;;#ASMEND
	s_wait_dscnt 0x0
	;;#ASMSTART
	v_dot2_f32_f16 v79, v94, v86, v79
	;;#ASMEND
	;;#ASMSTART
	v_dot2_f32_f16 v79, v95, v87, v79
	;;#ASMEND
	;; [unrolled: 3-line block ×7, first 2 shown]
	v_add_nc_u64_e32 v[12:13], v[82:83], v[32:33]
	;;#ASMSTART
	v_dot2_f32_f16 v80, v97, v93, v80
	;;#ASMEND
	s_barrier_signal -1
	s_barrier_wait -1
	s_clause 0x3
	global_load_b128 v[82:85], v[0:1], off offset:128
	global_load_b128 v[0:3], v[2:3], off offset:128
	;; [unrolled: 1-line block ×4, first 2 shown]
	s_wait_loadcnt 0x3
	ds_store_b128 v57, v[82:85]
	s_wait_loadcnt 0x2
	ds_store_b128 v58, v[0:3]
	;; [unrolled: 2-line block ×4, first 2 shown]
	s_wait_dscnt 0x0
	s_barrier_signal -1
	s_barrier_wait -1
	ds_load_b128 v[0:3], v62
	ds_load_b128 v[4:7], v61 offset:128
	ds_load_b128 v[82:85], v61 offset:384
	ds_load_b128 v[86:89], v62 offset:4608
	s_wait_dscnt 0x2
	;;#ASMSTART
	v_dot2_f32_f16 v77, v0, v4, v77
	;;#ASMEND
	;;#ASMSTART
	v_dot2_f32_f16 v77, v1, v5, v77
	;;#ASMEND
	;;#ASMSTART
	v_dot2_f32_f16 v77, v2, v6, v77
	;;#ASMEND
	;;#ASMSTART
	v_dot2_f32_f16 v77, v3, v7, v77
	;;#ASMEND
	s_wait_dscnt 0x1
	;;#ASMSTART
	v_dot2_f32_f16 v78, v0, v82, v78
	;;#ASMEND
	;;#ASMSTART
	v_dot2_f32_f16 v78, v1, v83, v78
	;;#ASMEND
	;;#ASMSTART
	v_dot2_f32_f16 v78, v2, v84, v78
	;;#ASMEND
	;;#ASMSTART
	v_dot2_f32_f16 v78, v3, v85, v78
	;;#ASMEND
	s_wait_dscnt 0x0
	;;#ASMSTART
	v_dot2_f32_f16 v79, v86, v4, v79
	;;#ASMEND
	;;#ASMSTART
	v_dot2_f32_f16 v79, v87, v5, v79
	;;#ASMEND
	;;#ASMSTART
	v_dot2_f32_f16 v79, v88, v6, v79
	;;#ASMEND
	;;#ASMSTART
	v_dot2_f32_f16 v79, v89, v7, v79
	;;#ASMEND
	;;#ASMSTART
	v_dot2_f32_f16 v80, v86, v82, v80
	;;#ASMEND
	;;#ASMSTART
	v_dot2_f32_f16 v80, v87, v83, v80
	;;#ASMEND
	;;#ASMSTART
	v_dot2_f32_f16 v80, v88, v84, v80
	;;#ASMEND
	;;#ASMSTART
	v_dot2_f32_f16 v80, v89, v85, v80
	;;#ASMEND
	ds_load_b128 v[0:3], v62 offset:16
	ds_load_b128 v[4:7], v61 offset:144
	ds_load_b128 v[82:85], v61 offset:400
	ds_load_b128 v[86:89], v62 offset:4624
	s_wait_dscnt 0x2
	;;#ASMSTART
	v_dot2_f32_f16 v77, v0, v4, v77
	;;#ASMEND
	;;#ASMSTART
	v_dot2_f32_f16 v77, v1, v5, v77
	;;#ASMEND
	;;#ASMSTART
	v_dot2_f32_f16 v77, v2, v6, v77
	;;#ASMEND
	;;#ASMSTART
	v_dot2_f32_f16 v77, v3, v7, v77
	;;#ASMEND
	s_wait_dscnt 0x1
	;;#ASMSTART
	v_dot2_f32_f16 v78, v0, v82, v78
	;;#ASMEND
	;;#ASMSTART
	v_dot2_f32_f16 v78, v1, v83, v78
	;;#ASMEND
	;;#ASMSTART
	v_dot2_f32_f16 v78, v2, v84, v78
	;;#ASMEND
	;;#ASMSTART
	v_dot2_f32_f16 v78, v3, v85, v78
	;;#ASMEND
	s_wait_dscnt 0x0
	;;#ASMSTART
	v_dot2_f32_f16 v79, v86, v4, v79
	;;#ASMEND
	;;#ASMSTART
	v_dot2_f32_f16 v79, v87, v5, v79
	;;#ASMEND
	;;#ASMSTART
	v_dot2_f32_f16 v79, v88, v6, v79
	;;#ASMEND
	;;#ASMSTART
	v_dot2_f32_f16 v79, v89, v7, v79
	;;#ASMEND
	;;#ASMSTART
	v_dot2_f32_f16 v80, v86, v82, v80
	;;#ASMEND
	;;#ASMSTART
	v_dot2_f32_f16 v80, v87, v83, v80
	;;#ASMEND
	;;#ASMSTART
	v_dot2_f32_f16 v80, v88, v84, v80
	;;#ASMEND
	;;#ASMSTART
	v_dot2_f32_f16 v80, v89, v85, v80
	;;#ASMEND
	ds_load_b128 v[0:3], v62 offset:32
	;; [unrolled: 55-line block ×7, first 2 shown]
	ds_load_b128 v[4:7], v61 offset:240
	ds_load_b128 v[82:85], v61 offset:496
	;; [unrolled: 1-line block ×3, first 2 shown]
	s_wait_dscnt 0x2
	;;#ASMSTART
	v_dot2_f32_f16 v77, v0, v4, v77
	;;#ASMEND
	;;#ASMSTART
	v_dot2_f32_f16 v77, v1, v5, v77
	;;#ASMEND
	;;#ASMSTART
	v_dot2_f32_f16 v77, v2, v6, v77
	;;#ASMEND
	;;#ASMSTART
	v_dot2_f32_f16 v77, v3, v7, v77
	;;#ASMEND
	s_wait_dscnt 0x1
	;;#ASMSTART
	v_dot2_f32_f16 v78, v0, v82, v78
	;;#ASMEND
	;;#ASMSTART
	v_dot2_f32_f16 v78, v1, v83, v78
	;;#ASMEND
	;;#ASMSTART
	v_dot2_f32_f16 v78, v2, v84, v78
	;;#ASMEND
	;;#ASMSTART
	v_dot2_f32_f16 v78, v3, v85, v78
	;;#ASMEND
	;; [unrolled: 13-line block ×3, first 2 shown]
	;;#ASMSTART
	v_dot2_f32_f16 v80, v86, v82, v80
	;;#ASMEND
	;;#ASMSTART
	v_dot2_f32_f16 v80, v87, v83, v80
	;;#ASMEND
	;; [unrolled: 3-line block ×4, first 2 shown]
	s_clause 0x1
	global_load_u16 v81, v40, s[34:35] scale_offset
	global_load_u16 v40, v40, s[34:35] offset:64 scale_offset
	s_wait_loadcnt 0x0
	s_barrier_signal -1
	s_barrier_wait -1
	s_clause 0x3
	global_load_b128 v[0:3], v[14:15], off
	global_load_b128 v[4:7], v[10:11], off
	;; [unrolled: 1-line block ×4, first 2 shown]
	v_cvt_f32_f16_e32 v81, v81
	v_cvt_f32_f16_e32 v40, v40
	s_delay_alu instid0(VALU_DEP_1) | instskip(SKIP_1) | instid1(VALU_DEP_2)
	v_dual_add_f32 v77, v77, v81 :: v_dual_add_f32 v79, v79, v40
	v_dual_add_f32 v78, v78, v81 :: v_dual_add_f32 v80, v80, v40
	;; [unrolled: 1-line block ×3, first 2 shown]
	s_delay_alu instid0(VALU_DEP_2) | instskip(NEXT) | instid1(VALU_DEP_2)
	v_dual_add_f32 v83, 0x40051340, v80 :: v_dual_add_f32 v82, 0x40051340, v78
	v_max3_num_f32 v40, v43, v40, v81
	s_delay_alu instid0(VALU_DEP_2) | instskip(SKIP_4) | instid1(VALU_DEP_1)
	v_max3_num_f32 v81, v42, v82, v83
	ds_bpermute_b32 v82, v47, v40
	ds_bpermute_b32 v47, v47, v81
	s_wait_dscnt 0x0
	v_dual_max_num_f32 v47, v47, v47 :: v_dual_max_num_f32 v82, v82, v82
	v_dual_max_num_f32 v47, v81, v47 :: v_dual_max_num_f32 v40, v40, v82
	ds_bpermute_b32 v81, v46, v40
	ds_bpermute_b32 v46, v46, v47
	s_wait_dscnt 0x0
	v_dual_max_num_f32 v81, v81, v81 :: v_dual_max_num_f32 v46, v46, v46
	s_delay_alu instid0(VALU_DEP_1)
	v_dual_max_num_f32 v40, v40, v81 :: v_dual_max_num_f32 v46, v47, v46
	ds_bpermute_b32 v47, v45, v40
	s_wait_dscnt 0x0
	v_max_num_f32_e32 v47, v47, v47
	ds_bpermute_b32 v45, v45, v46
	s_wait_dscnt 0x0
	v_dual_max_num_f32 v40, v40, v47 :: v_dual_max_num_f32 v45, v45, v45
	s_delay_alu instid0(VALU_DEP_1)
	v_max_num_f32_e32 v45, v46, v45
	ds_bpermute_b32 v46, v44, v40
	s_wait_dscnt 0x0
	v_max_num_f32_e32 v46, v46, v46
	ds_bpermute_b32 v44, v44, v45
	s_wait_dscnt 0x0
	v_max_num_f32_e32 v44, v44, v44
	s_delay_alu instid0(VALU_DEP_1) | instskip(SKIP_4) | instid1(VALU_DEP_1)
	v_dual_max_num_f32 v40, v40, v46 :: v_dual_max_num_f32 v44, v45, v44
	ds_bpermute_b32 v45, v41, v40
	ds_bpermute_b32 v41, v41, v44
	s_wait_dscnt 0x1
	v_max_num_f32_e32 v45, v45, v45
	v_max_num_f32_e32 v40, v40, v45
	s_wait_dscnt 0x0
	s_delay_alu instid0(VALU_DEP_1) | instskip(NEXT) | instid1(VALU_DEP_1)
	v_dual_max_num_f32 v41, v41, v41 :: v_dual_sub_f32 v45, v79, v40
	v_dual_max_num_f32 v41, v44, v41 :: v_dual_sub_f32 v44, v77, v40
	s_delay_alu instid0(VALU_DEP_2) | instskip(NEXT) | instid1(VALU_DEP_2)
	v_cmp_ngt_f32_e64 s6, 0xc2ce8ed0, v45
	v_dual_sub_f32 v46, v78, v41 :: v_dual_sub_f32 v47, v80, v41
	s_delay_alu instid0(VALU_DEP_3) | instskip(SKIP_1) | instid1(VALU_DEP_3)
	v_dual_mul_f32 v77, 0x3fb8aa3b, v44 :: v_dual_mul_f32 v78, 0x3fb8aa3b, v45
	v_dual_sub_f32 v43, v43, v40 :: v_dual_sub_f32 v42, v42, v41
	v_mul_f32_e32 v79, 0x3fb8aa3b, v46
	s_delay_alu instid0(VALU_DEP_3) | instskip(NEXT) | instid1(VALU_DEP_4)
	v_fma_f32 v83, 0x3fb8aa3b, v44, -v77
	v_fma_f32 v84, 0x3fb8aa3b, v45, -v78
	v_rndne_f32_e32 v87, v77
	v_rndne_f32_e32 v88, v78
	v_fma_f32 v85, 0x3fb8aa3b, v46, -v79
	v_rndne_f32_e32 v89, v79
	v_mul_f32_e32 v80, 0x3fb8aa3b, v47
	v_dual_mul_f32 v81, 0x3fb8aa3b, v43 :: v_dual_mul_f32 v82, 0x3fb8aa3b, v42
	v_dual_fmac_f32 v83, 0x32a5705f, v44 :: v_dual_fmac_f32 v84, 0x32a5705f, v45
	v_dual_sub_f32 v77, v77, v87 :: v_dual_sub_f32 v78, v78, v88
	v_sub_f32_e32 v79, v79, v89
	v_fma_f32 v86, 0x3fb8aa3b, v47, -v80
	v_fmac_f32_e32 v85, 0x32a5705f, v46
	v_rndne_f32_e32 v90, v80
	v_fma_f32 v91, 0x3fb8aa3b, v43, -v81
	v_fma_f32 v92, 0x3fb8aa3b, v42, -v82
	v_rndne_f32_e32 v93, v81
	v_dual_fmac_f32 v86, 0x32a5705f, v47 :: v_dual_add_f32 v79, v79, v85
	v_add_f32_e32 v78, v78, v84
	v_rndne_f32_e32 v94, v82
	v_dual_sub_f32 v80, v80, v90 :: v_dual_fmac_f32 v91, 0x32a5705f, v43
	v_dual_fmac_f32 v92, 0x32a5705f, v42 :: v_dual_sub_f32 v81, v81, v93
	s_delay_alu instid0(VALU_DEP_4) | instskip(SKIP_2) | instid1(VALU_DEP_3)
	v_exp_f32_e32 v78, v78
	v_cvt_i32_f32_e32 v88, v88
	v_dual_sub_f32 v82, v82, v94 :: v_dual_add_f32 v77, v77, v83
	v_dual_add_f32 v80, v80, v86 :: v_dual_add_f32 v81, v81, v91
	v_exp_f32_e32 v79, v79
	s_delay_alu instid0(TRANS32_DEP_2) | instid1(VALU_DEP_3)
	v_ldexp_f32 v78, v78, v88
	s_delay_alu instid0(VALU_DEP_3) | instskip(NEXT) | instid1(VALU_DEP_3)
	v_add_f32_e32 v82, v82, v92
	v_exp_f32_e32 v80, v80
	v_exp_f32_e32 v77, v77
	;; [unrolled: 1-line block ×3, first 2 shown]
	v_cvt_i32_f32_e32 v87, v87
	v_cvt_i32_f32_e32 v89, v89
	;; [unrolled: 1-line block ×4, first 2 shown]
	v_cndmask_b32_e64 v78, 0, v78, s6
	v_exp_f32_e32 v82, v82
	v_cvt_i32_f32_e32 v94, v94
	v_ldexp_f32 v79, v79, v89
	v_cmp_ngt_f32_e32 vcc_lo, 0xc2ce8ed0, v46
	v_ldexp_f32 v80, v80, v90
	v_cmp_ngt_f32_e64 s2, 0xc2ce8ed0, v47
	v_ldexp_f32 v77, v77, v87
	v_cmp_ngt_f32_e64 s3, 0xc2ce8ed0, v44
	v_ldexp_f32 v81, v81, v93
	v_cmp_ngt_f32_e64 s5, 0xc2ce8ed0, v43
	v_ldexp_f32 v82, v82, v94
	v_cmp_ngt_f32_e64 s4, 0xc2ce8ed0, v42
	v_cmp_nlt_f32_e64 s6, 0x42b17218, v45
	v_dual_cndmask_b32 v45, 0, v79, vcc_lo :: v_dual_cndmask_b32 v79, 0, v80, s2
	v_cmp_nlt_f32_e32 vcc_lo, 0x42b17218, v46
	v_cmp_nlt_f32_e64 s2, 0x42b17218, v47
	v_dual_cndmask_b32 v46, 0, v77, s3 :: v_dual_cndmask_b32 v77, 0, v82, s4
	v_cmp_nlt_f32_e64 s3, 0x42b17218, v42
	v_cndmask_b32_e64 v42, 0, v81, s5
	v_cmp_nlt_f32_e64 s5, 0x42b17218, v44
	v_cndmask_b32_e32 v45, 0x7f800000, v45, vcc_lo
	v_cndmask_b32_e64 v47, 0x7f800000, v79, s2
	v_cmp_nlt_f32_e64 s4, 0x42b17218, v43
	v_cndmask_b32_e64 v43, 0x7f800000, v77, s3
	v_cndmask_b32_e64 v44, 0x7f800000, v46, s5
	;; [unrolled: 1-line block ×3, first 2 shown]
	s_or_b32 s2, s10, 32
	v_cndmask_b32_e64 v42, 0x7f800000, v42, s4
	v_cvt_f16_f32_e32 v77, v43
	v_cvt_pk_f16_f32 v79, v44, v45
	v_cvt_pk_f16_f32 v80, v46, v47
	ds_store_2addr_b32 v69, v79, v80 offset1:32
	s_wait_loadcnt 0x3
	ds_store_b128 v63, v[0:3]
	s_wait_loadcnt 0x2
	ds_store_b128 v66, v[4:7]
	;; [unrolled: 2-line block ×4, first 2 shown]
	s_wait_dscnt 0x0
	s_barrier_signal -1
	s_barrier_wait -1
	ds_load_b128 v[0:3], v65
	ds_load_b128 v[4:7], v65 offset:16
	v_cvt_f16_f32_e32 v78, v42
	v_pk_add_f32 v[82:83], v[44:45], v[46:47]
	ds_load_2addr_b64 v[8:11], v50 offset1:32
	ds_load_b128 v[12:15], v65 offset:32
	ds_load_b128 v[44:47], v65 offset:48
	v_and_b32_e32 v77, 0xffff, v77
	s_ashr_i32 s3, s2, 31
	v_and_b32_e32 v78, 0xffff, v78
	v_pk_fma_f32 v[20:21], v[20:21], v[42:43], v[82:83]
	s_mul_u64 s[2:3], s[2:3], s[14:15]
	s_delay_alu instid0(SALU_CYCLE_1) | instskip(NEXT) | instid1(VALU_DEP_2)
	s_lshl_b64 s[2:3], s[2:3], 2
	v_mul_u32_u24_e32 v42, 0x10001, v78
	s_add_nc_u64 s[2:3], s[8:9], s[2:3]
	s_delay_alu instid0(VALU_DEP_1)
	v_pk_mul_f16 v43, v76, v42
	s_wait_dscnt 0x4
	v_and_b32_e32 v76, 0xffff, v0
	s_wait_dscnt 0x3
	v_and_b32_e32 v85, 0xffff, v4
	v_dual_lshrrev_b32 v86, 16, v4 :: v_dual_lshrrev_b32 v88, 16, v5
	v_lshrrev_b32_e32 v78, 16, v0
	v_mul_u32_u24_e32 v4, 0x10001, v76
	v_and_b32_e32 v79, 0xffff, v1
	v_dual_lshrrev_b32 v80, 16, v1 :: v_dual_lshrrev_b32 v83, 16, v3
	v_and_b32_e32 v81, 0xffff, v2
	s_wait_dscnt 0x2
	v_pk_mul_f16 v0, v8, v4
	v_lshrrev_b32_e32 v82, 16, v2
	v_and_b32_e32 v84, 0xffff, v3
	v_and_b32_e32 v87, 0xffff, v5
	;; [unrolled: 1-line block ×3, first 2 shown]
	v_pk_fma_f16 v5, v75, v42, v0
	ds_load_b128 v[0:3], v65 offset:64
	v_dual_lshrrev_b32 v90, 16, v6 :: v_dual_lshrrev_b32 v91, 16, v7
	s_wait_dscnt 0x2
	v_and_b32_e32 v95, 0xffff, v14
	v_dual_lshrrev_b32 v96, 16, v14 :: v_dual_lshrrev_b32 v97, 16, v15
	v_mul_u32_u24_e32 v6, 0x10001, v77
	v_mul_u32_u24_e32 v14, 0x10001, v78
	v_and_b32_e32 v92, 0xffff, v7
	v_and_b32_e32 v98, 0xffff, v15
	v_mul_u32_u24_e32 v15, 0x10001, v79
	v_pk_mul_f16 v7, v74, v6
	v_pk_fma_f16 v4, v9, v4, v43
	v_pk_mul_f16 v8, v8, v14
	v_mul_u32_u24_e32 v42, 0x10001, v80
	v_and_b32_e32 v93, 0xffff, v12
	v_pk_fma_f16 v9, v9, v14, v7
	v_pk_fma_f16 v14, v11, v15, v4
	;; [unrolled: 1-line block ×4, first 2 shown]
	ds_load_b128 v[4:7], v65 offset:80
	s_wait_dscnt 0x1
	v_and_b32_e32 v73, 0xffff, v0
	v_dual_lshrrev_b32 v74, 16, v0 :: v_dual_lshrrev_b32 v78, 16, v1
	v_and_b32_e32 v75, 0xffff, v1
	v_and_b32_e32 v79, 0xffff, v2
	v_dual_lshrrev_b32 v80, 16, v2 :: v_dual_lshrrev_b32 v105, 16, v3
	v_and_b32_e32 v106, 0xffff, v3
	ds_load_2addr_b64 v[0:3], v50 offset0:64 offset1:96
	v_pk_fma_f16 v8, v10, v42, v8
	v_mul_u32_u24_e32 v10, 0x10001, v81
	v_pk_fma_f16 v9, v11, v42, v9
	v_lshrrev_b32_e32 v12, 16, v12
	v_and_b32_e32 v94, 0xffff, v13
	v_lshrrev_b32_e32 v13, 16, v13
	v_and_b32_e32 v101, 0xffff, v46
	v_dual_lshrrev_b32 v102, 16, v46 :: v_dual_lshrrev_b32 v103, 16, v47
	v_mul_u32_u24_e32 v12, 0x10001, v12
	s_wait_dscnt 0x1
	v_and_b32_e32 v108, 0xffff, v6
	v_dual_lshrrev_b32 v109, 16, v6 :: v_dual_lshrrev_b32 v110, 16, v7
	v_mul_u32_u24_e32 v6, 0x10001, v86
	v_lshrrev_b32_e32 v107, 16, v5
	v_and_b32_e32 v111, 0xffff, v7
	v_mul_u32_u24_e32 v42, 0x10001, v94
	v_and_b32_e32 v104, 0xffff, v47
	v_and_b32_e32 v99, 0xffff, v44
	s_wait_dscnt 0x0
	v_pk_fma_f16 v11, v1, v10, v14
	v_mul_u32_u24_e32 v14, 0x10001, v82
	v_pk_fma_f16 v10, v0, v10, v15
	v_and_b32_e32 v82, 0xffff, v4
	v_lshrrev_b32_e32 v44, 16, v44
	v_and_b32_e32 v100, 0xffff, v45
	v_pk_fma_f16 v0, v0, v14, v8
	v_mul_u32_u24_e32 v8, 0x10001, v84
	v_pk_fma_f16 v1, v1, v14, v9
	v_and_b32_e32 v84, 0xffff, v5
	v_mul_u32_u24_e32 v14, 0x10001, v93
	v_lshrrev_b32_e32 v45, 16, v45
	v_pk_fma_f16 v9, v3, v8, v11
	v_pk_fma_f16 v8, v2, v8, v10
	v_mul_u32_u24_e32 v10, 0x10001, v83
	v_lshrrev_b32_e32 v83, 16, v4
	v_mul_u32_u24_e32 v4, 0x10001, v85
	v_mul_u32_u24_e32 v43, 0x10001, v44
	v_mul_u32_u24_e32 v44, 0x10001, v100
	v_pk_fma_f16 v11, v3, v10, v1
	v_pk_fma_f16 v10, v2, v10, v0
	ds_load_2addr_b64 v[0:3], v50 offset0:128 offset1:160
	v_mul_u32_u24_e32 v76, 0x10001, v101
	v_mul_u32_u24_e32 v77, 0x10001, v102
	;; [unrolled: 1-line block ×13, first 2 shown]
	s_wait_dscnt 0x0
	v_pk_fma_f16 v5, v1, v4, v9
	v_pk_fma_f16 v4, v0, v4, v8
	;; [unrolled: 1-line block ×4, first 2 shown]
	v_mul_u32_u24_e32 v6, 0x10001, v87
	v_mul_u32_u24_e32 v8, 0x10001, v89
	;; [unrolled: 1-line block ×4, first 2 shown]
	s_delay_alu instid0(VALU_DEP_4) | instskip(SKIP_2) | instid1(VALU_DEP_1)
	v_pk_fma_f16 v5, v3, v6, v5
	v_pk_fma_f16 v4, v2, v6, v4
	v_mul_u32_u24_e32 v6, 0x10001, v88
	v_pk_fma_f16 v7, v3, v6, v1
	v_pk_fma_f16 v6, v2, v6, v0
	ds_load_2addr_b64 v[0:3], v50 offset0:192 offset1:224
	s_wait_dscnt 0x0
	v_pk_fma_f16 v9, v1, v8, v5
	v_pk_fma_f16 v8, v0, v8, v4
	v_pk_fma_f16 v1, v1, v10, v7
	v_pk_fma_f16 v0, v0, v10, v6
	v_mul_u32_u24_e32 v10, 0x10001, v91
	v_pk_fma_f16 v9, v3, v11, v9
	v_pk_fma_f16 v8, v2, v11, v8
	v_add_nc_u64_e32 v[4:5], s[2:3], v[30:31]
	v_add_nc_u64_e32 v[6:7], s[2:3], v[34:35]
	v_pk_fma_f16 v11, v3, v10, v1
	v_pk_fma_f16 v10, v2, v10, v0
	ds_load_2addr_b64 v[0:3], v70 offset1:32
	v_add_nc_u64_e32 v[46:47], v[6:7], v[32:33]
	s_wait_dscnt 0x0
	v_pk_fma_f16 v15, v1, v14, v9
	v_pk_fma_f16 v14, v0, v14, v8
	;; [unrolled: 1-line block ×4, first 2 shown]
	v_add_nc_u64_e32 v[8:9], s[2:3], v[36:37]
	v_pk_fma_f16 v12, v3, v42, v15
	v_pk_fma_f16 v42, v2, v42, v14
	v_add_nc_u64_e32 v[14:15], v[4:5], v[32:33]
	v_mul_u32_u24_e32 v4, 0x10001, v13
	v_add_nc_u64_e32 v[0:1], s[2:3], v[38:39]
	v_add_nc_u64_e32 v[90:91], v[8:9], v[32:33]
	v_mul_u32_u24_e32 v8, 0x10001, v95
	s_delay_alu instid0(VALU_DEP_4)
	v_pk_fma_f16 v6, v3, v4, v11
	v_pk_fma_f16 v7, v2, v4, v10
	ds_load_2addr_b64 v[2:5], v70 offset0:64 offset1:96
	v_mul_u32_u24_e32 v9, 0x10001, v96
	v_mul_u32_u24_e32 v10, 0x10001, v98
	v_add_nc_u64_e32 v[0:1], v[0:1], v[32:33]
	s_wait_dscnt 0x0
	v_pk_fma_f16 v11, v3, v8, v12
	v_pk_fma_f16 v3, v3, v9, v6
	;; [unrolled: 1-line block ×4, first 2 shown]
	v_mul_u32_u24_e32 v12, 0x10001, v97
	v_pk_fma_f16 v11, v5, v10, v11
	v_mul_u32_u24_e32 v42, 0x10001, v99
	v_pk_fma_f16 v10, v4, v10, v6
	ds_load_2addr_b64 v[6:9], v70 offset0:128 offset1:160
	v_pk_fma_f16 v13, v5, v12, v3
	v_pk_fma_f16 v12, v4, v12, v2
	ds_load_2addr_b64 v[2:5], v70 offset0:192 offset1:224
	s_wait_dscnt 0x1
	v_pk_fma_f16 v11, v7, v42, v11
	v_pk_fma_f16 v10, v6, v42, v10
	;; [unrolled: 1-line block ×4, first 2 shown]
	s_delay_alu instid0(VALU_DEP_4) | instskip(NEXT) | instid1(VALU_DEP_4)
	v_pk_fma_f16 v42, v9, v44, v11
	v_pk_fma_f16 v43, v8, v44, v10
	ds_load_2addr_b64 v[10:13], v71 offset1:32
	v_mul_u32_u24_e32 v44, 0x10001, v45
	s_wait_dscnt 0x1
	v_pk_fma_f16 v42, v3, v76, v42
	v_pk_fma_f16 v43, v2, v76, v43
	s_delay_alu instid0(VALU_DEP_3)
	v_pk_fma_f16 v45, v9, v44, v7
	v_pk_fma_f16 v44, v8, v44, v6
	ds_load_2addr_b64 v[6:9], v71 offset0:64 offset1:96
	v_pk_fma_f16 v76, v5, v81, v42
	v_pk_fma_f16 v3, v3, v77, v45
	;; [unrolled: 1-line block ×4, first 2 shown]
	v_mul_u32_u24_e32 v81, 0x10001, v103
	ds_load_2addr_b64 v[42:45], v71 offset0:128 offset1:160
	v_pk_fma_f16 v85, v5, v81, v3
	v_pk_fma_f16 v81, v4, v81, v2
	s_wait_dscnt 0x2
	v_pk_fma_f16 v76, v11, v73, v76
	v_pk_fma_f16 v73, v10, v73, v77
	ds_load_2addr_b64 v[2:5], v71 offset0:192 offset1:224
	v_pk_fma_f16 v11, v11, v74, v85
	v_pk_fma_f16 v10, v10, v74, v81
	;; [unrolled: 1-line block ×4, first 2 shown]
	ds_load_b128 v[74:77], v65 offset:96
	v_pk_fma_f16 v85, v13, v78, v11
	v_pk_fma_f16 v78, v12, v78, v10
	s_wait_dscnt 0x3
	v_pk_fma_f16 v81, v7, v79, v81
	v_pk_fma_f16 v73, v6, v79, v73
	ds_load_2addr_b64 v[10:13], v72 offset1:32
	v_pk_fma_f16 v7, v7, v80, v85
	v_pk_fma_f16 v6, v6, v80, v78
	;; [unrolled: 1-line block ×4, first 2 shown]
	v_mul_u32_u24_e32 v86, 0x10001, v105
	ds_load_2addr_b64 v[78:81], v72 offset0:64 offset1:96
	s_wait_dscnt 0x4
	v_pk_fma_f16 v85, v43, v82, v85
	v_pk_fma_f16 v73, v42, v82, v73
	;; [unrolled: 1-line block ×4, first 2 shown]
	ds_load_b128 v[6:9], v65 offset:112
	v_pk_fma_f16 v73, v44, v84, v73
	v_pk_fma_f16 v43, v43, v83, v87
	;; [unrolled: 1-line block ×3, first 2 shown]
	v_mul_u32_u24_e32 v87, 0x10001, v107
	v_pk_fma_f16 v86, v45, v84, v85
	ds_load_2addr_b64 v[82:85], v72 offset0:128 offset1:160
	s_wait_dscnt 0x4
	v_and_b32_e32 v95, 0xffff, v75
	v_lshrrev_b32_e32 v96, 16, v75
	v_pk_fma_f16 v92, v45, v87, v43
	v_pk_fma_f16 v93, v44, v87, v42
	v_mul_u32_u24_e32 v87, 0x10001, v108
	ds_load_2addr_b64 v[42:45], v72 offset0:192 offset1:224
	s_wait_dscnt 0x0
	s_barrier_signal -1
	s_barrier_wait -1
	v_pk_fma_f16 v94, v3, v87, v86
	v_pk_fma_f16 v73, v2, v87, v73
	global_load_b128 v[86:89], v[14:15], off
	s_wait_xcnt 0x0
	v_mul_u32_u24_e32 v14, 0x10001, v109
	v_mul_u32_u24_e32 v15, 0x10001, v111
	v_and_b32_e32 v97, 0xffff, v76
	v_dual_lshrrev_b32 v98, 16, v76 :: v_dual_lshrrev_b32 v99, 16, v77
	s_delay_alu instid0(VALU_DEP_4)
	v_pk_fma_f16 v3, v3, v14, v92
	v_pk_fma_f16 v2, v2, v14, v93
	v_and_b32_e32 v14, 0xffff, v74
	v_pk_fma_f16 v92, v5, v15, v94
	v_pk_fma_f16 v15, v4, v15, v73
	v_lshrrev_b32_e32 v73, 16, v74
	v_mul_u32_u24_e32 v74, 0x10001, v110
	v_mul_u32_u24_e32 v14, 0x10001, v14
	v_and_b32_e32 v100, 0xffff, v77
	s_delay_alu instid0(VALU_DEP_3)
	v_pk_fma_f16 v93, v5, v74, v3
	v_pk_fma_f16 v94, v4, v74, v2
	s_clause 0x1
	global_load_b128 v[2:5], v[46:47], off
	global_load_b128 v[74:77], v[90:91], off
	s_wait_xcnt 0x1
	v_pk_fma_f16 v46, v11, v14, v92
	v_pk_fma_f16 v14, v10, v14, v15
	v_mul_u32_u24_e32 v15, 0x10001, v73
	v_mul_u32_u24_e32 v47, 0x10001, v95
	v_and_b32_e32 v73, 0xffff, v8
	s_wait_xcnt 0x0
	v_dual_lshrrev_b32 v90, 16, v8 :: v_dual_lshrrev_b32 v91, 16, v9
	v_pk_fma_f16 v11, v11, v15, v93
	v_pk_fma_f16 v10, v10, v15, v94
	v_and_b32_e32 v15, 0xffff, v6
	v_pk_fma_f16 v46, v13, v47, v46
	v_pk_fma_f16 v14, v12, v47, v14
	v_lshrrev_b32_e32 v47, 16, v6
	v_mul_u32_u24_e32 v6, 0x10001, v96
	v_and_b32_e32 v92, 0xffff, v9
	v_mul_u32_u24_e32 v93, 0x10001, v100
	v_mul_u32_u24_e32 v94, 0x10001, v99
	;; [unrolled: 1-line block ×3, first 2 shown]
	v_pk_fma_f16 v11, v13, v6, v11
	v_pk_fma_f16 v10, v12, v6, v10
	v_and_b32_e32 v12, 0xffff, v7
	v_lshrrev_b32_e32 v13, 16, v7
	global_load_b128 v[6:9], v[0:1], off
	s_wait_xcnt 0x0
	v_mul_u32_u24_e32 v0, 0x10001, v97
	v_mul_u32_u24_e32 v1, 0x10001, v98
	;; [unrolled: 1-line block ×5, first 2 shown]
	v_pk_fma_f16 v46, v79, v0, v46
	v_pk_fma_f16 v11, v79, v1, v11
	v_pk_fma_f16 v0, v78, v0, v14
	v_pk_fma_f16 v1, v78, v1, v10
	v_mul_u32_u24_e32 v73, 0x10001, v73
	v_pk_fma_f16 v10, v81, v93, v46
	v_pk_fma_f16 v11, v81, v94, v11
	v_pk_fma_f16 v0, v80, v93, v0
	v_pk_fma_f16 v1, v80, v94, v1
	v_mul_u32_u24_e32 v90, 0x10001, v90
	;; [unrolled: 5-line block ×4, first 2 shown]
	v_pk_fma_f16 v10, v43, v73, v10
	v_pk_fma_f16 v11, v43, v90, v11
	;; [unrolled: 1-line block ×4, first 2 shown]
	s_wait_loadcnt 0x3
	ds_store_b128 v63, v[86:89]
	s_wait_loadcnt 0x2
	ds_store_b128 v66, v[2:5]
	;; [unrolled: 2-line block ×4, first 2 shown]
	v_pk_fma_f16 v46, v45, v92, v10
	v_pk_fma_f16 v47, v45, v91, v11
	;; [unrolled: 1-line block ×4, first 2 shown]
	s_wait_dscnt 0x0
	s_barrier_signal -1
	s_barrier_wait -1
	ds_load_b128 v[4:7], v65 offset:128
	ds_load_b128 v[8:11], v65 offset:144
	;; [unrolled: 1-line block ×3, first 2 shown]
	ds_load_2addr_b64 v[0:3], v50 offset1:32
	ds_load_b128 v[42:45], v65 offset:176
	s_wait_dscnt 0x4
	v_and_b32_e32 v74, 0xffff, v4
	v_dual_lshrrev_b32 v75, 16, v4 :: v_dual_lshrrev_b32 v77, 16, v5
	v_and_b32_e32 v76, 0xffff, v5
	s_wait_dscnt 0x3
	v_and_b32_e32 v83, 0xffff, v8
	v_dual_lshrrev_b32 v84, 16, v8 :: v_dual_lshrrev_b32 v86, 16, v9
	v_and_b32_e32 v85, 0xffff, v9
	v_and_b32_e32 v87, 0xffff, v10
	v_dual_lshrrev_b32 v88, 16, v10 :: v_dual_lshrrev_b32 v89, 16, v11
	v_and_b32_e32 v90, 0xffff, v11
	s_wait_dscnt 0x0
	v_and_b32_e32 v11, 0xffff, v42
	v_dual_lshrrev_b32 v10, 16, v42 :: v_dual_lshrrev_b32 v8, 16, v43
	v_and_b32_e32 v9, 0xffff, v43
	v_mul_u32_u24_e32 v42, 0x10001, v74
	v_mul_u32_u24_e32 v43, 0x10001, v75
	v_and_b32_e32 v79, 0xffff, v6
	v_dual_lshrrev_b32 v80, 16, v6 :: v_dual_lshrrev_b32 v81, 16, v7
	v_and_b32_e32 v82, 0xffff, v7
	v_and_b32_e32 v91, 0xffff, v12
	v_dual_lshrrev_b32 v92, 16, v12 :: v_dual_lshrrev_b32 v94, 16, v13
	v_and_b32_e32 v93, 0xffff, v13
	v_and_b32_e32 v95, 0xffff, v14
	v_dual_lshrrev_b32 v96, 16, v14 :: v_dual_lshrrev_b32 v97, 16, v15
	v_and_b32_e32 v98, 0xffff, v15
	v_and_b32_e32 v6, 0xffff, v44
	v_dual_lshrrev_b32 v5, 16, v44 :: v_dual_lshrrev_b32 v4, 16, v45
	v_and_b32_e32 v7, 0xffff, v45
	ds_load_b128 v[12:15], v65 offset:192
	v_mul_u32_u24_e32 v44, 0x10001, v76
	v_pk_fma_f16 v45, v0, v42, v73
	v_pk_fma_f16 v42, v1, v42, v46
	;; [unrolled: 1-line block ×4, first 2 shown]
	v_mul_u32_u24_e32 v73, 0x10001, v77
	v_pk_fma_f16 v46, v2, v44, v45
	v_pk_fma_f16 v47, v3, v44, v42
	ds_load_b128 v[42:45], v65 offset:208
	v_mul_u32_u24_e32 v75, 0x10001, v91
	v_pk_fma_f16 v74, v2, v73, v0
	v_pk_fma_f16 v73, v3, v73, v1
	ds_load_2addr_b64 v[0:3], v50 offset0:64 offset1:96
	v_mul_u32_u24_e32 v76, 0x10001, v92
	v_mul_u32_u24_e32 v77, 0x10001, v93
	;; [unrolled: 1-line block ×6, first 2 shown]
	s_wait_dscnt 0x2
	v_and_b32_e32 v78, 0xffff, v12
	v_dual_lshrrev_b32 v99, 16, v12 :: v_dual_lshrrev_b32 v101, 16, v13
	v_and_b32_e32 v102, 0xffff, v14
	v_dual_lshrrev_b32 v103, 16, v14 :: v_dual_lshrrev_b32 v104, 16, v15
	v_mul_u32_u24_e32 v12, 0x10001, v79
	v_mul_u32_u24_e32 v14, 0x10001, v80
	v_and_b32_e32 v100, 0xffff, v13
	v_and_b32_e32 v105, 0xffff, v15
	s_wait_dscnt 0x1
	v_and_b32_e32 v79, 0xffff, v42
	v_lshrrev_b32_e32 v80, 16, v42
	v_mul_u32_u24_e32 v42, 0x10001, v83
	s_wait_dscnt 0x0
	v_pk_fma_f16 v13, v0, v12, v46
	v_pk_fma_f16 v12, v1, v12, v47
	;; [unrolled: 1-line block ×4, first 2 shown]
	v_mul_u32_u24_e32 v14, 0x10001, v82
	v_lshrrev_b32_e32 v82, 16, v43
	v_mul_u32_u24_e32 v6, 0x10001, v6
	v_mul_u32_u24_e32 v5, 0x10001, v5
	v_mul_u32_u24_e32 v7, 0x10001, v7
	v_pk_fma_f16 v47, v3, v14, v12
	v_mul_u32_u24_e32 v12, 0x10001, v81
	v_pk_fma_f16 v46, v2, v14, v13
	v_and_b32_e32 v81, 0xffff, v43
	v_mul_u32_u24_e32 v4, 0x10001, v4
	s_delay_alu instid0(VALU_DEP_4)
	v_pk_fma_f16 v73, v2, v12, v0
	v_pk_fma_f16 v74, v3, v12, v1
	ds_load_2addr_b64 v[12:15], v50 offset0:128 offset1:160
	v_and_b32_e32 v2, 0xffff, v44
	v_dual_lshrrev_b32 v1, 16, v44 :: v_dual_lshrrev_b32 v0, 16, v45
	v_mul_u32_u24_e32 v44, 0x10001, v84
	v_and_b32_e32 v3, 0xffff, v45
	s_delay_alu instid0(VALU_DEP_4) | instskip(NEXT) | instid1(VALU_DEP_4)
	v_mul_u32_u24_e32 v2, 0x10001, v2
	v_mul_u32_u24_e32 v1, 0x10001, v1
	;; [unrolled: 1-line block ×3, first 2 shown]
	s_delay_alu instid0(VALU_DEP_4)
	v_mul_u32_u24_e32 v3, 0x10001, v3
	s_wait_dscnt 0x0
	v_pk_fma_f16 v43, v12, v42, v46
	v_pk_fma_f16 v42, v13, v42, v47
	;; [unrolled: 1-line block ×4, first 2 shown]
	v_mul_u32_u24_e32 v44, 0x10001, v85
	v_mul_u32_u24_e32 v46, 0x10001, v87
	;; [unrolled: 1-line block ×4, first 2 shown]
	s_delay_alu instid0(VALU_DEP_4) | instskip(SKIP_2) | instid1(VALU_DEP_1)
	v_pk_fma_f16 v43, v14, v44, v43
	v_pk_fma_f16 v42, v15, v44, v42
	v_mul_u32_u24_e32 v44, 0x10001, v86
	v_pk_fma_f16 v45, v14, v44, v12
	v_pk_fma_f16 v44, v15, v44, v13
	ds_load_2addr_b64 v[12:15], v50 offset0:192 offset1:224
	s_wait_dscnt 0x0
	v_pk_fma_f16 v43, v12, v46, v43
	v_pk_fma_f16 v42, v13, v46, v42
	;; [unrolled: 1-line block ×4, first 2 shown]
	s_delay_alu instid0(VALU_DEP_4) | instskip(NEXT) | instid1(VALU_DEP_4)
	v_pk_fma_f16 v46, v14, v73, v43
	v_pk_fma_f16 v47, v15, v73, v42
	ds_load_2addr_b64 v[42:45], v70 offset1:32
	v_mul_u32_u24_e32 v73, 0x10001, v89
	s_delay_alu instid0(VALU_DEP_1)
	v_pk_fma_f16 v74, v14, v73, v12
	v_pk_fma_f16 v73, v15, v73, v13
	ds_load_b128 v[12:15], v65 offset:224
	s_wait_dscnt 0x1
	v_pk_fma_f16 v46, v42, v75, v46
	v_pk_fma_f16 v47, v43, v75, v47
	;; [unrolled: 1-line block ×4, first 2 shown]
	v_mul_u32_u24_e32 v73, 0x10001, v94
	v_pk_fma_f16 v46, v44, v77, v46
	v_pk_fma_f16 v47, v45, v77, v47
	ds_load_b128 v[74:77], v65 offset:240
	s_wait_dscnt 0x1
	v_dual_lshrrev_b32 v83, 16, v12 :: v_dual_lshrrev_b32 v85, 16, v13
	v_pk_fma_f16 v42, v44, v73, v42
	v_pk_fma_f16 v43, v45, v73, v43
	v_and_b32_e32 v73, 0xffff, v12
	v_and_b32_e32 v84, 0xffff, v13
	;; [unrolled: 1-line block ×3, first 2 shown]
	v_dual_lshrrev_b32 v87, 16, v14 :: v_dual_lshrrev_b32 v88, 16, v15
	v_and_b32_e32 v89, 0xffff, v15
	ds_load_2addr_b64 v[12:15], v70 offset0:64 offset1:96
	v_mul_u32_u24_e32 v44, 0x10001, v95
	v_mul_u32_u24_e32 v73, 0x10001, v73
	v_mul_u32_u24_e32 v88, 0x10001, v88
	s_wait_dscnt 0x1
	v_lshrrev_b32_e32 v90, 16, v75
	v_and_b32_e32 v91, 0xffff, v75
	v_dual_lshrrev_b32 v92, 16, v76 :: v_dual_lshrrev_b32 v94, 16, v77
	v_and_b32_e32 v93, 0xffff, v76
	v_mul_u32_u24_e32 v75, 0x10001, v103
	v_mul_u32_u24_e32 v76, 0x10001, v105
	v_and_b32_e32 v95, 0xffff, v77
	s_wait_dscnt 0x0
	v_pk_fma_f16 v45, v12, v44, v46
	v_mul_u32_u24_e32 v46, 0x10001, v96
	v_pk_fma_f16 v44, v13, v44, v47
	v_and_b32_e32 v47, 0xffff, v74
	s_delay_alu instid0(VALU_DEP_3) | instskip(SKIP_3) | instid1(VALU_DEP_3)
	v_pk_fma_f16 v12, v12, v46, v42
	v_mul_u32_u24_e32 v42, 0x10001, v98
	v_pk_fma_f16 v13, v13, v46, v43
	v_lshrrev_b32_e32 v46, 16, v74
	v_pk_fma_f16 v43, v14, v42, v45
	v_pk_fma_f16 v42, v15, v42, v44
	v_mul_u32_u24_e32 v44, 0x10001, v97
	s_delay_alu instid0(VALU_DEP_1)
	v_pk_fma_f16 v45, v14, v44, v12
	v_pk_fma_f16 v44, v15, v44, v13
	ds_load_2addr_b64 v[12:15], v70 offset0:128 offset1:160
	s_wait_dscnt 0x0
	v_pk_fma_f16 v43, v12, v11, v43
	v_pk_fma_f16 v11, v13, v11, v42
	;; [unrolled: 1-line block ×4, first 2 shown]
	v_mul_u32_u24_e32 v44, 0x10001, v100
	v_pk_fma_f16 v13, v14, v9, v43
	v_pk_fma_f16 v42, v15, v9, v11
	;; [unrolled: 1-line block ×4, first 2 shown]
	ds_load_2addr_b64 v[8:11], v70 offset0:192 offset1:224
	v_mul_u32_u24_e32 v43, 0x10001, v99
	s_wait_dscnt 0x0
	v_pk_fma_f16 v13, v8, v6, v13
	v_pk_fma_f16 v6, v9, v6, v42
	;; [unrolled: 1-line block ×4, first 2 shown]
	s_delay_alu instid0(VALU_DEP_4) | instskip(NEXT) | instid1(VALU_DEP_4)
	v_pk_fma_f16 v14, v10, v7, v13
	v_pk_fma_f16 v15, v11, v7, v6
	ds_load_2addr_b64 v[6:9], v71 offset1:32
	v_pk_fma_f16 v42, v10, v4, v12
	v_pk_fma_f16 v4, v11, v4, v5
	ds_load_2addr_b64 v[10:13], v71 offset0:64 offset1:96
	v_mul_u32_u24_e32 v5, 0x10001, v78
	v_mul_u32_u24_e32 v78, 0x10001, v79
	;; [unrolled: 1-line block ×4, first 2 shown]
	s_wait_dscnt 0x1
	v_pk_fma_f16 v14, v6, v5, v14
	v_pk_fma_f16 v5, v7, v5, v15
	;; [unrolled: 1-line block ×4, first 2 shown]
	v_mul_u32_u24_e32 v43, 0x10001, v101
	v_pk_fma_f16 v14, v8, v44, v14
	v_pk_fma_f16 v74, v9, v44, v5
	ds_load_2addr_b64 v[4:7], v71 offset0:128 offset1:160
	v_pk_fma_f16 v8, v8, v43, v15
	v_mul_u32_u24_e32 v15, 0x10001, v102
	v_pk_fma_f16 v9, v9, v43, v42
	ds_load_2addr_b64 v[42:45], v71 offset0:192 offset1:224
	s_wait_dscnt 0x2
	v_pk_fma_f16 v14, v10, v15, v14
	v_pk_fma_f16 v15, v11, v15, v74
	;; [unrolled: 1-line block ×4, first 2 shown]
	ds_load_2addr_b64 v[8:11], v72 offset1:32
	v_pk_fma_f16 v77, v12, v76, v14
	v_pk_fma_f16 v76, v13, v76, v15
	v_mul_u32_u24_e32 v14, 0x10001, v104
	s_delay_alu instid0(VALU_DEP_1)
	v_pk_fma_f16 v74, v12, v14, v74
	v_pk_fma_f16 v75, v13, v14, v75
	s_wait_dscnt 0x2
	v_pk_fma_f16 v77, v4, v78, v77
	v_pk_fma_f16 v76, v5, v78, v76
	ds_load_2addr_b64 v[12:15], v72 offset0:64 offset1:96
	v_pk_fma_f16 v4, v4, v79, v74
	v_pk_fma_f16 v5, v5, v79, v75
	;; [unrolled: 1-line block ×4, first 2 shown]
	v_mul_u32_u24_e32 v80, 0x10001, v82
	v_mul_u32_u24_e32 v82, 0x10001, v83
	ds_load_2addr_b64 v[74:77], v72 offset0:128 offset1:160
	s_wait_dscnt 0x3
	v_pk_fma_f16 v78, v42, v2, v78
	v_pk_fma_f16 v2, v43, v2, v79
	;; [unrolled: 1-line block ×4, first 2 shown]
	v_mul_u32_u24_e32 v83, 0x10001, v84
	v_mul_u32_u24_e32 v84, 0x10001, v85
	v_pk_fma_f16 v2, v45, v3, v2
	v_pk_fma_f16 v42, v42, v1, v81
	;; [unrolled: 1-line block ×3, first 2 shown]
	v_mul_u32_u24_e32 v43, 0x10001, v47
	v_pk_fma_f16 v47, v44, v3, v78
	s_wait_dscnt 0x2
	v_pk_fma_f16 v2, v9, v73, v2
	v_pk_fma_f16 v42, v44, v0, v42
	;; [unrolled: 1-line block ×3, first 2 shown]
	v_mul_u32_u24_e32 v85, 0x10001, v86
	v_pk_fma_f16 v3, v8, v73, v47
	v_mul_u32_u24_e32 v86, 0x10001, v87
	v_pk_fma_f16 v8, v8, v82, v42
	v_pk_fma_f16 v0, v9, v82, v0
	;; [unrolled: 1-line block ×4, first 2 shown]
	ds_load_2addr_b64 v[4:7], v72 offset0:192 offset1:224
	v_pk_fma_f16 v8, v10, v84, v8
	v_pk_fma_f16 v0, v11, v84, v0
	v_mul_u32_u24_e32 v87, 0x10001, v89
	s_wait_dscnt 0x2
	v_pk_fma_f16 v3, v12, v85, v3
	v_pk_fma_f16 v2, v13, v85, v2
	;; [unrolled: 1-line block ×4, first 2 shown]
	s_wait_dscnt 0x0
	s_barrier_signal -1
	s_barrier_wait -1
	s_load_b32 s2, s[26:27], 0x4
	v_mul_u32_u24_e32 v1, 0x10001, v46
	v_pk_fma_f16 v3, v14, v87, v3
	v_pk_fma_f16 v8, v14, v88, v8
	v_pk_fma_f16 v2, v15, v87, v2
	v_pk_fma_f16 v0, v15, v88, v0
	v_mul_u32_u24_e32 v9, 0x10001, v91
	v_mul_u32_u24_e32 v10, 0x10001, v90
	v_pk_fma_f16 v3, v74, v43, v3
	v_pk_fma_f16 v8, v74, v1, v8
	v_pk_fma_f16 v2, v75, v43, v2
	v_pk_fma_f16 v0, v75, v1, v0
	v_mul_u32_u24_e32 v11, 0x10001, v93
	v_mul_u32_u24_e32 v12, 0x10001, v92
	v_pk_fma_f16 v3, v76, v9, v3
	v_pk_fma_f16 v8, v76, v10, v8
	v_pk_fma_f16 v2, v77, v9, v2
	v_pk_fma_f16 v0, v77, v10, v0
	v_mul_u32_u24_e32 v1, 0x10001, v95
	v_mul_u32_u24_e32 v9, 0x10001, v94
	v_pk_fma_f16 v3, v4, v11, v3
	v_pk_fma_f16 v4, v4, v12, v8
	;; [unrolled: 1-line block ×4, first 2 shown]
	s_wait_kmcnt 0x0
	s_lshl_b32 s2, s2, 6
	v_pk_fma_f16 v75, v6, v1, v3
	v_pk_fma_f16 v73, v6, v9, v4
	;; [unrolled: 1-line block ×4, first 2 shown]
	s_add_co_i32 s10, s2, s10
	s_delay_alu instid0(SALU_CYCLE_1)
	s_cmp_ge_i32 s10, s30
	s_cbranch_scc0 .LBB27_9
; %bb.10:
	v_dual_mov_b32 v3, 32 :: v_dual_mov_b32 v5, v51
.LBB27_11:
	s_delay_alu instid0(VALU_DEP_1)
	v_cmp_lt_i32_e32 vcc_lo, v56, v3
	s_cmp_lg_u64 s[12:13], 0
	s_cselect_b32 s2, -1, 0
	s_cmp_eq_u32 s31, 0
	v_cndmask_b32_e32 v0, v5, v56, vcc_lo
	v_cmp_lt_i32_e32 vcc_lo, v55, v3
	s_cselect_b32 s3, -1, 0
	s_delay_alu instid0(SALU_CYCLE_1) | instskip(NEXT) | instid1(VALU_DEP_2)
	s_and_b32 s2, s3, s2
	v_dual_cndmask_b32 v2, v5, v55 :: v_dual_lshlrev_b32 v1, 2, v0
	v_cmp_lt_i32_e32 vcc_lo, v54, v3
	s_delay_alu instid0(VALU_DEP_2)
	v_lshlrev_b32_e32 v2, 2, v2
	ds_bpermute_b32 v0, v1, v20
	ds_bpermute_b32 v1, v1, v21
	s_wait_dscnt 0x0
	v_pk_add_f32 v[0:1], v[20:21], v[0:1]
	ds_bpermute_b32 v6, v2, v0
	ds_bpermute_b32 v7, v2, v1
	v_cndmask_b32_e32 v2, v5, v54, vcc_lo
	v_cmp_lt_i32_e32 vcc_lo, v53, v3
	s_delay_alu instid0(VALU_DEP_2)
	v_lshlrev_b32_e32 v2, 2, v2
	s_wait_dscnt 0x0
	v_pk_add_f32 v[0:1], v[0:1], v[6:7]
	ds_bpermute_b32 v6, v2, v0
	ds_bpermute_b32 v7, v2, v1
	v_cndmask_b32_e32 v2, v5, v53, vcc_lo
	v_cmp_lt_i32_e32 vcc_lo, v52, v3
	s_delay_alu instid0(VALU_DEP_2)
	v_lshlrev_b32_e32 v2, 2, v2
	s_wait_dscnt 0x0
	v_pk_add_f32 v[0:1], v[0:1], v[6:7]
	ds_bpermute_b32 v6, v2, v0
	ds_bpermute_b32 v7, v2, v1
	v_cndmask_b32_e32 v2, v5, v52, vcc_lo
	s_and_b32 vcc_lo, exec_lo, s2
	s_delay_alu instid0(VALU_DEP_1)
	v_lshlrev_b32_e32 v3, 2, v2
	s_wait_dscnt 0x0
	v_pk_add_f32 v[0:1], v[0:1], v[6:7]
	ds_bpermute_b32 v2, v3, v0
	ds_bpermute_b32 v3, v3, v1
	s_wait_dscnt 0x0
	v_pk_add_f32 v[0:1], v[0:1], v[2:3]
	v_add_nc_u32_e32 v2, s33, v16
	s_cbranch_vccz .LBB27_13
; %bb.12:
	s_delay_alu instid0(VALU_DEP_1) | instskip(NEXT) | instid1(VALU_DEP_1)
	v_dual_ashrrev_i32 v3, 31, v2 :: v_dual_max_num_f32 v7, v41, v41
	v_lshl_add_u64 v[4:5], v[2:3], 2, s[12:13]
	v_max_num_f32_e32 v3, v40, v40
	global_load_b64 v[4:5], v[4:5], off
	s_wait_loadcnt 0x0
	v_dual_max_num_f32 v6, v4, v4 :: v_dual_max_num_f32 v8, v5, v5
	s_delay_alu instid0(VALU_DEP_1) | instskip(NEXT) | instid1(VALU_DEP_1)
	v_max_num_f32_e32 v6, v3, v6
	v_dual_max_num_f32 v7, v7, v8 :: v_dual_sub_f32 v3, v40, v6
	s_delay_alu instid0(VALU_DEP_1) | instskip(SKIP_2) | instid1(VALU_DEP_3)
	v_dual_sub_f32 v8, v4, v6 :: v_dual_sub_f32 v9, v41, v7
	v_sub_f32_e32 v10, v5, v7
	v_mov_b64_e32 v[40:41], v[6:7]
	v_dual_mul_f32 v4, 0x3fb8aa3b, v3 :: v_dual_mul_f32 v5, 0x3fb8aa3b, v8
	s_delay_alu instid0(VALU_DEP_4) | instskip(SKIP_1) | instid1(VALU_DEP_3)
	v_mul_f32_e32 v11, 0x3fb8aa3b, v9
	v_cmp_ngt_f32_e32 vcc_lo, 0xc2ce8ed0, v3
	v_fma_f32 v13, 0x3fb8aa3b, v3, -v4
	v_rndne_f32_e32 v14, v4
	s_delay_alu instid0(VALU_DEP_4) | instskip(SKIP_2) | instid1(VALU_DEP_4)
	v_fma_f32 v18, 0x3fb8aa3b, v9, -v11
	v_rndne_f32_e32 v19, v11
	v_mul_f32_e32 v12, 0x3fb8aa3b, v10
	v_dual_fmac_f32 v13, 0x32a5705f, v3 :: v_dual_sub_f32 v4, v4, v14
	v_fma_f32 v15, 0x3fb8aa3b, v8, -v5
	v_rndne_f32_e32 v16, v5
	v_dual_fmac_f32 v18, 0x32a5705f, v9 :: v_dual_sub_f32 v11, v11, v19
	s_delay_alu instid0(VALU_DEP_4) | instskip(SKIP_2) | instid1(VALU_DEP_4)
	v_add_f32_e32 v4, v4, v13
	v_rndne_f32_e32 v21, v12
	v_fmac_f32_e32 v15, 0x32a5705f, v8
	v_dual_sub_f32 v5, v5, v16 :: v_dual_add_f32 v11, v11, v18
	s_delay_alu instid0(VALU_DEP_4) | instskip(SKIP_4) | instid1(VALU_DEP_3)
	v_exp_f32_e32 v4, v4
	v_fma_f32 v20, 0x3fb8aa3b, v10, -v12
	v_cvt_i32_f32_e32 v14, v14
	v_sub_f32_e32 v12, v12, v21
	v_exp_f32_e32 v11, v11
	v_dual_add_f32 v5, v5, v15 :: v_dual_fmac_f32 v20, 0x32a5705f, v10
	v_cvt_i32_f32_e32 v15, v19
	v_ldexp_f32 v4, v4, v14
	v_cvt_i32_f32_e32 v13, v16
	s_delay_alu instid0(VALU_DEP_4) | instskip(SKIP_4) | instid1(VALU_DEP_3)
	v_exp_f32_e32 v5, v5
	v_cvt_i32_f32_e32 v16, v21
	v_ldexp_f32 v11, v11, v15
	v_cndmask_b32_e32 v4, 0, v4, vcc_lo
	v_cmp_ngt_f32_e32 vcc_lo, 0xc2ce8ed0, v9
	v_dual_add_f32 v12, v12, v20 :: v_dual_cndmask_b32 v11, 0, v11
	v_cmp_nlt_f32_e32 vcc_lo, 0x42b17218, v3
	s_delay_alu instid0(VALU_DEP_2) | instskip(SKIP_3) | instid1(TRANS32_DEP_1)
	v_exp_f32_e32 v12, v12
	v_ldexp_f32 v3, v5, v13
	v_cndmask_b32_e32 v4, 0x7f800000, v4, vcc_lo
	v_cmp_nlt_f32_e32 vcc_lo, 0x42b17218, v9
	v_ldexp_f32 v9, v12, v16
	v_cndmask_b32_e32 v5, 0x7f800000, v11, vcc_lo
	v_cmp_ngt_f32_e32 vcc_lo, 0xc2ce8ed0, v8
	v_cvt_f16_f32_e32 v11, v4
	s_delay_alu instid0(VALU_DEP_3) | instskip(SKIP_2) | instid1(VALU_DEP_4)
	v_cvt_f16_f32_e32 v12, v5
	v_cndmask_b32_e32 v3, 0, v3, vcc_lo
	v_cmp_ngt_f32_e32 vcc_lo, 0xc2ce8ed0, v10
	v_and_b32_e32 v11, 0xffff, v11
	v_cndmask_b32_e32 v9, 0, v9, vcc_lo
	v_cmp_nlt_f32_e32 vcc_lo, 0x42b17218, v8
	v_cndmask_b32_e32 v8, 0x7f800000, v3, vcc_lo
	v_and_b32_e32 v3, 0xffff, v12
	v_cmp_nlt_f32_e32 vcc_lo, 0x42b17218, v10
	v_mul_u32_u24_e32 v10, 0x10001, v11
	s_delay_alu instid0(VALU_DEP_3) | instskip(SKIP_1) | instid1(VALU_DEP_3)
	v_mul_u32_u24_e32 v3, 0x10001, v3
	v_cndmask_b32_e32 v9, 0x7f800000, v9, vcc_lo
	v_pk_mul_f16 v75, v75, v10
	v_pk_mul_f16 v76, v76, v10
	s_delay_alu instid0(VALU_DEP_4) | instskip(NEXT) | instid1(VALU_DEP_4)
	v_pk_mul_f16 v73, v73, v3
	v_pk_fma_f32 v[0:1], v[0:1], v[4:5], v[8:9]
	v_pk_mul_f16 v74, v74, v3
.LBB27_13:
	s_mov_b32 s2, exec_lo
	v_cmpx_gt_i32_e64 s22, v48
	s_cbranch_execz .LBB27_22
; %bb.14:
	s_load_b32 s0, s[0:1], 0xd4
	v_mov_b32_e32 v4, 1.0
	s_wait_kmcnt 0x0
	s_cmp_lg_u32 s0, 1
	s_cselect_b32 s2, -1, 0
	s_cmp_eq_u32 s0, 1
	s_cselect_b32 s1, -1, 0
	s_and_b32 vcc_lo, exec_lo, s2
	s_cbranch_vccnz .LBB27_16
; %bb.15:
	v_div_scale_f32 v3, null, v0, v0, 1.0
	s_delay_alu instid0(VALU_DEP_1) | instskip(SKIP_1) | instid1(TRANS32_DEP_1)
	v_rcp_f32_e32 v4, v3
	v_nop
	v_fma_f32 v5, -v3, v4, 1.0
	s_delay_alu instid0(VALU_DEP_1) | instskip(SKIP_1) | instid1(VALU_DEP_1)
	v_fmac_f32_e32 v4, v5, v4
	v_div_scale_f32 v5, vcc_lo, 1.0, v0, 1.0
	v_mul_f32_e32 v6, v5, v4
	s_delay_alu instid0(VALU_DEP_1) | instskip(NEXT) | instid1(VALU_DEP_1)
	v_fma_f32 v7, -v3, v6, v5
	v_fmac_f32_e32 v6, v7, v4
	s_delay_alu instid0(VALU_DEP_1) | instskip(NEXT) | instid1(VALU_DEP_1)
	v_fma_f32 v3, -v3, v6, v5
	v_div_fmas_f32 v3, v3, v4, v6
	s_delay_alu instid0(VALU_DEP_1)
	v_div_fixup_f32 v4, v3, v0, 1.0
.LBB27_16:
	v_mad_u32 v3, s28, s22, v48
	v_lshrrev_b32_e32 v5, 16, v76
	v_cvt_f32_f16_e32 v6, v75
	v_cvt_f32_f16_e32 v10, v76
	v_cmp_eq_u32_e32 vcc_lo, 0, v17
	v_mov_b32_e32 v9, 0
	v_cvt_f32_f16_e32 v11, v5
	s_and_b32 s2, vcc_lo, s2
	v_mad_u32 v2, v3, s23, v2
	v_lshrrev_b32_e32 v3, 16, v75
	s_delay_alu instid0(VALU_DEP_1) | instskip(NEXT) | instid1(VALU_DEP_1)
	v_cvt_f32_f16_e32 v7, v3
	v_pk_mul_f32 v[6:7], v[4:5], v[6:7] op_sel_hi:[0,1]
	s_delay_alu instid0(VALU_DEP_4) | instskip(NEXT) | instid1(VALU_DEP_1)
	v_mad_u32 v2, s0, v2, s31
	v_lshl_add_u32 v8, v2, 7, v49
	s_delay_alu instid0(VALU_DEP_1)
	v_lshl_add_u64 v[12:13], v[8:9], 2, s[16:17]
	v_pk_mul_f32 v[8:9], v[4:5], v[10:11] op_sel_hi:[0,1]
	global_store_b128 v[12:13], v[6:9], off
	s_wait_xcnt 0x0
	s_and_saveexec_b32 s3, s2
	s_cbranch_execz .LBB27_18
; %bb.17:
	v_dual_mov_b32 v4, v40 :: v_dual_mov_b32 v5, v0
	global_store_b64 v2, v[4:5], s[18:19] scale_offset
.LBB27_18:
	s_wait_xcnt 0x0
	s_or_b32 exec_lo, exec_lo, s3
	v_mov_b32_e32 v0, 1.0
	s_and_not1_b32 vcc_lo, exec_lo, s1
	s_cbranch_vccnz .LBB27_20
; %bb.19:
	v_div_scale_f32 v0, null, v1, v1, 1.0
	s_delay_alu instid0(VALU_DEP_1) | instskip(SKIP_1) | instid1(TRANS32_DEP_1)
	v_rcp_f32_e32 v3, v0
	v_nop
	v_fma_f32 v4, -v0, v3, 1.0
	s_delay_alu instid0(VALU_DEP_1) | instskip(SKIP_1) | instid1(VALU_DEP_1)
	v_fmac_f32_e32 v3, v4, v3
	v_div_scale_f32 v4, vcc_lo, 1.0, v1, 1.0
	v_mul_f32_e32 v5, v4, v3
	s_delay_alu instid0(VALU_DEP_1) | instskip(NEXT) | instid1(VALU_DEP_1)
	v_fma_f32 v6, -v0, v5, v4
	v_fmac_f32_e32 v5, v6, v3
	s_delay_alu instid0(VALU_DEP_1) | instskip(NEXT) | instid1(VALU_DEP_1)
	v_fma_f32 v0, -v0, v5, v4
	v_div_fmas_f32 v0, v0, v3, v5
	s_delay_alu instid0(VALU_DEP_1)
	v_div_fixup_f32 v0, v0, v1, 1.0
.LBB27_20:
	v_dual_add_nc_u32 v2, s0, v2 :: v_dual_lshrrev_b32 v3, 16, v73
	v_dual_mov_b32 v5, 0 :: v_dual_lshrrev_b32 v9, 16, v74
	v_cvt_f32_f16_e32 v6, v73
	s_delay_alu instid0(VALU_DEP_3) | instskip(NEXT) | instid1(VALU_DEP_4)
	v_lshl_add_u32 v4, v2, 7, v49
	v_cvt_f32_f16_e32 v7, v3
	v_cvt_f32_f16_e32 v8, v74
	;; [unrolled: 1-line block ×3, first 2 shown]
	s_delay_alu instid0(VALU_DEP_4) | instskip(NEXT) | instid1(VALU_DEP_4)
	v_lshl_add_u64 v[10:11], v[4:5], 2, s[16:17]
	v_pk_mul_f32 v[4:5], v[0:1], v[6:7] op_sel_hi:[0,1]
	s_delay_alu instid0(VALU_DEP_3)
	v_pk_mul_f32 v[6:7], v[0:1], v[8:9] op_sel_hi:[0,1]
	global_store_b128 v[10:11], v[4:7], off
	s_wait_xcnt 0x0
	s_and_b32 exec_lo, exec_lo, s2
	s_cbranch_execz .LBB27_22
; %bb.21:
	v_mov_b32_e32 v0, v41
	global_store_b64 v2, v[0:1], s[18:19] scale_offset
.LBB27_22:
	s_sendmsg sendmsg(MSG_DEALLOC_VGPRS)
	s_endpgm
	.section	.rodata,"a",@progbits
	.p2align	6, 0x0
	.amdhsa_kernel _ZL15flash_attn_tileILi128ELi128ELi2ELi4ELb0EEvPKcS1_S1_S1_S1_PKiPfP15HIP_vector_typeIfLj2EEffffjfiS5_IjLj3EEiiiiiiiiiiiliiliiiiil
		.amdhsa_group_segment_fixed_size 12288
		.amdhsa_private_segment_fixed_size 0
		.amdhsa_kernarg_size 464
		.amdhsa_user_sgpr_count 2
		.amdhsa_user_sgpr_dispatch_ptr 0
		.amdhsa_user_sgpr_queue_ptr 0
		.amdhsa_user_sgpr_kernarg_segment_ptr 1
		.amdhsa_user_sgpr_dispatch_id 0
		.amdhsa_user_sgpr_kernarg_preload_length 0
		.amdhsa_user_sgpr_kernarg_preload_offset 0
		.amdhsa_user_sgpr_private_segment_size 0
		.amdhsa_wavefront_size32 1
		.amdhsa_uses_dynamic_stack 0
		.amdhsa_enable_private_segment 0
		.amdhsa_system_sgpr_workgroup_id_x 1
		.amdhsa_system_sgpr_workgroup_id_y 1
		.amdhsa_system_sgpr_workgroup_id_z 1
		.amdhsa_system_sgpr_workgroup_info 0
		.amdhsa_system_vgpr_workitem_id 1
		.amdhsa_next_free_vgpr 112
		.amdhsa_next_free_sgpr 42
		.amdhsa_named_barrier_count 0
		.amdhsa_reserve_vcc 1
		.amdhsa_float_round_mode_32 0
		.amdhsa_float_round_mode_16_64 0
		.amdhsa_float_denorm_mode_32 3
		.amdhsa_float_denorm_mode_16_64 3
		.amdhsa_fp16_overflow 0
		.amdhsa_memory_ordered 1
		.amdhsa_forward_progress 1
		.amdhsa_inst_pref_size 82
		.amdhsa_round_robin_scheduling 0
		.amdhsa_exception_fp_ieee_invalid_op 0
		.amdhsa_exception_fp_denorm_src 0
		.amdhsa_exception_fp_ieee_div_zero 0
		.amdhsa_exception_fp_ieee_overflow 0
		.amdhsa_exception_fp_ieee_underflow 0
		.amdhsa_exception_fp_ieee_inexact 0
		.amdhsa_exception_int_div_zero 0
	.end_amdhsa_kernel
	.section	.text._ZL15flash_attn_tileILi128ELi128ELi2ELi4ELb0EEvPKcS1_S1_S1_S1_PKiPfP15HIP_vector_typeIfLj2EEffffjfiS5_IjLj3EEiiiiiiiiiiiliiliiiiil,"axG",@progbits,_ZL15flash_attn_tileILi128ELi128ELi2ELi4ELb0EEvPKcS1_S1_S1_S1_PKiPfP15HIP_vector_typeIfLj2EEffffjfiS5_IjLj3EEiiiiiiiiiiiliiliiiiil,comdat
.Lfunc_end27:
	.size	_ZL15flash_attn_tileILi128ELi128ELi2ELi4ELb0EEvPKcS1_S1_S1_S1_PKiPfP15HIP_vector_typeIfLj2EEffffjfiS5_IjLj3EEiiiiiiiiiiiliiliiiiil, .Lfunc_end27-_ZL15flash_attn_tileILi128ELi128ELi2ELi4ELb0EEvPKcS1_S1_S1_S1_PKiPfP15HIP_vector_typeIfLj2EEffffjfiS5_IjLj3EEiiiiiiiiiiiliiliiiiil
                                        ; -- End function
	.set _ZL15flash_attn_tileILi128ELi128ELi2ELi4ELb0EEvPKcS1_S1_S1_S1_PKiPfP15HIP_vector_typeIfLj2EEffffjfiS5_IjLj3EEiiiiiiiiiiiliiliiiiil.num_vgpr, 112
	.set _ZL15flash_attn_tileILi128ELi128ELi2ELi4ELb0EEvPKcS1_S1_S1_S1_PKiPfP15HIP_vector_typeIfLj2EEffffjfiS5_IjLj3EEiiiiiiiiiiiliiliiiiil.num_agpr, 0
	.set _ZL15flash_attn_tileILi128ELi128ELi2ELi4ELb0EEvPKcS1_S1_S1_S1_PKiPfP15HIP_vector_typeIfLj2EEffffjfiS5_IjLj3EEiiiiiiiiiiiliiliiiiil.numbered_sgpr, 42
	.set _ZL15flash_attn_tileILi128ELi128ELi2ELi4ELb0EEvPKcS1_S1_S1_S1_PKiPfP15HIP_vector_typeIfLj2EEffffjfiS5_IjLj3EEiiiiiiiiiiiliiliiiiil.num_named_barrier, 0
	.set _ZL15flash_attn_tileILi128ELi128ELi2ELi4ELb0EEvPKcS1_S1_S1_S1_PKiPfP15HIP_vector_typeIfLj2EEffffjfiS5_IjLj3EEiiiiiiiiiiiliiliiiiil.private_seg_size, 0
	.set _ZL15flash_attn_tileILi128ELi128ELi2ELi4ELb0EEvPKcS1_S1_S1_S1_PKiPfP15HIP_vector_typeIfLj2EEffffjfiS5_IjLj3EEiiiiiiiiiiiliiliiiiil.uses_vcc, 1
	.set _ZL15flash_attn_tileILi128ELi128ELi2ELi4ELb0EEvPKcS1_S1_S1_S1_PKiPfP15HIP_vector_typeIfLj2EEffffjfiS5_IjLj3EEiiiiiiiiiiiliiliiiiil.uses_flat_scratch, 0
	.set _ZL15flash_attn_tileILi128ELi128ELi2ELi4ELb0EEvPKcS1_S1_S1_S1_PKiPfP15HIP_vector_typeIfLj2EEffffjfiS5_IjLj3EEiiiiiiiiiiiliiliiiiil.has_dyn_sized_stack, 0
	.set _ZL15flash_attn_tileILi128ELi128ELi2ELi4ELb0EEvPKcS1_S1_S1_S1_PKiPfP15HIP_vector_typeIfLj2EEffffjfiS5_IjLj3EEiiiiiiiiiiiliiliiiiil.has_recursion, 0
	.set _ZL15flash_attn_tileILi128ELi128ELi2ELi4ELb0EEvPKcS1_S1_S1_S1_PKiPfP15HIP_vector_typeIfLj2EEffffjfiS5_IjLj3EEiiiiiiiiiiiliiliiiiil.has_indirect_call, 0
	.section	.AMDGPU.csdata,"",@progbits
; Kernel info:
; codeLenInByte = 10396
; TotalNumSgprs: 44
; NumVgprs: 112
; ScratchSize: 0
; MemoryBound: 0
; FloatMode: 240
; IeeeMode: 1
; LDSByteSize: 12288 bytes/workgroup (compile time only)
; SGPRBlocks: 0
; VGPRBlocks: 6
; NumSGPRsForWavesPerEU: 44
; NumVGPRsForWavesPerEU: 112
; NamedBarCnt: 0
; Occupancy: 9
; WaveLimiterHint : 1
; COMPUTE_PGM_RSRC2:SCRATCH_EN: 0
; COMPUTE_PGM_RSRC2:USER_SGPR: 2
; COMPUTE_PGM_RSRC2:TRAP_HANDLER: 0
; COMPUTE_PGM_RSRC2:TGID_X_EN: 1
; COMPUTE_PGM_RSRC2:TGID_Y_EN: 1
; COMPUTE_PGM_RSRC2:TGID_Z_EN: 1
; COMPUTE_PGM_RSRC2:TIDIG_COMP_CNT: 1
	.section	.text._ZL33flash_attn_stream_k_fixup_uniformILi128ELi2ELi4EEvPfPK15HIP_vector_typeIfLj2EEiiiiiiS1_IjLj3EES5_S5_,"axG",@progbits,_ZL33flash_attn_stream_k_fixup_uniformILi128ELi2ELi4EEvPfPK15HIP_vector_typeIfLj2EEiiiiiiS1_IjLj3EES5_S5_,comdat
	.globl	_ZL33flash_attn_stream_k_fixup_uniformILi128ELi2ELi4EEvPfPK15HIP_vector_typeIfLj2EEiiiiiiS1_IjLj3EES5_S5_ ; -- Begin function _ZL33flash_attn_stream_k_fixup_uniformILi128ELi2ELi4EEvPfPK15HIP_vector_typeIfLj2EEiiiiiiS1_IjLj3EES5_S5_
	.p2align	8
	.type	_ZL33flash_attn_stream_k_fixup_uniformILi128ELi2ELi4EEvPfPK15HIP_vector_typeIfLj2EEiiiiiiS1_IjLj3EES5_S5_,@function
_ZL33flash_attn_stream_k_fixup_uniformILi128ELi2ELi4EEvPfPK15HIP_vector_typeIfLj2EEiiiiiiS1_IjLj3EES5_S5_: ; @_ZL33flash_attn_stream_k_fixup_uniformILi128ELi2ELi4EEvPfPK15HIP_vector_typeIfLj2EEiiiiiiS1_IjLj3EES5_S5_
; %bb.0:
	s_load_b256 s[4:11], s[0:1], 0x1c
	s_bfe_u32 s2, ttmp6, 0x40014
	s_lshr_b32 s3, ttmp7, 16
	s_add_co_i32 s2, s2, 1
	s_bfe_u32 s13, ttmp6, 0x40010
	s_mul_i32 s2, s3, s2
	s_bfe_u32 s12, ttmp6, 0x40008
	s_and_b32 s15, ttmp7, 0xffff
	s_add_co_i32 s13, s13, 1
	s_bfe_u32 s14, ttmp6, 0x4000c
	s_add_co_i32 s12, s12, s2
	s_mul_i32 s2, s15, s13
	s_bfe_u32 s13, ttmp6, 0x40004
	s_add_co_i32 s14, s14, 1
	s_add_co_i32 s13, s13, s2
	s_and_b32 s2, ttmp6, 15
	s_mul_i32 s14, ttmp9, s14
	s_getreg_b32 s20, hwreg(HW_REG_IB_STS2, 6, 4)
	s_add_co_i32 s2, s2, s14
	s_load_b128 s[16:19], s[0:1], 0x3c
	s_cmp_eq_u32 s20, 0
	s_cselect_b32 s14, ttmp9, s2
	s_cselect_b32 s13, s15, s13
	s_wait_kmcnt 0x0
	s_mul_hi_u32 s2, s7, s14
	s_cselect_b32 s12, s3, s12
	s_add_co_i32 s2, s14, s2
	s_delay_alu instid0(SALU_CYCLE_1) | instskip(NEXT) | instid1(SALU_CYCLE_1)
	s_lshr_b32 s7, s2, s8
	s_mul_i32 s2, s7, s9
	s_delay_alu instid0(SALU_CYCLE_1) | instskip(NEXT) | instid1(SALU_CYCLE_1)
	s_sub_co_i32 s8, s14, s2
	s_mul_hi_u32 s2, s8, s10
	s_delay_alu instid0(SALU_CYCLE_1) | instskip(SKIP_2) | instid1(SALU_CYCLE_1)
	s_add_co_i32 s9, s8, s2
	s_load_b64 s[2:3], s[0:1], 0x10
	s_lshr_b32 s15, s9, s11
	s_mul_i32 s9, s15, s16
	s_delay_alu instid0(SALU_CYCLE_1) | instskip(NEXT) | instid1(SALU_CYCLE_1)
	s_sub_co_i32 s8, s8, s9
	s_mul_hi_u32 s9, s8, s17
	s_delay_alu instid0(SALU_CYCLE_1) | instskip(NEXT) | instid1(SALU_CYCLE_1)
	s_add_co_i32 s9, s8, s9
	s_lshr_b32 s9, s9, s18
	s_delay_alu instid0(SALU_CYCLE_1) | instskip(SKIP_2) | instid1(SALU_CYCLE_1)
	s_mul_i32 s10, s9, s19
	s_lshl_b32 s17, s9, 2
	s_sub_co_i32 s16, s8, s10
	s_lshl_b32 s8, s16, 1
	s_delay_alu instid0(SALU_CYCLE_1) | instskip(SKIP_4) | instid1(SALU_CYCLE_1)
	s_add_co_i32 s8, s8, s13
	s_wait_kmcnt 0x0
	s_cmp_lt_i32 s8, s2
	s_cselect_b32 s8, -1, 0
	s_add_co_i32 s9, s17, s12
	s_cmp_lt_i32 s9, s5
	s_cselect_b32 s9, -1, 0
	s_delay_alu instid0(SALU_CYCLE_1) | instskip(NEXT) | instid1(SALU_CYCLE_1)
	s_and_b32 s8, s8, s9
	s_and_not1_b32 vcc_lo, exec_lo, s8
	s_cbranch_vccnz .LBB28_6
; %bb.1:
	s_mul_i32 s2, s7, s2
	s_load_b128 s[8:11], s[0:1], 0x0
	s_wait_xcnt 0x0
	s_add_co_i32 s0, s2, s13
	s_mul_i32 s15, s15, s5
	s_mul_i32 s0, s0, s3
	;; [unrolled: 1-line block ×3, first 2 shown]
	s_add_co_i32 s0, s0, s12
	s_lshl_b32 s1, s1, 8
	s_add_co_i32 s0, s0, s15
	s_mul_i32 s7, s6, s14
	s_add_co_i32 s0, s0, s17
	s_lshl_b32 s5, s13, 2
	s_lshl_b32 s0, s0, 7
	s_add_co_i32 s15, s7, s6
	s_add_co_i32 s1, s1, s0
	;; [unrolled: 1-line block ×3, first 2 shown]
	v_or_b32_e32 v4, s1, v0
	s_lshl_b32 s1, s15, 3
	s_add_co_i32 s2, s15, -2
	s_add_co_i32 s0, s0, s1
	s_delay_alu instid0(SALU_CYCLE_1)
	s_add_co_i32 s0, s0, -8
	s_wait_kmcnt 0x0
	global_load_b32 v3, v4, s[8:9] scale_offset
	s_ashr_i32 s1, s0, 31
	v_ashrrev_i32_e32 v5, 31, v4
	s_lshl_b64 s[0:1], s[0:1], 3
	s_cmp_lt_i32 s2, s7
	s_add_nc_u64 s[0:1], s[10:11], s[0:1]
	s_load_b32 s16, s[0:1], 0x4
	s_cbranch_scc1 .LBB28_4
; %bb.2:
	s_wait_xcnt 0x0
	s_load_b32 s0, s[0:1], 0x0
	s_add_co_i32 s14, s14, 1
	s_lshl_b32 s3, s13, 9
	s_wait_xcnt 0x0
	s_mul_i32 s1, s6, s14
	s_lshl_b32 s6, s12, 7
	s_lshl_b32 s13, s1, 10
	s_add_co_i32 s6, s6, s3
	s_lshl_b32 s1, s1, 3
	s_add_co_i32 s6, s6, s13
	s_lshl_b32 s2, s4, 5
	s_wait_kmcnt 0x0
	v_dual_mov_b32 v2, s16 :: v_dual_bitop2_b32 v0, s6, v0 bitop3:0x54
	s_add_co_i32 s1, s12, s1
	s_lshl_b32 s4, s4, 3
	s_ashr_i32 s3, s2, 31
	s_add_co_i32 s1, s1, s4
	v_add_nc_u32_e32 v0, 0xfffff800, v0
	s_lshl_b64 s[2:3], s[2:3], 2
	s_add_co_i32 s4, s1, s5
	s_add_nc_u64 s[2:3], s[10:11], s[2:3]
	s_add_co_i32 s1, s15, -1
	s_add_co_i32 s4, s4, -16
.LBB28_3:                               ; =>This Inner Loop Header: Depth=1
	global_load_b32 v7, v0, s[2:3] scale_offset
	s_ashr_i32 s5, s4, 31
	v_max_num_f32_e64 v1, s0, s0
	s_lshl_b64 s[12:13], s[4:5], 3
	s_delay_alu instid0(SALU_CYCLE_1) | instskip(SKIP_1) | instid1(VALU_DEP_1)
	s_add_nc_u64 s[12:13], s[10:11], s[12:13]
	s_load_b64 s[12:13], s[12:13], 0x0
	v_readfirstlane_b32 s5, v1
	v_add_nc_u32_e32 v0, 0xfffffc00, v0
	s_wait_kmcnt 0x0
	v_max_num_f32_e64 v1, s12, s12
	s_delay_alu instid0(VALU_DEP_1) | instskip(SKIP_1) | instid1(SALU_CYCLE_3)
	v_readfirstlane_b32 s6, v1
	s_max_num_f32 s5, s5, s6
	s_sub_f32 s0, s0, s5
	s_sub_f32 s6, s12, s5
	s_delay_alu instid0(SALU_CYCLE_2) | instskip(NEXT) | instid1(SALU_CYCLE_2)
	s_mul_f32 s12, s0, 0x3fb8aa3b
	s_mul_f32 s14, s6, 0x3fb8aa3b
	s_delay_alu instid0(SALU_CYCLE_2)
	s_xor_b32 s15, s12, 0x80000000
	s_rndne_f32 s16, s12
	s_fmamk_f32 s15, s0, 0x3fb8aa3b, s15
	s_cmp_nlt_f32 s0, 0xc2ce8ed0
	s_rndne_f32 s17, s14
	s_sub_f32 s12, s12, s16
	s_fmamk_f32 s15, s0, 0x32a5705f, s15
	s_cselect_b32 vcc_lo, -1, 0
	s_cmp_ngt_f32 s0, 0x42b17218
	s_delay_alu instid0(SALU_CYCLE_1) | instskip(SKIP_2) | instid1(SALU_CYCLE_1)
	s_add_f32 s12, s12, s15
	s_cvt_i32_f32 s15, s16
	s_sub_f32 s16, s14, s17
	v_s_exp_f32 s12, s12
	v_nop
	s_delay_alu instid0(TRANS32_DEP_1) | instskip(SKIP_1) | instid1(VALU_DEP_1)
	v_ldexp_f32 v1, s12, s15
	s_cvt_i32_f32 s12, s17
	v_cndmask_b32_e32 v1, 0, v1, vcc_lo
	s_cselect_b32 vcc_lo, -1, 0
	s_cmp_ge_f32 s0, 0xc1a00000
	s_delay_alu instid0(VALU_DEP_1)
	v_cndmask_b32_e32 v1, 0x7f800000, v1, vcc_lo
	s_cselect_b32 vcc_lo, -1, 0
	s_xor_b32 s0, s14, 0x80000000
	s_cmp_nlt_f32 s6, 0xc2ce8ed0
	s_fmamk_f32 s0, s6, 0x3fb8aa3b, s0
	v_cndmask_b32_e32 v10, 0, v1, vcc_lo
	s_delay_alu instid0(SALU_CYCLE_2) | instskip(NEXT) | instid1(SALU_CYCLE_3)
	s_fmamk_f32 s0, s6, 0x32a5705f, s0
	s_add_f32 s0, s16, s0
	s_delay_alu instid0(SALU_CYCLE_3) | instskip(SKIP_1) | instid1(TRANS32_DEP_1)
	v_s_exp_f32 s0, s0
	v_nop
	v_ldexp_f32 v6, s0, s12
	s_cselect_b32 s0, -1, 0
	s_cmp_ngt_f32 s6, 0x42b17218
	s_delay_alu instid0(VALU_DEP_1) | instskip(SKIP_2) | instid1(VALU_DEP_1)
	v_cndmask_b32_e64 v6, 0, v6, s0
	s_cselect_b32 s0, -1, 0
	s_cmp_ge_f32 s6, 0xc1a00000
	v_cndmask_b32_e64 v8, 0x7f800000, v6, s0
	s_cselect_b32 s0, -1, 0
	v_mov_b32_e32 v6, s13
	s_add_co_i32 s1, s1, -1
	s_add_co_i32 s4, s4, -8
	v_cndmask_b32_e64 v8, 0, v8, s0
	s_cmp_le_i32 s1, s7
	s_mov_b32 s0, s5
	s_wait_loadcnt 0x0
	s_delay_alu instid0(VALU_DEP_1) | instskip(NEXT) | instid1(VALU_DEP_1)
	v_pk_mul_f32 v[6:7], v[6:7], v[8:9] op_sel_hi:[1,0]
	v_pk_fma_f32 v[2:3], v[2:3], v[10:11], v[6:7] op_sel_hi:[1,0,1]
	s_cbranch_scc0 .LBB28_3
	s_branch .LBB28_5
.LBB28_4:
	s_wait_kmcnt 0x0
	v_mov_b32_e32 v2, s16
.LBB28_5:
	v_lshl_add_u64 v[0:1], v[4:5], 2, s[8:9]
	s_wait_loadcnt 0x0
	s_delay_alu instid0(VALU_DEP_2) | instskip(NEXT) | instid1(VALU_DEP_1)
	v_div_scale_f32 v4, null, v2, v2, v3
	v_rcp_f32_e32 v5, v4
	v_nop
	s_delay_alu instid0(TRANS32_DEP_1) | instskip(NEXT) | instid1(VALU_DEP_1)
	v_fma_f32 v6, -v4, v5, 1.0
	v_fmac_f32_e32 v5, v6, v5
	v_div_scale_f32 v6, vcc_lo, v3, v2, v3
	s_delay_alu instid0(VALU_DEP_1) | instskip(NEXT) | instid1(VALU_DEP_1)
	v_mul_f32_e32 v7, v6, v5
	v_fma_f32 v8, -v4, v7, v6
	s_delay_alu instid0(VALU_DEP_1) | instskip(NEXT) | instid1(VALU_DEP_1)
	v_fmac_f32_e32 v7, v8, v5
	v_fma_f32 v4, -v4, v7, v6
	s_delay_alu instid0(VALU_DEP_1) | instskip(NEXT) | instid1(VALU_DEP_1)
	v_div_fmas_f32 v4, v4, v5, v7
	v_div_fixup_f32 v2, v4, v2, v3
	global_store_b32 v[0:1], v2, off
.LBB28_6:
	s_endpgm
	.section	.rodata,"a",@progbits
	.p2align	6, 0x0
	.amdhsa_kernel _ZL33flash_attn_stream_k_fixup_uniformILi128ELi2ELi4EEvPfPK15HIP_vector_typeIfLj2EEiiiiiiS1_IjLj3EES5_S5_
		.amdhsa_group_segment_fixed_size 0
		.amdhsa_private_segment_fixed_size 0
		.amdhsa_kernarg_size 76
		.amdhsa_user_sgpr_count 2
		.amdhsa_user_sgpr_dispatch_ptr 0
		.amdhsa_user_sgpr_queue_ptr 0
		.amdhsa_user_sgpr_kernarg_segment_ptr 1
		.amdhsa_user_sgpr_dispatch_id 0
		.amdhsa_user_sgpr_kernarg_preload_length 0
		.amdhsa_user_sgpr_kernarg_preload_offset 0
		.amdhsa_user_sgpr_private_segment_size 0
		.amdhsa_wavefront_size32 1
		.amdhsa_uses_dynamic_stack 0
		.amdhsa_enable_private_segment 0
		.amdhsa_system_sgpr_workgroup_id_x 1
		.amdhsa_system_sgpr_workgroup_id_y 1
		.amdhsa_system_sgpr_workgroup_id_z 1
		.amdhsa_system_sgpr_workgroup_info 0
		.amdhsa_system_vgpr_workitem_id 0
		.amdhsa_next_free_vgpr 12
		.amdhsa_next_free_sgpr 21
		.amdhsa_named_barrier_count 0
		.amdhsa_reserve_vcc 1
		.amdhsa_float_round_mode_32 0
		.amdhsa_float_round_mode_16_64 0
		.amdhsa_float_denorm_mode_32 3
		.amdhsa_float_denorm_mode_16_64 3
		.amdhsa_fp16_overflow 0
		.amdhsa_memory_ordered 1
		.amdhsa_forward_progress 1
		.amdhsa_inst_pref_size 9
		.amdhsa_round_robin_scheduling 0
		.amdhsa_exception_fp_ieee_invalid_op 0
		.amdhsa_exception_fp_denorm_src 0
		.amdhsa_exception_fp_ieee_div_zero 0
		.amdhsa_exception_fp_ieee_overflow 0
		.amdhsa_exception_fp_ieee_underflow 0
		.amdhsa_exception_fp_ieee_inexact 0
		.amdhsa_exception_int_div_zero 0
	.end_amdhsa_kernel
	.section	.text._ZL33flash_attn_stream_k_fixup_uniformILi128ELi2ELi4EEvPfPK15HIP_vector_typeIfLj2EEiiiiiiS1_IjLj3EES5_S5_,"axG",@progbits,_ZL33flash_attn_stream_k_fixup_uniformILi128ELi2ELi4EEvPfPK15HIP_vector_typeIfLj2EEiiiiiiS1_IjLj3EES5_S5_,comdat
.Lfunc_end28:
	.size	_ZL33flash_attn_stream_k_fixup_uniformILi128ELi2ELi4EEvPfPK15HIP_vector_typeIfLj2EEiiiiiiS1_IjLj3EES5_S5_, .Lfunc_end28-_ZL33flash_attn_stream_k_fixup_uniformILi128ELi2ELi4EEvPfPK15HIP_vector_typeIfLj2EEiiiiiiS1_IjLj3EES5_S5_
                                        ; -- End function
	.set _ZL33flash_attn_stream_k_fixup_uniformILi128ELi2ELi4EEvPfPK15HIP_vector_typeIfLj2EEiiiiiiS1_IjLj3EES5_S5_.num_vgpr, 12
	.set _ZL33flash_attn_stream_k_fixup_uniformILi128ELi2ELi4EEvPfPK15HIP_vector_typeIfLj2EEiiiiiiS1_IjLj3EES5_S5_.num_agpr, 0
	.set _ZL33flash_attn_stream_k_fixup_uniformILi128ELi2ELi4EEvPfPK15HIP_vector_typeIfLj2EEiiiiiiS1_IjLj3EES5_S5_.numbered_sgpr, 21
	.set _ZL33flash_attn_stream_k_fixup_uniformILi128ELi2ELi4EEvPfPK15HIP_vector_typeIfLj2EEiiiiiiS1_IjLj3EES5_S5_.num_named_barrier, 0
	.set _ZL33flash_attn_stream_k_fixup_uniformILi128ELi2ELi4EEvPfPK15HIP_vector_typeIfLj2EEiiiiiiS1_IjLj3EES5_S5_.private_seg_size, 0
	.set _ZL33flash_attn_stream_k_fixup_uniformILi128ELi2ELi4EEvPfPK15HIP_vector_typeIfLj2EEiiiiiiS1_IjLj3EES5_S5_.uses_vcc, 1
	.set _ZL33flash_attn_stream_k_fixup_uniformILi128ELi2ELi4EEvPfPK15HIP_vector_typeIfLj2EEiiiiiiS1_IjLj3EES5_S5_.uses_flat_scratch, 0
	.set _ZL33flash_attn_stream_k_fixup_uniformILi128ELi2ELi4EEvPfPK15HIP_vector_typeIfLj2EEiiiiiiS1_IjLj3EES5_S5_.has_dyn_sized_stack, 0
	.set _ZL33flash_attn_stream_k_fixup_uniformILi128ELi2ELi4EEvPfPK15HIP_vector_typeIfLj2EEiiiiiiS1_IjLj3EES5_S5_.has_recursion, 0
	.set _ZL33flash_attn_stream_k_fixup_uniformILi128ELi2ELi4EEvPfPK15HIP_vector_typeIfLj2EEiiiiiiS1_IjLj3EES5_S5_.has_indirect_call, 0
	.section	.AMDGPU.csdata,"",@progbits
; Kernel info:
; codeLenInByte = 1092
; TotalNumSgprs: 23
; NumVgprs: 12
; ScratchSize: 0
; MemoryBound: 0
; FloatMode: 240
; IeeeMode: 1
; LDSByteSize: 0 bytes/workgroup (compile time only)
; SGPRBlocks: 0
; VGPRBlocks: 0
; NumSGPRsForWavesPerEU: 23
; NumVGPRsForWavesPerEU: 12
; NamedBarCnt: 0
; Occupancy: 16
; WaveLimiterHint : 0
; COMPUTE_PGM_RSRC2:SCRATCH_EN: 0
; COMPUTE_PGM_RSRC2:USER_SGPR: 2
; COMPUTE_PGM_RSRC2:TRAP_HANDLER: 0
; COMPUTE_PGM_RSRC2:TGID_X_EN: 1
; COMPUTE_PGM_RSRC2:TGID_Y_EN: 1
; COMPUTE_PGM_RSRC2:TGID_Z_EN: 1
; COMPUTE_PGM_RSRC2:TIDIG_COMP_CNT: 0
	.section	.text._ZL33flash_attn_stream_k_fixup_generalILi128ELi2ELi4EEvPfPK15HIP_vector_typeIfLj2EEiiiiS1_IjLj3EES5_S5_S5_,"axG",@progbits,_ZL33flash_attn_stream_k_fixup_generalILi128ELi2ELi4EEvPfPK15HIP_vector_typeIfLj2EEiiiiS1_IjLj3EES5_S5_S5_,comdat
	.globl	_ZL33flash_attn_stream_k_fixup_generalILi128ELi2ELi4EEvPfPK15HIP_vector_typeIfLj2EEiiiiS1_IjLj3EES5_S5_S5_ ; -- Begin function _ZL33flash_attn_stream_k_fixup_generalILi128ELi2ELi4EEvPfPK15HIP_vector_typeIfLj2EEiiiiS1_IjLj3EES5_S5_S5_
	.p2align	8
	.type	_ZL33flash_attn_stream_k_fixup_generalILi128ELi2ELi4EEvPfPK15HIP_vector_typeIfLj2EEiiiiS1_IjLj3EES5_S5_S5_,@function
_ZL33flash_attn_stream_k_fixup_generalILi128ELi2ELi4EEvPfPK15HIP_vector_typeIfLj2EEiiiiS1_IjLj3EES5_S5_S5_: ; @_ZL33flash_attn_stream_k_fixup_generalILi128ELi2ELi4EEvPfPK15HIP_vector_typeIfLj2EEiiiiS1_IjLj3EES5_S5_S5_
; %bb.0:
	s_clause 0x1
	s_load_b128 s[4:7], s[0:1], 0x10
	s_load_b32 s16, s[0:1], 0x50
	s_bfe_u32 s2, ttmp6, 0x4000c
	s_and_b32 s3, ttmp6, 15
	s_add_co_i32 s2, s2, 1
	s_getreg_b32 s15, hwreg(HW_REG_IB_STS2, 6, 4)
	s_mul_i32 s2, ttmp9, s2
	s_mov_b32 s17, 0
	s_add_co_i32 s3, s3, s2
	s_cmp_eq_u32 s15, 0
	s_cselect_b32 s2, ttmp9, s3
	s_delay_alu instid0(SALU_CYCLE_1) | instskip(SKIP_3) | instid1(SALU_CYCLE_1)
	s_ashr_i32 s3, s2, 31
	s_wait_kmcnt 0x0
	s_ashr_i32 s19, s7, 31
	s_mov_b32 s18, s7
	s_mul_u64 s[8:9], s[18:19], s[2:3]
	s_delay_alu instid0(SALU_CYCLE_1) | instskip(NEXT) | instid1(SALU_CYCLE_1)
	s_and_b64 s[10:11], s[8:9], 0xffffffff00000000
	s_cmp_lg_u64 s[10:11], 0
	s_cbranch_scc0 .LBB29_21
; %bb.1:
	s_add_nc_u64 s[10:11], s[16:17], 0
	s_mov_b32 s23, s17
	s_xor_b64 s[10:11], s[10:11], 0
	s_mov_b32 s27, s17
	s_cvt_f32_u32 s3, s10
	s_cvt_f32_u32 s7, s11
	s_sub_nc_u64 s[20:21], 0, s[10:11]
	s_delay_alu instid0(SALU_CYCLE_2) | instskip(NEXT) | instid1(SALU_CYCLE_3)
	s_fmamk_f32 s3, s7, 0x4f800000, s3
	v_s_rcp_f32 s3, s3
	s_delay_alu instid0(TRANS32_DEP_1) | instskip(NEXT) | instid1(SALU_CYCLE_3)
	s_mul_f32 s3, s3, 0x5f7ffffc
	s_mul_f32 s7, s3, 0x2f800000
	s_delay_alu instid0(SALU_CYCLE_3) | instskip(NEXT) | instid1(SALU_CYCLE_3)
	s_trunc_f32 s7, s7
	s_fmamk_f32 s3, s7, 0xcf800000, s3
	s_cvt_u32_f32 s13, s7
	s_delay_alu instid0(SALU_CYCLE_2) | instskip(NEXT) | instid1(SALU_CYCLE_3)
	s_cvt_u32_f32 s12, s3
	s_mul_u64 s[24:25], s[20:21], s[12:13]
	s_delay_alu instid0(SALU_CYCLE_1)
	s_mul_hi_u32 s29, s12, s25
	s_mul_i32 s28, s12, s25
	s_mul_hi_u32 s22, s12, s24
	s_mul_i32 s7, s13, s24
	s_add_nc_u64 s[22:23], s[22:23], s[28:29]
	s_mul_hi_u32 s3, s13, s24
	s_mul_hi_u32 s14, s13, s25
	s_add_co_u32 s7, s22, s7
	s_add_co_ci_u32 s26, s23, s3
	s_mul_i32 s24, s13, s25
	s_add_co_ci_u32 s25, s14, 0
	s_delay_alu instid0(SALU_CYCLE_1) | instskip(SKIP_3) | instid1(SALU_CYCLE_1)
	s_add_nc_u64 s[22:23], s[26:27], s[24:25]
	s_mov_b32 s25, s17
	s_add_co_u32 s12, s12, s22
	s_cselect_b32 s3, -1, 0
	s_cmp_lg_u32 s3, 0
	s_add_co_ci_u32 s13, s13, s23
	s_mov_b32 s23, s17
	s_mul_u64 s[20:21], s[20:21], s[12:13]
	s_delay_alu instid0(SALU_CYCLE_1)
	s_mul_hi_u32 s27, s12, s21
	s_mul_i32 s26, s12, s21
	s_mul_hi_u32 s22, s12, s20
	s_mul_i32 s7, s13, s20
	s_add_nc_u64 s[22:23], s[22:23], s[26:27]
	s_mul_hi_u32 s3, s13, s20
	s_mul_hi_u32 s14, s13, s21
	s_add_co_u32 s7, s22, s7
	s_add_co_ci_u32 s24, s23, s3
	s_mul_i32 s20, s13, s21
	s_add_co_ci_u32 s21, s14, 0
	s_mov_b32 s23, s17
	s_add_nc_u64 s[20:21], s[24:25], s[20:21]
	s_delay_alu instid0(SALU_CYCLE_1) | instskip(SKIP_1) | instid1(SALU_CYCLE_1)
	s_add_co_u32 s3, s12, s20
	s_cselect_b32 s7, -1, 0
	s_cmp_lg_u32 s7, 0
	s_add_co_ci_u32 s7, s13, s21
	s_ashr_i32 s12, s9, 31
	s_delay_alu instid0(SALU_CYCLE_1) | instskip(NEXT) | instid1(SALU_CYCLE_1)
	s_mov_b32 s13, s12
	s_add_nc_u64 s[20:21], s[8:9], s[12:13]
	s_delay_alu instid0(SALU_CYCLE_1) | instskip(NEXT) | instid1(SALU_CYCLE_1)
	s_xor_b64 s[20:21], s[20:21], s[12:13]
	s_mul_hi_u32 s27, s20, s7
	s_mul_i32 s26, s20, s7
	s_mul_hi_u32 s22, s20, s3
	s_mul_hi_u32 s14, s21, s3
	s_mul_i32 s3, s21, s3
	s_add_nc_u64 s[22:23], s[22:23], s[26:27]
	s_mul_hi_u32 s9, s21, s7
	s_add_co_u32 s3, s22, s3
	s_add_co_ci_u32 s24, s23, s14
	s_mul_i32 s26, s21, s7
	s_add_co_ci_u32 s27, s9, 0
	s_delay_alu instid0(SALU_CYCLE_1) | instskip(NEXT) | instid1(SALU_CYCLE_1)
	s_add_nc_u64 s[22:23], s[24:25], s[26:27]
	s_and_b64 s[24:25], s[22:23], 0xffffffff00000000
	s_delay_alu instid0(SALU_CYCLE_1) | instskip(NEXT) | instid1(SALU_CYCLE_1)
	s_or_b32 s24, s24, s22
	s_mul_u64 s[22:23], s[10:11], s[24:25]
	s_add_nc_u64 s[26:27], s[24:25], 1
	s_sub_co_u32 s3, s20, s22
	s_cselect_b32 s7, -1, 0
	s_sub_co_i32 s9, s21, s23
	s_cmp_lg_u32 s7, 0
	s_add_nc_u64 s[28:29], s[24:25], 2
	s_sub_co_ci_u32 s9, s9, s11
	s_sub_co_u32 s14, s3, s10
	s_cselect_b32 s20, -1, 0
	s_delay_alu instid0(SALU_CYCLE_1) | instskip(SKIP_1) | instid1(SALU_CYCLE_1)
	s_cmp_lg_u32 s20, 0
	s_sub_co_ci_u32 s9, s9, 0
	s_cmp_ge_u32 s9, s11
	s_cselect_b32 s20, -1, 0
	s_cmp_ge_u32 s14, s10
	s_cselect_b32 s14, -1, 0
	s_cmp_eq_u32 s9, s11
	s_cselect_b32 s9, s14, s20
	s_delay_alu instid0(SALU_CYCLE_1) | instskip(SKIP_4) | instid1(SALU_CYCLE_1)
	s_cmp_lg_u32 s9, 0
	s_cselect_b32 s9, s28, s26
	s_cselect_b32 s14, s29, s27
	s_cmp_lg_u32 s7, 0
	s_sub_co_ci_u32 s7, s21, s23
	s_cmp_ge_u32 s7, s11
	s_cselect_b32 s20, -1, 0
	s_cmp_ge_u32 s3, s10
	s_cselect_b32 s3, -1, 0
	s_cmp_eq_u32 s7, s11
	s_cselect_b32 s3, s3, s20
	s_delay_alu instid0(SALU_CYCLE_1) | instskip(SKIP_4) | instid1(SALU_CYCLE_1)
	s_cmp_lg_u32 s3, 0
	s_mov_b32 s3, s17
	s_cselect_b32 s11, s14, s25
	s_cselect_b32 s10, s9, s24
	s_xor_b64 s[12:13], s[12:13], 0
	s_xor_b64 s[10:11], s[10:11], s[12:13]
	s_delay_alu instid0(SALU_CYCLE_1)
	s_sub_nc_u64 s[20:21], s[10:11], s[12:13]
	s_and_not1_b32 vcc_lo, exec_lo, s3
	s_cbranch_vccnz .LBB29_3
.LBB29_2:
	v_cvt_f32_u32_e32 v1, s16
	s_sub_co_i32 s7, 0, s16
	s_mov_b32 s21, 0
	s_delay_alu instid0(VALU_DEP_1) | instskip(SKIP_1) | instid1(TRANS32_DEP_1)
	v_rcp_iflag_f32_e32 v1, v1
	v_nop
	v_mul_f32_e32 v1, 0x4f7ffffe, v1
	s_delay_alu instid0(VALU_DEP_1) | instskip(NEXT) | instid1(VALU_DEP_1)
	v_cvt_u32_f32_e32 v1, v1
	v_readfirstlane_b32 s3, v1
	s_mul_i32 s7, s7, s3
	s_delay_alu instid0(SALU_CYCLE_1) | instskip(NEXT) | instid1(SALU_CYCLE_1)
	s_mul_hi_u32 s7, s3, s7
	s_add_co_i32 s3, s3, s7
	s_delay_alu instid0(SALU_CYCLE_1) | instskip(NEXT) | instid1(SALU_CYCLE_1)
	s_mul_hi_u32 s3, s8, s3
	s_mul_i32 s7, s3, s16
	s_delay_alu instid0(SALU_CYCLE_1)
	s_sub_co_i32 s7, s8, s7
	s_add_co_i32 s8, s3, 1
	s_sub_co_i32 s9, s7, s16
	s_cmp_ge_u32 s7, s16
	s_cselect_b32 s3, s8, s3
	s_cselect_b32 s7, s9, s7
	s_add_co_i32 s8, s3, 1
	s_cmp_ge_u32 s7, s16
	s_cselect_b32 s20, s8, s3
.LBB29_3:
	s_add_co_i32 s8, s2, 1
	s_delay_alu instid0(SALU_CYCLE_1) | instskip(NEXT) | instid1(SALU_CYCLE_1)
	s_ashr_i32 s9, s8, 31
	s_mul_u64 s[8:9], s[18:19], s[8:9]
	s_delay_alu instid0(SALU_CYCLE_1) | instskip(NEXT) | instid1(SALU_CYCLE_1)
	s_and_b64 s[10:11], s[8:9], 0xffffffff00000000
	s_cmp_lg_u64 s[10:11], 0
	s_cbranch_scc0 .LBB29_22
; %bb.4:
	s_add_nc_u64 s[10:11], s[16:17], 0
	s_delay_alu instid0(SALU_CYCLE_1) | instskip(SKIP_4) | instid1(SALU_CYCLE_2)
	s_xor_b64 s[12:13], s[10:11], 0
	s_mov_b32 s11, 0
	s_cvt_f32_u32 s3, s12
	s_cvt_f32_u32 s7, s13
	s_sub_nc_u64 s[24:25], 0, s[12:13]
	s_fmamk_f32 s3, s7, 0x4f800000, s3
	s_delay_alu instid0(SALU_CYCLE_3) | instskip(NEXT) | instid1(TRANS32_DEP_1)
	v_s_rcp_f32 s3, s3
	s_mul_f32 s3, s3, 0x5f7ffffc
	s_delay_alu instid0(SALU_CYCLE_3) | instskip(NEXT) | instid1(SALU_CYCLE_3)
	s_mul_f32 s7, s3, 0x2f800000
	s_trunc_f32 s7, s7
	s_delay_alu instid0(SALU_CYCLE_3) | instskip(SKIP_1) | instid1(SALU_CYCLE_2)
	s_fmamk_f32 s3, s7, 0xcf800000, s3
	s_cvt_u32_f32 s23, s7
	s_cvt_u32_f32 s22, s3
	s_delay_alu instid0(SALU_CYCLE_3) | instskip(NEXT) | instid1(SALU_CYCLE_1)
	s_mul_u64 s[26:27], s[24:25], s[22:23]
	s_mul_hi_u32 s29, s22, s27
	s_mul_i32 s28, s22, s27
	s_mul_hi_u32 s10, s22, s26
	s_mul_i32 s7, s23, s26
	s_add_nc_u64 s[28:29], s[10:11], s[28:29]
	s_mul_hi_u32 s3, s23, s26
	s_mul_hi_u32 s14, s23, s27
	s_add_co_u32 s7, s28, s7
	s_add_co_ci_u32 s10, s29, s3
	s_mul_i32 s26, s23, s27
	s_add_co_ci_u32 s27, s14, 0
	s_delay_alu instid0(SALU_CYCLE_1) | instskip(NEXT) | instid1(SALU_CYCLE_1)
	s_add_nc_u64 s[26:27], s[10:11], s[26:27]
	s_add_co_u32 s22, s22, s26
	s_cselect_b32 s3, -1, 0
	s_delay_alu instid0(SALU_CYCLE_1) | instskip(SKIP_1) | instid1(SALU_CYCLE_1)
	s_cmp_lg_u32 s3, 0
	s_add_co_ci_u32 s23, s23, s27
	s_mul_u64 s[24:25], s[24:25], s[22:23]
	s_delay_alu instid0(SALU_CYCLE_1)
	s_mul_hi_u32 s27, s22, s25
	s_mul_i32 s26, s22, s25
	s_mul_hi_u32 s10, s22, s24
	s_mul_i32 s7, s23, s24
	s_add_nc_u64 s[26:27], s[10:11], s[26:27]
	s_mul_hi_u32 s3, s23, s24
	s_mul_hi_u32 s14, s23, s25
	s_add_co_u32 s7, s26, s7
	s_add_co_ci_u32 s10, s27, s3
	s_mul_i32 s24, s23, s25
	s_add_co_ci_u32 s25, s14, 0
	s_delay_alu instid0(SALU_CYCLE_1) | instskip(NEXT) | instid1(SALU_CYCLE_1)
	s_add_nc_u64 s[24:25], s[10:11], s[24:25]
	s_add_co_u32 s3, s22, s24
	s_cselect_b32 s7, -1, 0
	s_delay_alu instid0(SALU_CYCLE_1) | instskip(SKIP_2) | instid1(SALU_CYCLE_1)
	s_cmp_lg_u32 s7, 0
	s_add_co_ci_u32 s7, s23, s25
	s_ashr_i32 s22, s9, 31
	s_mov_b32 s23, s22
	s_delay_alu instid0(SALU_CYCLE_1) | instskip(NEXT) | instid1(SALU_CYCLE_1)
	s_add_nc_u64 s[24:25], s[8:9], s[22:23]
	s_xor_b64 s[24:25], s[24:25], s[22:23]
	s_delay_alu instid0(SALU_CYCLE_1)
	s_mul_hi_u32 s27, s24, s7
	s_mul_i32 s26, s24, s7
	s_mul_hi_u32 s10, s24, s3
	s_mul_hi_u32 s14, s25, s3
	s_mul_i32 s3, s25, s3
	s_add_nc_u64 s[26:27], s[10:11], s[26:27]
	s_mul_hi_u32 s9, s25, s7
	s_add_co_u32 s3, s26, s3
	s_add_co_ci_u32 s10, s27, s14
	s_mul_i32 s28, s25, s7
	s_add_co_ci_u32 s29, s9, 0
	s_delay_alu instid0(SALU_CYCLE_1) | instskip(NEXT) | instid1(SALU_CYCLE_1)
	s_add_nc_u64 s[26:27], s[10:11], s[28:29]
	s_and_b64 s[28:29], s[26:27], 0xffffffff00000000
	s_delay_alu instid0(SALU_CYCLE_1) | instskip(NEXT) | instid1(SALU_CYCLE_1)
	s_or_b32 s28, s28, s26
	s_mul_u64 s[26:27], s[12:13], s[28:29]
	s_add_nc_u64 s[30:31], s[28:29], 1
	s_sub_co_u32 s3, s24, s26
	s_cselect_b32 s7, -1, 0
	s_sub_co_i32 s9, s25, s27
	s_cmp_lg_u32 s7, 0
	s_add_nc_u64 s[34:35], s[28:29], 2
	s_sub_co_ci_u32 s9, s9, s13
	s_sub_co_u32 s10, s3, s12
	s_cselect_b32 s14, -1, 0
	s_delay_alu instid0(SALU_CYCLE_1) | instskip(SKIP_1) | instid1(SALU_CYCLE_1)
	s_cmp_lg_u32 s14, 0
	s_sub_co_ci_u32 s9, s9, 0
	s_cmp_ge_u32 s9, s13
	s_cselect_b32 s14, -1, 0
	s_cmp_ge_u32 s10, s12
	s_cselect_b32 s10, -1, 0
	s_cmp_eq_u32 s9, s13
	s_cselect_b32 s9, s10, s14
	s_delay_alu instid0(SALU_CYCLE_1) | instskip(SKIP_4) | instid1(SALU_CYCLE_1)
	s_cmp_lg_u32 s9, 0
	s_cselect_b32 s9, s34, s30
	s_cselect_b32 s10, s35, s31
	s_cmp_lg_u32 s7, 0
	s_sub_co_ci_u32 s7, s25, s27
	s_cmp_ge_u32 s7, s13
	s_cselect_b32 s14, -1, 0
	s_cmp_ge_u32 s3, s12
	s_cselect_b32 s3, -1, 0
	s_cmp_eq_u32 s7, s13
	s_cselect_b32 s3, s3, s14
	s_delay_alu instid0(SALU_CYCLE_1) | instskip(SKIP_3) | instid1(SALU_CYCLE_1)
	s_cmp_lg_u32 s3, 0
	s_cselect_b32 s13, s10, s29
	s_cselect_b32 s12, s9, s28
	s_xor_b64 s[22:23], s[22:23], 0
	s_xor_b64 s[12:13], s[12:13], s[22:23]
	s_delay_alu instid0(SALU_CYCLE_1)
	s_sub_nc_u64 s[24:25], s[12:13], s[22:23]
	s_load_b96 s[12:14], s[0:1], 0x44
	s_cbranch_execnz .LBB29_6
.LBB29_5:
	v_cvt_f32_u32_e32 v1, s16
	s_sub_co_i32 s7, 0, s16
	s_delay_alu instid0(VALU_DEP_1) | instskip(SKIP_1) | instid1(TRANS32_DEP_1)
	v_rcp_iflag_f32_e32 v1, v1
	v_nop
	v_mul_f32_e32 v1, 0x4f7ffffe, v1
	s_delay_alu instid0(VALU_DEP_1) | instskip(NEXT) | instid1(VALU_DEP_1)
	v_cvt_u32_f32_e32 v1, v1
	v_readfirstlane_b32 s3, v1
	s_mul_i32 s7, s7, s3
	s_delay_alu instid0(SALU_CYCLE_1) | instskip(NEXT) | instid1(SALU_CYCLE_1)
	s_mul_hi_u32 s7, s3, s7
	s_add_co_i32 s3, s3, s7
	s_delay_alu instid0(SALU_CYCLE_1) | instskip(NEXT) | instid1(SALU_CYCLE_1)
	s_mul_hi_u32 s3, s8, s3
	s_mul_i32 s7, s3, s16
	s_delay_alu instid0(SALU_CYCLE_1)
	s_sub_co_i32 s7, s8, s7
	s_add_co_i32 s8, s3, 1
	s_sub_co_i32 s9, s7, s16
	s_cmp_ge_u32 s7, s16
	s_cselect_b32 s3, s8, s3
	s_cselect_b32 s7, s9, s7
	s_add_co_i32 s8, s3, 1
	s_cmp_ge_u32 s7, s16
	s_cselect_b32 s24, s8, s3
.LBB29_6:
	s_delay_alu instid0(SALU_CYCLE_1)
	s_cmp_eq_u32 s20, s24
	s_mov_b64 s[8:9], 0xffffffff
	s_cselect_b32 s3, -1, 0
	s_and_b64 s[8:9], s[20:21], s[8:9]
	s_mov_b32 s23, 0
	s_wait_kmcnt 0x0
	s_mov_b32 s22, s12
	s_mov_b32 s25, s23
	s_mul_u64 s[10:11], s[8:9], s[22:23]
	s_delay_alu instid0(SALU_CYCLE_1) | instskip(SKIP_2) | instid1(SALU_CYCLE_1)
	s_add_co_i32 s7, s11, s20
	s_mul_u64 s[10:11], s[24:25], s[22:23]
	s_lshr_b32 s12, s7, s13
	s_mul_i32 s7, s12, s14
	s_delay_alu instid0(SALU_CYCLE_1) | instskip(SKIP_2) | instid1(SALU_CYCLE_1)
	s_cmp_eq_u32 s7, s20
	s_cselect_b32 s7, -1, 0
	s_add_co_i32 s10, s11, s24
	s_lshr_b32 s10, s10, s13
	s_delay_alu instid0(SALU_CYCLE_1)
	s_cmp_eq_u32 s12, s10
	s_mul_i32 s10, s10, s14
	s_cselect_b32 s11, -1, 0
	s_cmp_lg_u32 s10, s24
	s_cselect_b32 s10, -1, 0
	s_or_b32 s3, s3, s7
	s_and_b32 s10, s11, s10
	s_delay_alu instid0(SALU_CYCLE_1) | instskip(NEXT) | instid1(SALU_CYCLE_1)
	s_or_b32 s3, s3, s10
	s_and_b32 vcc_lo, exec_lo, s3
	s_cbranch_vccnz .LBB29_24
; %bb.7:
	s_load_b256 s[24:31], s[0:1], 0x20
	s_bfe_u32 s7, ttmp6, 0x40014
	s_bfe_u32 s33, ttmp6, 0x40010
	s_lshr_b32 s3, ttmp7, 16
	s_add_co_i32 s7, s7, 1
	s_and_b32 s21, ttmp7, 0xffff
	s_add_co_i32 s33, s33, 1
	s_bfe_u32 s10, ttmp6, 0x40008
	s_mul_i32 s7, s3, s7
	s_bfe_u32 s34, ttmp6, 0x40004
	s_mul_i32 s33, s21, s33
	s_mov_b32 s11, s23
	s_add_co_i32 s35, s10, s7
	s_add_co_i32 s34, s34, s33
	s_cmp_eq_u32 s15, 0
	s_cselect_b32 s7, s21, s34
	s_cselect_b32 s3, s3, s35
	s_wait_kmcnt 0x0
	s_mov_b32 s10, s24
	s_delay_alu instid0(SALU_CYCLE_1) | instskip(NEXT) | instid1(SALU_CYCLE_1)
	s_mul_u64 s[8:9], s[8:9], s[10:11]
	s_add_co_i32 s8, s9, s20
	s_load_b32 s9, s[0:1], 0x40
	s_lshr_b32 s8, s8, s25
	s_delay_alu instid0(SALU_CYCLE_1) | instskip(NEXT) | instid1(SALU_CYCLE_1)
	s_mul_i32 s10, s8, s26
	s_sub_co_i32 s10, s20, s10
	s_delay_alu instid0(SALU_CYCLE_1) | instskip(NEXT) | instid1(SALU_CYCLE_1)
	s_mul_hi_u32 s11, s10, s27
	s_add_co_i32 s11, s10, s11
	s_delay_alu instid0(SALU_CYCLE_1) | instskip(NEXT) | instid1(SALU_CYCLE_1)
	s_lshr_b32 s15, s11, s28
	s_mul_i32 s11, s15, s29
	s_delay_alu instid0(SALU_CYCLE_1) | instskip(NEXT) | instid1(SALU_CYCLE_1)
	s_sub_co_i32 s10, s10, s11
	s_mul_hi_u32 s11, s10, s30
	s_delay_alu instid0(SALU_CYCLE_1) | instskip(NEXT) | instid1(SALU_CYCLE_1)
	s_add_co_i32 s11, s10, s11
	s_lshr_b32 s26, s11, s31
	s_mov_b32 s11, s23
	s_wait_kmcnt 0x0
	s_mul_i32 s9, s26, s9
	s_delay_alu instid0(SALU_CYCLE_1) | instskip(NEXT) | instid1(SALU_CYCLE_1)
	s_sub_co_i32 s10, s10, s9
	s_mul_u64 s[24:25], s[10:11], s[22:23]
	s_lshl_b32 s24, s26, 2
	s_add_co_i32 s9, s10, s25
	s_delay_alu instid0(SALU_CYCLE_1) | instskip(NEXT) | instid1(SALU_CYCLE_1)
	s_lshr_b32 s21, s9, s13
	s_lshl_b32 s9, s21, 1
	s_delay_alu instid0(SALU_CYCLE_1) | instskip(NEXT) | instid1(SALU_CYCLE_1)
	s_add_co_i32 s9, s9, s7
	s_cmp_lt_i32 s9, s4
	s_cselect_b32 s9, -1, 0
	s_add_co_i32 s10, s24, s3
	s_delay_alu instid0(SALU_CYCLE_1) | instskip(SKIP_1) | instid1(SALU_CYCLE_1)
	s_cmp_lt_i32 s10, s6
	s_cselect_b32 s10, -1, 0
	s_and_b32 s9, s9, s10
	s_delay_alu instid0(SALU_CYCLE_1)
	s_and_not1_b32 vcc_lo, exec_lo, s9
	s_cbranch_vccnz .LBB29_24
; %bb.8:
	s_mul_i32 s4, s8, s4
	s_load_b128 s[8:11], s[0:1], 0x0
	s_wait_xcnt 0x0
	s_add_co_i32 s0, s4, s7
	s_mul_i32 s15, s15, s6
	s_mul_i32 s0, s0, s5
	s_mul_i32 s1, s5, s21
	s_add_co_i32 s0, s0, s3
	s_lshl_b32 s1, s1, 8
	s_add_co_i32 s0, s0, s15
	s_lshl_b32 s15, s7, 2
	s_add_co_i32 s0, s0, s24
	s_add_co_i32 s15, s15, s3
	s_lshl_b32 s0, s0, 7
	v_lshl_or_b32 v6, s15, 7, v0
	s_add_co_i32 s1, s1, s0
	v_cvt_f32_u32_e32 v4, s16
	v_or_b32_e32 v2, s1, v0
	s_add_nc_u64 s[0:1], s[16:17], 0
	s_lshl_b32 s24, s16, 5
	s_xor_b64 s[6:7], s[0:1], 0
	s_lshl_b32 s0, s2, 3
	s_cvt_f32_u32 s3, s6
	s_add_co_i32 s0, s15, s0
	s_cvt_f32_u32 s4, s7
	s_ashr_i32 s1, s0, 31
	v_rcp_iflag_f32_e32 v4, v4
	s_lshl_b64 s[0:1], s[0:1], 3
	s_fmamk_f32 s3, s4, 0x4f800000, s3
	s_wait_kmcnt 0x0
	s_add_nc_u64 s[0:1], s[10:11], s[0:1]
	s_mov_b32 s25, 0
	s_load_b64 s[28:29], s[0:1], 0x0
	v_s_rcp_f32 s3, s3
	s_wait_xcnt 0x0
	s_lshl_b64 s[0:1], s[24:25], 2
	s_add_co_i32 s36, s2, -1
	s_add_nc_u64 s[26:27], s[10:11], s[0:1]
	s_sub_nc_u64 s[34:35], 0, s[6:7]
	v_mul_f32_e32 v4, 0x4f7ffffe, v4
	s_delay_alu instid0(TRANS32_DEP_1) | instskip(NEXT) | instid1(VALU_DEP_1)
	s_mul_f32 s3, s3, 0x5f7ffffc
	v_cvt_u32_f32_e32 v7, v4
	s_delay_alu instid0(SALU_CYCLE_2) | instskip(NEXT) | instid1(SALU_CYCLE_3)
	s_mul_f32 s4, s3, 0x2f800000
	s_trunc_f32 s4, s4
	s_wait_kmcnt 0x0
	v_mov_b32_e32 v0, s29
	global_load_b32 v1, v2, s[8:9] scale_offset
	v_ashrrev_i32_e32 v3, 31, v2
	s_fmamk_f32 s0, s4, 0xcf800000, s3
	s_cvt_u32_f32 s31, s4
	s_wait_xcnt 0x0
	s_delay_alu instid0(VALU_DEP_1)
	v_lshl_add_u64 v[2:3], v[2:3], 2, s[8:9]
	s_cvt_u32_f32 s30, s0
	s_mov_b64 s[8:9], 0xffffffff
.LBB29_9:                               ; =>This Inner Loop Header: Depth=1
	s_ashr_i32 s37, s36, 31
                                        ; implicit-def: $sgpr40_sgpr41
	s_delay_alu instid0(SALU_CYCLE_1) | instskip(NEXT) | instid1(SALU_CYCLE_1)
	s_mul_u64 s[0:1], s[36:37], s[18:19]
	s_and_b64 s[2:3], s[0:1], 0xffffffff00000000
	s_delay_alu instid0(SALU_CYCLE_1)
	s_cmp_lg_u64 s[2:3], 0
	s_mov_b32 s2, -1
	s_cbranch_scc0 .LBB29_11
; %bb.10:                               ;   in Loop: Header=BB29_9 Depth=1
	s_mul_u64 s[2:3], s[34:35], s[30:31]
	s_delay_alu instid0(SALU_CYCLE_1)
	s_mul_hi_u32 s5, s30, s3
	s_mul_i32 s4, s30, s3
	s_mul_hi_u32 s24, s30, s2
	s_mul_hi_u32 s17, s31, s2
	s_add_nc_u64 s[4:5], s[24:25], s[4:5]
	s_mul_i32 s2, s31, s2
	s_mul_hi_u32 s21, s31, s3
	s_add_co_u32 s2, s4, s2
	s_add_co_ci_u32 s24, s5, s17
	s_add_co_ci_u32 s5, s21, 0
	s_mul_i32 s4, s31, s3
	s_delay_alu instid0(SALU_CYCLE_1) | instskip(NEXT) | instid1(SALU_CYCLE_1)
	s_add_nc_u64 s[2:3], s[24:25], s[4:5]
	s_add_co_u32 s2, s30, s2
	s_cselect_b32 s4, -1, 0
	s_delay_alu instid0(SALU_CYCLE_1) | instskip(SKIP_1) | instid1(SALU_CYCLE_1)
	s_cmp_lg_u32 s4, 0
	s_add_co_ci_u32 s3, s31, s3
	s_mul_u64 s[4:5], s[34:35], s[2:3]
	s_delay_alu instid0(SALU_CYCLE_1)
	s_mul_hi_u32 s39, s2, s5
	s_mul_i32 s38, s2, s5
	s_mul_hi_u32 s24, s2, s4
	s_mul_hi_u32 s17, s3, s4
	s_mul_i32 s4, s3, s4
	s_add_nc_u64 s[38:39], s[24:25], s[38:39]
	s_mul_hi_u32 s21, s3, s5
	s_add_co_u32 s4, s38, s4
	s_add_co_ci_u32 s24, s39, s17
	s_mul_i32 s4, s3, s5
	s_add_co_ci_u32 s5, s21, 0
	s_delay_alu instid0(SALU_CYCLE_1) | instskip(NEXT) | instid1(SALU_CYCLE_1)
	s_add_nc_u64 s[4:5], s[24:25], s[4:5]
	s_add_co_u32 s17, s2, s4
	s_cselect_b32 s2, -1, 0
	s_delay_alu instid0(SALU_CYCLE_1) | instskip(SKIP_2) | instid1(SALU_CYCLE_1)
	s_cmp_lg_u32 s2, 0
	s_add_co_ci_u32 s21, s3, s5
	s_ashr_i32 s2, s1, 31
	s_mov_b32 s3, s2
	s_delay_alu instid0(SALU_CYCLE_1) | instskip(NEXT) | instid1(SALU_CYCLE_1)
	s_add_nc_u64 s[4:5], s[0:1], s[2:3]
	s_xor_b64 s[4:5], s[4:5], s[2:3]
	s_delay_alu instid0(SALU_CYCLE_1)
	s_mul_hi_u32 s39, s4, s21
	s_mul_i32 s38, s4, s21
	s_mul_hi_u32 s24, s4, s17
	s_mul_hi_u32 s29, s5, s17
	s_mul_i32 s17, s5, s17
	s_add_nc_u64 s[38:39], s[24:25], s[38:39]
	s_mul_hi_u32 s1, s5, s21
	s_add_co_u32 s17, s38, s17
	s_add_co_ci_u32 s24, s39, s29
	s_mul_i32 s40, s5, s21
	s_add_co_ci_u32 s41, s1, 0
	s_delay_alu instid0(SALU_CYCLE_1) | instskip(NEXT) | instid1(SALU_CYCLE_1)
	s_add_nc_u64 s[38:39], s[24:25], s[40:41]
	s_and_b64 s[40:41], s[38:39], 0xffffffff00000000
	s_delay_alu instid0(SALU_CYCLE_1) | instskip(NEXT) | instid1(SALU_CYCLE_1)
	s_or_b32 s40, s40, s38
	s_mul_u64 s[38:39], s[6:7], s[40:41]
	s_add_nc_u64 s[42:43], s[40:41], 1
	s_sub_co_u32 s1, s4, s38
	s_cselect_b32 s4, -1, 0
	s_sub_co_i32 s17, s5, s39
	s_cmp_lg_u32 s4, 0
	s_add_nc_u64 s[44:45], s[40:41], 2
	s_sub_co_ci_u32 s17, s17, s7
	s_sub_co_u32 s21, s1, s6
	s_cselect_b32 s24, -1, 0
	s_delay_alu instid0(SALU_CYCLE_1) | instskip(SKIP_1) | instid1(SALU_CYCLE_1)
	s_cmp_lg_u32 s24, 0
	s_sub_co_ci_u32 s17, s17, 0
	s_cmp_ge_u32 s17, s7
	s_cselect_b32 s24, -1, 0
	s_cmp_ge_u32 s21, s6
	s_cselect_b32 s21, -1, 0
	s_cmp_eq_u32 s17, s7
	s_cselect_b32 s17, s21, s24
	s_delay_alu instid0(SALU_CYCLE_1) | instskip(SKIP_4) | instid1(SALU_CYCLE_1)
	s_cmp_lg_u32 s17, 0
	s_cselect_b32 s17, s44, s42
	s_cselect_b32 s21, s45, s43
	s_cmp_lg_u32 s4, 0
	s_sub_co_ci_u32 s4, s5, s39
	s_cmp_ge_u32 s4, s7
	s_cselect_b32 s5, -1, 0
	s_cmp_ge_u32 s1, s6
	s_cselect_b32 s1, -1, 0
	s_cmp_eq_u32 s4, s7
	s_cselect_b32 s1, s1, s5
	s_delay_alu instid0(SALU_CYCLE_1) | instskip(SKIP_3) | instid1(SALU_CYCLE_1)
	s_cmp_lg_u32 s1, 0
	s_cselect_b32 s5, s21, s41
	s_cselect_b32 s4, s17, s40
	s_xor_b64 s[2:3], s[2:3], 0
	s_xor_b64 s[4:5], s[4:5], s[2:3]
	s_delay_alu instid0(SALU_CYCLE_1)
	s_sub_nc_u64 s[40:41], s[4:5], s[2:3]
	s_mov_b32 s2, 0
.LBB29_11:                              ;   in Loop: Header=BB29_9 Depth=1
	s_delay_alu instid0(SALU_CYCLE_1)
	s_and_not1_b32 vcc_lo, exec_lo, s2
	s_cbranch_vccnz .LBB29_13
; %bb.12:                               ;   in Loop: Header=BB29_9 Depth=1
	v_readfirstlane_b32 s1, v7
	s_sub_co_i32 s2, 0, s16
	s_delay_alu instid0(SALU_CYCLE_1) | instskip(NEXT) | instid1(SALU_CYCLE_1)
	s_mul_i32 s2, s2, s1
	s_mul_hi_u32 s2, s1, s2
	s_delay_alu instid0(SALU_CYCLE_1) | instskip(NEXT) | instid1(SALU_CYCLE_1)
	s_add_co_i32 s1, s1, s2
	s_mul_hi_u32 s1, s0, s1
	s_delay_alu instid0(SALU_CYCLE_1) | instskip(NEXT) | instid1(SALU_CYCLE_1)
	s_mul_i32 s2, s1, s16
	s_sub_co_i32 s0, s0, s2
	s_add_co_i32 s2, s1, 1
	s_sub_co_i32 s3, s0, s16
	s_cmp_ge_u32 s0, s16
	s_cselect_b32 s1, s2, s1
	s_cselect_b32 s0, s3, s0
	s_add_co_i32 s2, s1, 1
	s_cmp_ge_u32 s0, s16
	s_cselect_b32 s24, s2, s1
	s_delay_alu instid0(SALU_CYCLE_1)
	s_mov_b64 s[40:41], s[24:25]
.LBB29_13:                              ;   in Loop: Header=BB29_9 Depth=1
	s_delay_alu instid0(SALU_CYCLE_1)
	s_cmp_lg_u32 s20, s40
	s_mov_b32 s0, -1
                                        ; implicit-def: $vgpr4_vgpr5
                                        ; implicit-def: $sgpr24
                                        ; implicit-def: $sgpr17
                                        ; implicit-def: $sgpr21
                                        ; implicit-def: $sgpr29
	s_cbranch_scc0 .LBB29_18
; %bb.14:                               ;   in Loop: Header=BB29_9 Depth=1
	s_add_co_i32 s0, s36, s16
	v_max_num_f32_e64 v4, s28, s28
	s_lshl_b32 s0, s0, 3
	s_mov_b32 s29, s20
	s_add_co_i32 s0, s0, s15
	s_load_b64 s[38:39], s[10:11], s0 offset:0x0 scale_offset
	s_wait_xcnt 0x0
	v_readfirstlane_b32 s0, v4
	s_wait_kmcnt 0x0
	v_max_num_f32_e64 v5, s38, s38
	s_delay_alu instid0(VALU_DEP_1) | instskip(SKIP_1) | instid1(SALU_CYCLE_3)
	v_readfirstlane_b32 s1, v5
	s_max_num_f32 s17, s0, s1
	s_sub_f32 s33, s28, s17
	s_sub_f32 s37, s38, s17
	s_delay_alu instid0(SALU_CYCLE_2)
	s_cmp_nlt_f32 s33, 0xc2ce8ed0
	s_cselect_b32 s1, -1, 0
	s_cmp_ngt_f32 s33, 0x42b17218
	s_cselect_b32 s2, -1, 0
	s_cmp_ge_f32 s33, 0xc1a00000
	s_cselect_b32 s0, -1, 0
	s_cmp_nlt_f32 s37, 0xc2ce8ed0
	s_cselect_b32 s3, -1, 0
	s_cmp_ngt_f32 s37, 0x42b17218
	s_cselect_b32 s4, -1, 0
	s_cmp_ge_f32 s37, 0xc1a00000
	s_cselect_b32 s5, -1, 0
	s_and_b64 s[42:43], s[40:41], s[8:9]
	s_delay_alu instid0(SALU_CYCLE_1) | instskip(NEXT) | instid1(SALU_CYCLE_1)
	s_mul_u64 s[42:43], s[42:43], s[22:23]
	s_add_co_i32 s21, s43, s40
	s_delay_alu instid0(SALU_CYCLE_1) | instskip(NEXT) | instid1(SALU_CYCLE_1)
	s_lshr_b32 s21, s21, s13
	s_mul_i32 s24, s21, s14
	s_delay_alu instid0(SALU_CYCLE_1) | instskip(SKIP_3) | instid1(SALU_CYCLE_1)
	s_cmp_eq_u32 s24, s40
	s_cselect_b32 s24, -1, 0
	s_cmp_lt_u32 s21, s12
	s_cselect_b32 s21, -1, 0
	s_or_b32 s21, s21, s24
	s_mov_b32 s24, -1
	s_and_b32 vcc_lo, exec_lo, s21
	s_mov_b32 s21, s36
	s_cbranch_vccnz .LBB29_16
; %bb.15:                               ;   in Loop: Header=BB29_9 Depth=1
	s_add_co_i32 s21, s36, -1
	s_mov_b32 s24, 0
	s_mov_b32 s29, s40
.LBB29_16:                              ;   in Loop: Header=BB29_9 Depth=1
	v_lshl_add_u32 v4, s36, 10, v6
	s_mul_f32 s40, s33, 0x3fb8aa3b
	s_mul_f32 s38, s37, 0x3fb8aa3b
	s_delay_alu instid0(SALU_CYCLE_2)
	s_xor_b32 s42, s40, 0x80000000
	global_load_b32 v5, v4, s[26:27] scale_offset
	s_fmamk_f32 s42, s33, 0x3fb8aa3b, s42
	s_rndne_f32 s44, s40
	s_xor_b32 s41, s38, 0x80000000
	s_rndne_f32 s43, s38
	s_fmamk_f32 s33, s33, 0x32a5705f, s42
	s_sub_f32 s40, s40, s44
	s_fmamk_f32 s41, s37, 0x3fb8aa3b, s41
	s_sub_f32 s38, s38, s43
	s_delay_alu instid0(SALU_CYCLE_1) | instskip(NEXT) | instid1(SALU_CYCLE_1)
	s_add_f32 s33, s40, s33
	s_fmamk_f32 s37, s37, 0x32a5705f, s41
	s_cvt_i32_f32 s40, s44
	s_delay_alu instid0(SALU_CYCLE_1) | instskip(NEXT) | instid1(SALU_CYCLE_1)
	v_s_exp_f32 s33, s33
	s_add_f32 s37, s38, s37
	s_cvt_i32_f32 s38, s43
	s_delay_alu instid0(SALU_CYCLE_2) | instskip(NEXT) | instid1(TRANS32_DEP_2)
	v_s_exp_f32 s37, s37
	v_ldexp_f32 v8, s33, s40
	s_wait_xcnt 0x0
	s_delay_alu instid0(TRANS32_DEP_1) | instskip(NEXT) | instid1(VALU_DEP_2)
	v_ldexp_f32 v4, s37, s38
	v_cndmask_b32_e64 v8, 0, v8, s1
	s_delay_alu instid0(VALU_DEP_1) | instskip(NEXT) | instid1(VALU_DEP_1)
	v_cndmask_b32_e64 v9, 0x7f800000, v8, s2
	v_dual_cndmask_b32 v4, 0, v4, s3 :: v_dual_cndmask_b32 v10, 0, v9, s0
	s_delay_alu instid0(VALU_DEP_1) | instskip(NEXT) | instid1(VALU_DEP_1)
	v_cndmask_b32_e64 v4, 0x7f800000, v4, s4
	v_dual_cndmask_b32 v8, 0, v4, s5 :: v_dual_mov_b32 v4, s39
	s_wait_loadcnt 0x0
	s_delay_alu instid0(VALU_DEP_1) | instskip(NEXT) | instid1(VALU_DEP_1)
	v_pk_mul_f32 v[4:5], v[4:5], v[8:9] op_sel_hi:[1,0]
	v_pk_fma_f32 v[4:5], v[0:1], v[10:11], v[4:5] op_sel_hi:[1,0,1]
	s_cbranch_execz .LBB29_19
.LBB29_17:                              ;   in Loop: Header=BB29_9 Depth=1
	s_and_not1_b32 vcc_lo, exec_lo, s24
	s_cbranch_vccnz .LBB29_20
	s_branch .LBB29_23
.LBB29_18:                              ;   in Loop: Header=BB29_9 Depth=1
	s_and_not1_b32 vcc_lo, exec_lo, s0
	s_cbranch_vccnz .LBB29_17
.LBB29_19:                              ;   in Loop: Header=BB29_9 Depth=1
	s_wait_loadcnt 0x0
	v_mov_b64_e32 v[4:5], v[0:1]
	s_add_co_i32 s21, s36, -1
	s_mov_b32 s29, s20
	s_mov_b32 s17, s28
	s_cbranch_execz .LBB29_23
.LBB29_20:                              ;   in Loop: Header=BB29_9 Depth=1
	s_wait_loadcnt 0x0
	s_delay_alu instid0(VALU_DEP_1)
	v_mov_b64_e32 v[0:1], v[4:5]
	s_mov_b32 s20, s29
	s_mov_b32 s36, s21
	;; [unrolled: 1-line block ×3, first 2 shown]
	s_branch .LBB29_9
.LBB29_21:
                                        ; implicit-def: $sgpr20_sgpr21
	s_branch .LBB29_2
.LBB29_22:
                                        ; implicit-def: $sgpr24_sgpr25
	s_load_b96 s[12:14], s[0:1], 0x44
	s_branch .LBB29_5
.LBB29_23:
	s_delay_alu instid0(VALU_DEP_1) | instskip(SKIP_1) | instid1(VALU_DEP_1)
	v_div_scale_f32 v0, null, v4, v4, v5
	s_wait_loadcnt 0x0
	v_rcp_f32_e32 v1, v0
	v_nop
	s_delay_alu instid0(TRANS32_DEP_1) | instskip(NEXT) | instid1(VALU_DEP_1)
	v_fma_f32 v6, -v0, v1, 1.0
	v_fmac_f32_e32 v1, v6, v1
	v_div_scale_f32 v6, vcc_lo, v5, v4, v5
	s_delay_alu instid0(VALU_DEP_1) | instskip(NEXT) | instid1(VALU_DEP_1)
	v_mul_f32_e32 v7, v6, v1
	v_fma_f32 v8, -v0, v7, v6
	s_delay_alu instid0(VALU_DEP_1) | instskip(NEXT) | instid1(VALU_DEP_1)
	v_fmac_f32_e32 v7, v8, v1
	v_fma_f32 v0, -v0, v7, v6
	s_delay_alu instid0(VALU_DEP_1) | instskip(NEXT) | instid1(VALU_DEP_1)
	v_div_fmas_f32 v0, v0, v1, v7
	v_div_fixup_f32 v0, v0, v4, v5
	global_store_b32 v[2:3], v0, off
.LBB29_24:
	s_endpgm
	.section	.rodata,"a",@progbits
	.p2align	6, 0x0
	.amdhsa_kernel _ZL33flash_attn_stream_k_fixup_generalILi128ELi2ELi4EEvPfPK15HIP_vector_typeIfLj2EEiiiiS1_IjLj3EES5_S5_S5_
		.amdhsa_group_segment_fixed_size 0
		.amdhsa_private_segment_fixed_size 0
		.amdhsa_kernarg_size 336
		.amdhsa_user_sgpr_count 2
		.amdhsa_user_sgpr_dispatch_ptr 0
		.amdhsa_user_sgpr_queue_ptr 0
		.amdhsa_user_sgpr_kernarg_segment_ptr 1
		.amdhsa_user_sgpr_dispatch_id 0
		.amdhsa_user_sgpr_kernarg_preload_length 0
		.amdhsa_user_sgpr_kernarg_preload_offset 0
		.amdhsa_user_sgpr_private_segment_size 0
		.amdhsa_wavefront_size32 1
		.amdhsa_uses_dynamic_stack 0
		.amdhsa_enable_private_segment 0
		.amdhsa_system_sgpr_workgroup_id_x 1
		.amdhsa_system_sgpr_workgroup_id_y 1
		.amdhsa_system_sgpr_workgroup_id_z 1
		.amdhsa_system_sgpr_workgroup_info 0
		.amdhsa_system_vgpr_workitem_id 0
		.amdhsa_next_free_vgpr 12
		.amdhsa_next_free_sgpr 46
		.amdhsa_named_barrier_count 0
		.amdhsa_reserve_vcc 1
		.amdhsa_float_round_mode_32 0
		.amdhsa_float_round_mode_16_64 0
		.amdhsa_float_denorm_mode_32 3
		.amdhsa_float_denorm_mode_16_64 3
		.amdhsa_fp16_overflow 0
		.amdhsa_memory_ordered 1
		.amdhsa_forward_progress 1
		.amdhsa_inst_pref_size 27
		.amdhsa_round_robin_scheduling 0
		.amdhsa_exception_fp_ieee_invalid_op 0
		.amdhsa_exception_fp_denorm_src 0
		.amdhsa_exception_fp_ieee_div_zero 0
		.amdhsa_exception_fp_ieee_overflow 0
		.amdhsa_exception_fp_ieee_underflow 0
		.amdhsa_exception_fp_ieee_inexact 0
		.amdhsa_exception_int_div_zero 0
	.end_amdhsa_kernel
	.section	.text._ZL33flash_attn_stream_k_fixup_generalILi128ELi2ELi4EEvPfPK15HIP_vector_typeIfLj2EEiiiiS1_IjLj3EES5_S5_S5_,"axG",@progbits,_ZL33flash_attn_stream_k_fixup_generalILi128ELi2ELi4EEvPfPK15HIP_vector_typeIfLj2EEiiiiS1_IjLj3EES5_S5_S5_,comdat
.Lfunc_end29:
	.size	_ZL33flash_attn_stream_k_fixup_generalILi128ELi2ELi4EEvPfPK15HIP_vector_typeIfLj2EEiiiiS1_IjLj3EES5_S5_S5_, .Lfunc_end29-_ZL33flash_attn_stream_k_fixup_generalILi128ELi2ELi4EEvPfPK15HIP_vector_typeIfLj2EEiiiiS1_IjLj3EES5_S5_S5_
                                        ; -- End function
	.set _ZL33flash_attn_stream_k_fixup_generalILi128ELi2ELi4EEvPfPK15HIP_vector_typeIfLj2EEiiiiS1_IjLj3EES5_S5_S5_.num_vgpr, 12
	.set _ZL33flash_attn_stream_k_fixup_generalILi128ELi2ELi4EEvPfPK15HIP_vector_typeIfLj2EEiiiiS1_IjLj3EES5_S5_S5_.num_agpr, 0
	.set _ZL33flash_attn_stream_k_fixup_generalILi128ELi2ELi4EEvPfPK15HIP_vector_typeIfLj2EEiiiiS1_IjLj3EES5_S5_S5_.numbered_sgpr, 46
	.set _ZL33flash_attn_stream_k_fixup_generalILi128ELi2ELi4EEvPfPK15HIP_vector_typeIfLj2EEiiiiS1_IjLj3EES5_S5_S5_.num_named_barrier, 0
	.set _ZL33flash_attn_stream_k_fixup_generalILi128ELi2ELi4EEvPfPK15HIP_vector_typeIfLj2EEiiiiS1_IjLj3EES5_S5_S5_.private_seg_size, 0
	.set _ZL33flash_attn_stream_k_fixup_generalILi128ELi2ELi4EEvPfPK15HIP_vector_typeIfLj2EEiiiiS1_IjLj3EES5_S5_S5_.uses_vcc, 1
	.set _ZL33flash_attn_stream_k_fixup_generalILi128ELi2ELi4EEvPfPK15HIP_vector_typeIfLj2EEiiiiS1_IjLj3EES5_S5_S5_.uses_flat_scratch, 0
	.set _ZL33flash_attn_stream_k_fixup_generalILi128ELi2ELi4EEvPfPK15HIP_vector_typeIfLj2EEiiiiS1_IjLj3EES5_S5_S5_.has_dyn_sized_stack, 0
	.set _ZL33flash_attn_stream_k_fixup_generalILi128ELi2ELi4EEvPfPK15HIP_vector_typeIfLj2EEiiiiS1_IjLj3EES5_S5_S5_.has_recursion, 0
	.set _ZL33flash_attn_stream_k_fixup_generalILi128ELi2ELi4EEvPfPK15HIP_vector_typeIfLj2EEiiiiS1_IjLj3EES5_S5_S5_.has_indirect_call, 0
	.section	.AMDGPU.csdata,"",@progbits
; Kernel info:
; codeLenInByte = 3360
; TotalNumSgprs: 48
; NumVgprs: 12
; ScratchSize: 0
; MemoryBound: 0
; FloatMode: 240
; IeeeMode: 1
; LDSByteSize: 0 bytes/workgroup (compile time only)
; SGPRBlocks: 0
; VGPRBlocks: 0
; NumSGPRsForWavesPerEU: 48
; NumVGPRsForWavesPerEU: 12
; NamedBarCnt: 0
; Occupancy: 16
; WaveLimiterHint : 0
; COMPUTE_PGM_RSRC2:SCRATCH_EN: 0
; COMPUTE_PGM_RSRC2:USER_SGPR: 2
; COMPUTE_PGM_RSRC2:TRAP_HANDLER: 0
; COMPUTE_PGM_RSRC2:TGID_X_EN: 1
; COMPUTE_PGM_RSRC2:TGID_Y_EN: 1
; COMPUTE_PGM_RSRC2:TGID_Z_EN: 1
; COMPUTE_PGM_RSRC2:TIDIG_COMP_CNT: 0
	.section	.text._ZL15flash_attn_tileILi128ELi128ELi1ELi4ELb0EEvPKcS1_S1_S1_S1_PKiPfP15HIP_vector_typeIfLj2EEffffjfiS5_IjLj3EEiiiiiiiiiiiliiliiiiil,"axG",@progbits,_ZL15flash_attn_tileILi128ELi128ELi1ELi4ELb0EEvPKcS1_S1_S1_S1_PKiPfP15HIP_vector_typeIfLj2EEffffjfiS5_IjLj3EEiiiiiiiiiiiliiliiiiil,comdat
	.globl	_ZL15flash_attn_tileILi128ELi128ELi1ELi4ELb0EEvPKcS1_S1_S1_S1_PKiPfP15HIP_vector_typeIfLj2EEffffjfiS5_IjLj3EEiiiiiiiiiiiliiliiiiil ; -- Begin function _ZL15flash_attn_tileILi128ELi128ELi1ELi4ELb0EEvPKcS1_S1_S1_S1_PKiPfP15HIP_vector_typeIfLj2EEffffjfiS5_IjLj3EEiiiiiiiiiiiliiliiiiil
	.p2align	8
	.type	_ZL15flash_attn_tileILi128ELi128ELi1ELi4ELb0EEvPKcS1_S1_S1_S1_PKiPfP15HIP_vector_typeIfLj2EEffffjfiS5_IjLj3EEiiiiiiiiiiiliiliiiiil,@function
_ZL15flash_attn_tileILi128ELi128ELi1ELi4ELb0EEvPKcS1_S1_S1_S1_PKiPfP15HIP_vector_typeIfLj2EEffffjfiS5_IjLj3EEiiiiiiiiiiiliiliiiiil: ; @_ZL15flash_attn_tileILi128ELi128ELi1ELi4ELb0EEvPKcS1_S1_S1_S1_PKiPfP15HIP_vector_typeIfLj2EEffffjfiS5_IjLj3EEiiiiiiiiiiiliiliiiiil
; %bb.0:
	s_clause 0x1
	s_load_b128 s[20:23], s[0:1], 0x5c
	s_load_b64 s[30:31], s[0:1], 0x80
	s_bfe_u32 s5, ttmp6, 0x40014
	s_lshr_b32 s4, ttmp7, 16
	s_add_co_i32 s5, s5, 1
	s_bfe_u32 s6, ttmp6, 0x40008
	s_mul_i32 s5, s4, s5
	s_getreg_b32 s24, hwreg(HW_REG_IB_STS2, 6, 4)
	s_add_co_i32 s6, s6, s5
	s_load_b64 s[36:37], s[0:1], 0xb8
	s_mov_b64 s[34:35], 0
	s_wait_kmcnt 0x0
	s_ashr_i32 s2, s23, 31
	s_delay_alu instid0(SALU_CYCLE_1) | instskip(NEXT) | instid1(SALU_CYCLE_1)
	s_lshr_b32 s2, s2, 30
	s_add_co_i32 s2, s23, s2
	s_delay_alu instid0(SALU_CYCLE_1) | instskip(NEXT) | instid1(SALU_CYCLE_1)
	s_ashr_i32 s2, s2, 2
	s_cvt_f32_u32 s3, s2
	s_sub_co_i32 s7, 0, s2
	s_delay_alu instid0(SALU_CYCLE_2) | instskip(SKIP_1) | instid1(TRANS32_DEP_1)
	v_rcp_iflag_f32_e32 v1, s3
	v_nop
	v_readfirstlane_b32 s3, v1
	s_mul_f32 s3, s3, 0x4f7ffffe
	s_delay_alu instid0(SALU_CYCLE_3) | instskip(NEXT) | instid1(SALU_CYCLE_3)
	s_cvt_u32_f32 s3, s3
	s_mul_i32 s7, s7, s3
	s_delay_alu instid0(SALU_CYCLE_1) | instskip(NEXT) | instid1(SALU_CYCLE_1)
	s_mul_hi_u32 s7, s3, s7
	s_add_co_i32 s3, s3, s7
	s_cmp_eq_u32 s24, 0
	s_cselect_b32 s4, s4, s6
	s_delay_alu instid0(SALU_CYCLE_1) | instskip(NEXT) | instid1(SALU_CYCLE_1)
	s_mul_hi_u32 s3, s4, s3
	s_mul_i32 s5, s3, s2
	s_add_co_i32 s6, s3, 1
	s_sub_co_i32 s5, s4, s5
	s_delay_alu instid0(SALU_CYCLE_1)
	s_sub_co_i32 s7, s5, s2
	s_cmp_ge_u32 s5, s2
	s_cselect_b32 s3, s6, s3
	s_cselect_b32 s5, s7, s5
	s_add_co_i32 s6, s3, 1
	s_cmp_ge_u32 s5, s2
	s_cselect_b32 s28, s6, s3
	s_abs_i32 s2, s31
	s_abs_i32 s7, s23
	s_cvt_f32_u32 s3, s2
	s_sub_co_i32 s5, 0, s2
	s_lshl_b32 s4, s4, 2
	s_mul_i32 s6, s28, s23
	v_rcp_iflag_f32_e32 v1, s3
	s_sub_co_i32 s33, s4, s6
	s_xor_b32 s4, s23, s31
	s_delay_alu instid0(SALU_CYCLE_1) | instskip(SKIP_1) | instid1(TRANS32_DEP_1)
	s_ashr_i32 s25, s4, 31
	v_nop
	v_readfirstlane_b32 s3, v1
	s_mul_f32 s3, s3, 0x4f7ffffe
	s_delay_alu instid0(SALU_CYCLE_3) | instskip(NEXT) | instid1(SALU_CYCLE_3)
	s_cvt_u32_f32 s3, s3
	s_mul_i32 s5, s5, s3
	s_delay_alu instid0(SALU_CYCLE_1) | instskip(NEXT) | instid1(SALU_CYCLE_1)
	s_mul_hi_u32 s5, s3, s5
	s_add_co_i32 s3, s3, s5
	s_delay_alu instid0(SALU_CYCLE_1) | instskip(NEXT) | instid1(SALU_CYCLE_1)
	s_mul_hi_u32 s3, s7, s3
	s_mul_i32 s5, s3, s2
	s_delay_alu instid0(SALU_CYCLE_1)
	s_sub_co_i32 s4, s7, s5
	s_add_co_i32 s5, s3, 1
	s_sub_co_i32 s6, s4, s2
	s_cmp_ge_u32 s4, s2
	s_cselect_b32 s3, s5, s3
	s_cselect_b32 s4, s6, s4
	s_add_co_i32 s5, s3, 1
	s_cmp_ge_u32 s4, s2
	s_cselect_b32 s2, s5, s3
	s_load_b512 s[4:19], s[0:1], 0x0
	s_xor_b32 s2, s2, s25
	s_mov_b32 s3, 0
	s_sub_co_i32 s29, s2, s25
	s_delay_alu instid0(SALU_CYCLE_1) | instskip(NEXT) | instid1(SALU_CYCLE_1)
	s_abs_i32 s38, s29
	s_cvt_f32_u32 s2, s38
	s_delay_alu instid0(SALU_CYCLE_3) | instskip(SKIP_1) | instid1(TRANS32_DEP_1)
	v_rcp_iflag_f32_e32 v1, s2
	v_nop
	v_readfirstlane_b32 s2, v1
	s_wait_kmcnt 0x0
	s_cmp_eq_u64 s[10:11], 0
	s_cbranch_scc1 .LBB30_2
; %bb.1:
	s_abs_i32 s25, s36
	s_abs_i32 s31, s28
	s_cvt_f32_u32 s26, s25
	s_sub_co_i32 s27, 0, s25
	s_delay_alu instid0(SALU_CYCLE_2) | instskip(SKIP_1) | instid1(TRANS32_DEP_1)
	v_rcp_iflag_f32_e32 v1, s26
	v_nop
	v_readfirstlane_b32 s26, v1
	s_mul_f32 s26, s26, 0x4f7ffffe
	s_delay_alu instid0(SALU_CYCLE_3) | instskip(NEXT) | instid1(SALU_CYCLE_3)
	s_cvt_u32_f32 s26, s26
	s_mul_i32 s27, s27, s26
	s_delay_alu instid0(SALU_CYCLE_1) | instskip(NEXT) | instid1(SALU_CYCLE_1)
	s_mul_hi_u32 s27, s26, s27
	s_add_co_i32 s26, s26, s27
	s_delay_alu instid0(SALU_CYCLE_1) | instskip(SKIP_2) | instid1(SALU_CYCLE_1)
	s_mul_hi_u32 s34, s31, s26
	s_load_b64 s[26:27], s[0:1], 0xc8
	s_mul_i32 s34, s34, s25
	s_sub_co_i32 s31, s31, s34
	s_ashr_i32 s34, s28, 31
	s_sub_co_i32 s35, s31, s25
	s_cmp_ge_u32 s31, s25
	s_cselect_b32 s31, s35, s31
	s_delay_alu instid0(SALU_CYCLE_1) | instskip(SKIP_2) | instid1(SALU_CYCLE_1)
	s_sub_co_i32 s35, s31, s25
	s_cmp_ge_u32 s31, s25
	s_cselect_b32 s25, s35, s31
	s_xor_b32 s25, s25, s34
	s_delay_alu instid0(SALU_CYCLE_1) | instskip(NEXT) | instid1(SALU_CYCLE_1)
	s_sub_co_i32 s34, s25, s34
	s_ashr_i32 s35, s34, 31
	s_wait_kmcnt 0x0
	s_mul_u64 s[26:27], s[26:27], s[34:35]
	s_delay_alu instid0(SALU_CYCLE_1)
	s_add_nc_u64 s[34:35], s[10:11], s[26:27]
.LBB30_2:
	s_bfe_u32 s10, ttmp6, 0x4000c
	v_dual_lshrrev_b32 v1, 10, v0 :: v_dual_mov_b32 v25, 0
	s_add_co_i32 s10, s10, 1
	s_and_b32 s11, ttmp6, 15
	s_mul_i32 s10, ttmp9, s10
	s_delay_alu instid0(VALU_DEP_1)
	v_bfe_u32 v1, v1, 2, 8
	s_add_co_i32 s11, s11, s10
	s_cmp_eq_u32 s24, 0
	s_load_b96 s[40:42], s[0:1], 0x70
	s_cselect_b32 s10, ttmp9, s11
	v_and_b32_e32 v48, 0x3ff, v0
	v_add_nc_u32_e32 v49, s10, v1
	v_bfe_u32 v24, v0, 10, 2
	v_dual_mov_b32 v3, v25 :: v_dual_mov_b32 v9, v25
	v_bfe_u32 v0, v0, 10, 10
	s_delay_alu instid0(VALU_DEP_4) | instskip(SKIP_1) | instid1(VALU_DEP_3)
	v_mul_hi_u32 v1, s20, v49
	v_lshlrev_b32_e32 v8, 4, v48
	v_lshl_add_u32 v50, v0, 8, 0x2400
	s_delay_alu instid0(VALU_DEP_3) | instskip(SKIP_3) | instid1(SALU_CYCLE_1)
	v_add_nc_u32_e32 v1, v49, v1
	s_wait_kmcnt 0x0
	s_mov_b32 s20, s41
	s_mul_i32 s26, s33, s41
	s_ashr_i32 s27, s26, 31
	v_lshrrev_b32_e32 v1, s21, v1
	s_ashr_i32 s21, s41, 31
	s_ashr_i32 s41, s40, 31
	s_lshr_b64 s[20:21], s[20:21], 2
	s_delay_alu instid0(VALU_DEP_1) | instskip(SKIP_2) | instid1(VALU_DEP_2)
	v_mul_lo_u32 v1, v1, s22
	v_mul_u64_e32 v[4:5], s[20:21], v[24:25]
	s_lshr_b64 s[20:21], s[40:41], 2
	v_sub_nc_u32_e32 v2, v49, v1
	s_delay_alu instid0(VALU_DEP_1) | instskip(SKIP_1) | instid1(SALU_CYCLE_1)
	v_mul_u64_e32 v[6:7], s[20:21], v[2:3]
	s_mul_i32 s20, s28, s42
	s_ashr_i32 s21, s20, 31
	s_cmp_eq_u64 s[14:15], 0
	s_add_nc_u64 s[4:5], s[4:5], s[20:21]
	s_delay_alu instid0(SALU_CYCLE_1)
	s_add_nc_u64 s[4:5], s[4:5], s[26:27]
	s_delay_alu instid0(VALU_DEP_3) | instid1(SALU_CYCLE_1)
	v_lshl_add_u64 v[4:5], v[4:5], 2, s[4:5]
	s_load_b32 s4, s[0:1], 0x40
	s_delay_alu instid0(VALU_DEP_1) | instskip(NEXT) | instid1(VALU_DEP_1)
	v_lshl_add_u64 v[4:5], v[6:7], 2, v[4:5]
	v_add_nc_u64_e32 v[4:5], v[4:5], v[8:9]
	global_load_b128 v[4:7], v[4:5], off
	s_wait_loadcnt 0x0
	s_wait_kmcnt 0x0
	v_fma_mixlo_f16 v1, s4, v4, 0
	v_mov_b32_e32 v4, v7
	s_delay_alu instid0(VALU_DEP_2) | instskip(NEXT) | instid1(VALU_DEP_2)
	v_and_b32_e32 v1, 0xffff, v1
	v_pk_mul_f32 v[4:5], s[4:5], v[4:5] op_sel_hi:[0,1]
	s_delay_alu instid0(VALU_DEP_1) | instskip(SKIP_2) | instid1(VALU_DEP_3)
	v_cvt_pk_f16_f32 v3, v4, v5
	v_fma_mixlo_f16 v4, s4, v6, 0
	v_lshlrev_b32_e32 v47, 3, v48
	v_and_b32_e32 v5, 0xffff0000, v3
	s_delay_alu instid0(VALU_DEP_3) | instskip(SKIP_1) | instid1(VALU_DEP_3)
	v_and_b32_e32 v4, 0xffff, v4
	v_lshlrev_b32_e32 v3, 16, v3
	v_dual_add_nc_u32 v6, v50, v47 :: v_dual_bitop2_b32 v1, v5, v1 bitop3:0x54
	s_delay_alu instid0(VALU_DEP_2) | instskip(NEXT) | instid1(VALU_DEP_2)
	v_or3_b32 v5, v3, v4, 0
	v_or3_b32 v4, 0, 0, v1
	ds_store_b64 v6, v[4:5]
	s_wait_dscnt 0x0
	s_barrier_signal -1
	s_barrier_wait -1
	s_cbranch_scc1 .LBB30_4
; %bb.3:
	s_load_b32 s4, s[0:1], 0xd0
	s_wait_kmcnt 0x0
	s_mul_i32 s4, s4, s28
	s_delay_alu instid0(SALU_CYCLE_1)
	s_add_co_i32 s4, s4, s10
	s_load_b32 s30, s[14:15], s4 offset:0x0 scale_offset
.LBB30_4:
	s_wait_xcnt 0x0
	s_bfe_u32 s4, ttmp6, 0x40010
	s_and_b32 s5, ttmp7, 0xffff
	s_add_co_i32 s4, s4, 1
	s_bfe_u32 s10, ttmp6, 0x40004
	s_mul_i32 s4, s5, s4
	v_mbcnt_lo_u32_b32 v51, -1, 0
	s_add_co_i32 s10, s10, s4
	s_cmp_eq_u32 s24, 0
	s_cselect_b32 s31, s5, s10
	s_mov_b32 s5, 0
	s_lshl_b32 s4, s31, 6
	s_wait_kmcnt 0x0
	s_cmp_lt_i32 s4, s30
	s_cbranch_scc1 .LBB30_7
; %bb.5:
	v_mbcnt_lo_u32_b32 v3, -1, 0
	s_delay_alu instid0(VALU_DEP_1)
	v_dual_mov_b32 v1, 32 :: v_dual_bitop2_b32 v56, 16, v3 bitop3:0x14
	v_xor_b32_e32 v55, 8, v3
	v_xor_b32_e32 v54, 4, v3
	;; [unrolled: 1-line block ×3, first 2 shown]
	v_dual_lshlrev_b32 v25, 2, v48 :: v_dual_bitop2_b32 v52, 1, v3 bitop3:0x14
	s_and_not1_b32 vcc_lo, exec_lo, s5
	s_cbranch_vccz .LBB30_8
; %bb.6:
	v_dual_mov_b32 v10, 0 :: v_dual_mov_b32 v72, 0
	v_dual_mov_b32 v46, 0xfeffffff :: v_dual_mov_b32 v11, 0
	s_branch .LBB30_11
.LBB30_7:
                                        ; implicit-def: $vgpr3
                                        ; implicit-def: $vgpr1
                                        ; implicit-def: $vgpr56
                                        ; implicit-def: $vgpr55
                                        ; implicit-def: $vgpr54
                                        ; implicit-def: $vgpr53
                                        ; implicit-def: $vgpr52
	v_lshlrev_b32_e32 v25, 2, v48
.LBB30_8:
	s_clause 0x1
	s_load_b64 s[14:15], s[0:1], 0x8c
	s_load_b128 s[24:27], s[0:1], 0x98
	s_mul_f32 s2, s2, 0x4f7ffffe
	s_sub_co_i32 s5, 0, s38
	s_mov_b32 s11, s3
	s_ashr_i32 s36, s33, 31
	s_cvt_u32_f32 s10, s2
	s_abs_i32 s2, s33
	s_ashr_i32 s39, s29, 31
	s_load_b64 s[20:21], s[0:1], 0xa8
	s_mul_i32 s5, s5, s10
	s_ashr_i32 s29, s28, 31
	s_mul_hi_u32 s5, s10, s5
	s_xor_b32 s36, s36, s39
	s_add_co_i32 s10, s10, s5
	s_ashr_i32 s5, s37, 1
	s_mul_u64 s[10:11], s[2:3], s[10:11]
	v_dual_lshrrev_b32 v1, 3, v48 :: v_dual_bitop2_b32 v4, 28, v25 bitop3:0x40
	s_mul_i32 s3, s11, s38
	s_wait_kmcnt 0x0
	s_ashr_i32 s14, s14, 2
	s_sub_co_i32 s2, s2, s3
	s_ashr_i32 s10, s26, 2
	s_add_co_i32 s3, s11, 1
	s_sub_co_i32 s26, s2, s38
	s_cmp_ge_u32 s2, s38
	v_lshl_add_u32 v1, v0, 2, v1
	s_cselect_b32 s3, s3, s11
	s_cselect_b32 s2, s26, s2
	s_add_co_i32 s11, s3, 1
	s_cmp_ge_u32 s2, s38
	v_mul_lo_u32 v26, s14, v1
	s_cselect_b32 s2, s11, s3
	v_dual_lshlrev_b32 v5, 2, v4 :: v_dual_mov_b32 v31, 0
	s_xor_b32 s2, s2, s36
	v_lshl_add_u32 v61, v0, 7, 0x2800
	s_sub_co_i32 s11, s2, s36
	s_mul_u64 s[2:3], s[24:25], s[28:29]
	s_mul_i32 s24, s11, s15
	s_add_nc_u64 s[2:3], s[6:7], s[2:3]
	s_ashr_i32 s25, s24, 31
	v_mad_u32_u24 v57, 0x90, v1, v5
	s_add_nc_u64 s[6:7], s[2:3], s[24:25]
	s_mul_u64 s[2:3], s[20:21], s[28:29]
	v_mad_u32 v64, v2, s5, v48
	s_add_nc_u64 s[2:3], s[8:9], s[2:3]
	s_mul_i32 s8, s11, s27
	v_dual_mov_b32 v39, v31 :: v_dual_add_nc_u32 v58, 0x900, v57
	s_ashr_i32 s9, s8, 31
	v_add_nc_u32_e32 v59, 0x1200, v57
	s_add_nc_u64 s[8:9], s[2:3], s[8:9]
	s_lshl_b32 s2, s14, 4
	s_delay_alu instid0(SALU_CYCLE_1) | instskip(SKIP_2) | instid1(VALU_DEP_3)
	v_dual_lshrrev_b32 v3, 4, v48 :: v_dual_add_nc_u32 v28, s2, v26
	v_dual_ashrrev_i32 v27, 31, v26 :: v_dual_bitop2_b32 v8, 60, v25 bitop3:0x40
	v_add_nc_u32_e32 v60, 0x1b00, v57
	v_lshl_add_u32 v3, v0, 1, v3
	s_delay_alu instid0(VALU_DEP_4) | instskip(SKIP_2) | instid1(VALU_DEP_4)
	v_dual_add_nc_u32 v32, s2, v28 :: v_dual_ashrrev_i32 v29, 31, v28
	v_mul_u32_u24_e32 v62, 0x90, v48
	v_lshl_add_u32 v65, v48, 1, v61
	v_mul_lo_u32 v6, s10, v3
	s_delay_alu instid0(VALU_DEP_4)
	v_dual_ashrrev_i32 v33, 31, v32 :: v_dual_add_nc_u32 v34, s2, v32
	s_lshl_b32 s2, s10, 3
	v_lshlrev_b32_e32 v1, 2, v8
	v_dual_lshlrev_b32 v30, 2, v4 :: v_dual_bitop2_b32 v56, 16, v51 bitop3:0x14
	v_dual_lshlrev_b32 v38, 2, v8 :: v_dual_bitop2_b32 v55, 8, v51 bitop3:0x14
	v_xor_b32_e32 v54, 4, v51
	v_dual_add_nc_u32 v10, s2, v6 :: v_dual_bitop2_b32 v53, 2, v51 bitop3:0x14
	v_lshl_or_b32 v63, v3, 8, v1
	v_xor_b32_e32 v52, 1, v51
	v_add_nc_u32_e32 v69, 0x800, v47
	v_add_nc_u32_e32 v70, 0x1000, v47
	v_dual_add_nc_u32 v0, s2, v10 :: v_dual_ashrrev_i32 v11, 31, v10
	v_ashrrev_i32_e32 v35, 31, v34
	v_dual_mov_b32 v46, 0xfeffffff :: v_dual_ashrrev_i32 v7, 31, v6
	s_delay_alu instid0(VALU_DEP_3) | instskip(NEXT) | instid1(VALU_DEP_4)
	v_dual_add_nc_u32 v2, s2, v0 :: v_dual_ashrrev_i32 v1, 31, v0
	v_lshlrev_b64_e32 v[40:41], 2, v[10:11]
	s_delay_alu instid0(VALU_DEP_3) | instskip(SKIP_1) | instid1(VALU_DEP_4)
	v_lshlrev_b64_e32 v[36:37], 2, v[6:7]
	v_add_nc_u32_e32 v66, 0x800, v63
	v_ashrrev_i32_e32 v3, 31, v2
	v_lshlrev_b64_e32 v[42:43], 2, v[0:1]
	v_dual_mov_b32 v72, v31 :: v_dual_add_nc_u32 v67, 0x1000, v63
	v_add_nc_u32_e32 v68, 0x1800, v63
	s_delay_alu instid0(VALU_DEP_4)
	v_lshlrev_b64_e32 v[44:45], 2, v[2:3]
	v_add_nc_u32_e32 v71, 0x1800, v47
	v_dual_mov_b32 v11, v31 :: v_dual_mov_b32 v10, v31
	s_ashr_i32 s15, s14, 31
	s_ashr_i32 s11, s10, 31
	s_add_nc_u64 s[20:21], s[0:1], 0xd0
.LBB30_9:                               ; =>This Inner Loop Header: Depth=1
	v_cmp_gt_i32_e32 vcc_lo, 32, v56
	s_ashr_i32 s5, s4, 31
	v_dual_mov_b32 v14, v46 :: v_dual_add_nc_u32 v15, s4, v64
	s_mul_u64 s[24:25], s[4:5], s[14:15]
	v_cndmask_b32_e32 v0, v51, v56, vcc_lo
	v_cmp_gt_i32_e32 vcc_lo, 32, v55
	s_lshl_b64 s[24:25], s[24:25], 2
	v_dual_mov_b32 v73, 0 :: v_dual_mov_b32 v74, 0
	s_add_nc_u64 s[38:39], s[6:7], s[24:25]
	v_cndmask_b32_e32 v1, v51, v55, vcc_lo
	v_cmp_gt_i32_e32 vcc_lo, 32, v54
	v_lshl_add_u64 v[6:7], v[34:35], 2, s[38:39]
	s_or_b32 s2, s4, 32
	s_mul_u64 s[26:27], s[4:5], s[10:11]
	s_ashr_i32 s3, s2, 31
	v_cndmask_b32_e32 v2, v51, v54, vcc_lo
	v_cmp_gt_i32_e32 vcc_lo, 32, v53
	v_add_nc_u64_e32 v[20:21], v[6:7], v[30:31]
	s_lshl_b64 s[26:27], s[26:27], 2
	s_mul_u64 s[36:37], s[2:3], s[10:11]
	s_add_nc_u64 s[2:3], s[8:9], s[26:27]
	v_cndmask_b32_e32 v3, v51, v53, vcc_lo
	v_cmp_gt_i32_e32 vcc_lo, 32, v52
	v_dual_lshlrev_b32 v46, 2, v0 :: v_dual_lshlrev_b32 v22, 2, v2
	v_lshlrev_b32_e32 v23, 2, v1
	v_lshl_add_u64 v[0:1], v[26:27], 2, s[38:39]
	v_dual_cndmask_b32 v4, v51, v52 :: v_dual_lshlrev_b32 v19, 2, v3
	v_lshl_add_u64 v[2:3], v[28:29], 2, s[38:39]
	s_lshl_b64 s[24:25], s[36:37], 2
	s_delay_alu instid0(VALU_DEP_3) | instskip(NEXT) | instid1(VALU_DEP_3)
	v_add_nc_u64_e32 v[8:9], v[0:1], v[30:31]
	v_lshlrev_b32_e32 v18, 2, v4
	v_lshl_add_u64 v[4:5], v[32:33], 2, s[38:39]
	v_add_nc_u64_e32 v[12:13], v[2:3], v[30:31]
	s_delay_alu instid0(VALU_DEP_2)
	v_add_nc_u64_e32 v[16:17], v[4:5], v[30:31]
	s_clause 0x2
	global_load_b128 v[0:3], v[8:9], off
	global_load_b128 v[4:7], v[12:13], off
	;; [unrolled: 1-line block ×3, first 2 shown]
	s_wait_loadcnt 0x2
	ds_store_b128 v57, v[0:3]
	global_load_b128 v[0:3], v[20:21], off
	s_wait_loadcnt 0x2
	ds_store_b128 v58, v[4:7]
	s_wait_loadcnt 0x1
	ds_store_b128 v59, v[76:79]
	;; [unrolled: 2-line block ×3, first 2 shown]
	s_wait_dscnt 0x0
	s_barrier_signal -1
	s_barrier_wait -1
	ds_load_b128 v[0:3], v62
	ds_load_b128 v[4:7], v50
	ds_load_b128 v[76:79], v62 offset:4608
	s_wait_dscnt 0x1
	;;#ASMSTART
	v_dot2_f32_f16 v73, v0, v4, v73
	;;#ASMEND
	;;#ASMSTART
	v_dot2_f32_f16 v73, v1, v5, v73
	;;#ASMEND
	;;#ASMSTART
	v_dot2_f32_f16 v73, v2, v6, v73
	;;#ASMEND
	;;#ASMSTART
	v_dot2_f32_f16 v73, v3, v7, v73
	;;#ASMEND
	s_wait_dscnt 0x0
	;;#ASMSTART
	v_dot2_f32_f16 v74, v76, v4, v74
	;;#ASMEND
	;;#ASMSTART
	v_dot2_f32_f16 v74, v77, v5, v74
	;;#ASMEND
	;;#ASMSTART
	v_dot2_f32_f16 v74, v78, v6, v74
	;;#ASMEND
	;;#ASMSTART
	v_dot2_f32_f16 v74, v79, v7, v74
	;;#ASMEND
	ds_load_b128 v[0:3], v62 offset:16
	ds_load_b128 v[4:7], v50 offset:16
	ds_load_b128 v[76:79], v62 offset:4624
	s_wait_dscnt 0x1
	;;#ASMSTART
	v_dot2_f32_f16 v73, v0, v4, v73
	;;#ASMEND
	;;#ASMSTART
	v_dot2_f32_f16 v73, v1, v5, v73
	;;#ASMEND
	;;#ASMSTART
	v_dot2_f32_f16 v73, v2, v6, v73
	;;#ASMEND
	;;#ASMSTART
	v_dot2_f32_f16 v73, v3, v7, v73
	;;#ASMEND
	s_wait_dscnt 0x0
	;;#ASMSTART
	v_dot2_f32_f16 v74, v76, v4, v74
	;;#ASMEND
	;;#ASMSTART
	v_dot2_f32_f16 v74, v77, v5, v74
	;;#ASMEND
	;;#ASMSTART
	v_dot2_f32_f16 v74, v78, v6, v74
	;;#ASMEND
	;;#ASMSTART
	v_dot2_f32_f16 v74, v79, v7, v74
	;;#ASMEND
	ds_load_b128 v[0:3], v62 offset:32
	ds_load_b128 v[4:7], v50 offset:32
	;; [unrolled: 29-line block ×7, first 2 shown]
	ds_load_b128 v[76:79], v62 offset:4720
	s_wait_dscnt 0x1
	;;#ASMSTART
	v_dot2_f32_f16 v73, v0, v4, v73
	;;#ASMEND
	;;#ASMSTART
	v_dot2_f32_f16 v73, v1, v5, v73
	;;#ASMEND
	;; [unrolled: 3-line block ×4, first 2 shown]
	s_wait_dscnt 0x0
	;;#ASMSTART
	v_dot2_f32_f16 v74, v76, v4, v74
	;;#ASMEND
	;;#ASMSTART
	v_dot2_f32_f16 v74, v77, v5, v74
	;;#ASMEND
	;;#ASMSTART
	v_dot2_f32_f16 v74, v78, v6, v74
	;;#ASMEND
	;;#ASMSTART
	v_dot2_f32_f16 v74, v79, v7, v74
	;;#ASMEND
	s_barrier_signal -1
	s_barrier_wait -1
	s_clause 0x1
	global_load_b128 v[76:79], v[8:9], off offset:128
	global_load_b128 v[80:83], v[12:13], off offset:128
	v_add_nc_u64_e32 v[4:5], s[2:3], v[42:43]
	v_add_nc_u64_e32 v[6:7], s[2:3], v[44:45]
	;; [unrolled: 1-line block ×4, first 2 shown]
	s_add_nc_u64 s[2:3], s[8:9], s[24:25]
	s_wait_xcnt 0x1
	v_add_nc_u64_e32 v[8:9], s[2:3], v[36:37]
	s_wait_xcnt 0x0
	v_add_nc_u64_e32 v[12:13], s[2:3], v[40:41]
	v_add_nc_u64_e32 v[0:1], v[0:1], v[38:39]
	s_delay_alu instid0(VALU_DEP_3) | instskip(NEXT) | instid1(VALU_DEP_3)
	v_add_nc_u64_e32 v[8:9], v[8:9], v[38:39]
	v_add_nc_u64_e32 v[12:13], v[12:13], v[38:39]
	s_wait_loadcnt 0x1
	ds_store_b128 v57, v[76:79]
	s_clause 0x1
	global_load_b128 v[76:79], v[16:17], off offset:128
	global_load_b128 v[84:87], v[20:21], off offset:128
	s_wait_xcnt 0x1
	v_add_nc_u64_e32 v[16:17], s[2:3], v[42:43]
	s_wait_xcnt 0x0
	v_add_nc_u64_e32 v[20:21], s[2:3], v[44:45]
	s_wait_loadcnt 0x2
	ds_store_b128 v58, v[80:83]
	s_wait_loadcnt 0x1
	ds_store_b128 v59, v[76:79]
	;; [unrolled: 2-line block ×3, first 2 shown]
	s_wait_dscnt 0x0
	s_barrier_signal -1
	s_barrier_wait -1
	ds_load_b128 v[76:79], v62
	ds_load_b128 v[80:83], v50 offset:128
	ds_load_b128 v[84:87], v62 offset:4608
	s_wait_dscnt 0x1
	;;#ASMSTART
	v_dot2_f32_f16 v73, v76, v80, v73
	;;#ASMEND
	;;#ASMSTART
	v_dot2_f32_f16 v73, v77, v81, v73
	;;#ASMEND
	;;#ASMSTART
	v_dot2_f32_f16 v73, v78, v82, v73
	;;#ASMEND
	;;#ASMSTART
	v_dot2_f32_f16 v73, v79, v83, v73
	;;#ASMEND
	s_wait_dscnt 0x0
	;;#ASMSTART
	v_dot2_f32_f16 v74, v84, v80, v74
	;;#ASMEND
	;;#ASMSTART
	v_dot2_f32_f16 v74, v85, v81, v74
	;;#ASMEND
	;;#ASMSTART
	v_dot2_f32_f16 v74, v86, v82, v74
	;;#ASMEND
	;;#ASMSTART
	v_dot2_f32_f16 v74, v87, v83, v74
	;;#ASMEND
	ds_load_b128 v[76:79], v62 offset:16
	ds_load_b128 v[80:83], v50 offset:144
	ds_load_b128 v[84:87], v62 offset:4624
	s_wait_dscnt 0x1
	;;#ASMSTART
	v_dot2_f32_f16 v73, v76, v80, v73
	;;#ASMEND
	;;#ASMSTART
	v_dot2_f32_f16 v73, v77, v81, v73
	;;#ASMEND
	;;#ASMSTART
	v_dot2_f32_f16 v73, v78, v82, v73
	;;#ASMEND
	;;#ASMSTART
	v_dot2_f32_f16 v73, v79, v83, v73
	;;#ASMEND
	s_wait_dscnt 0x0
	;;#ASMSTART
	v_dot2_f32_f16 v74, v84, v80, v74
	;;#ASMEND
	;;#ASMSTART
	v_dot2_f32_f16 v74, v85, v81, v74
	;;#ASMEND
	;;#ASMSTART
	v_dot2_f32_f16 v74, v86, v82, v74
	;;#ASMEND
	;;#ASMSTART
	v_dot2_f32_f16 v74, v87, v83, v74
	;;#ASMEND
	ds_load_b128 v[76:79], v62 offset:32
	;; [unrolled: 29-line block ×7, first 2 shown]
	ds_load_b128 v[80:83], v50 offset:240
	ds_load_b128 v[84:87], v62 offset:4720
	s_wait_dscnt 0x1
	;;#ASMSTART
	v_dot2_f32_f16 v73, v76, v80, v73
	;;#ASMEND
	;;#ASMSTART
	v_dot2_f32_f16 v73, v77, v81, v73
	;;#ASMEND
	;; [unrolled: 3-line block ×4, first 2 shown]
	s_wait_dscnt 0x0
	;;#ASMSTART
	v_dot2_f32_f16 v74, v84, v80, v74
	;;#ASMEND
	;;#ASMSTART
	v_dot2_f32_f16 v74, v85, v81, v74
	;;#ASMEND
	;; [unrolled: 3-line block ×4, first 2 shown]
	v_add_nc_u64_e32 v[78:79], v[4:5], v[38:39]
	s_clause 0x1
	global_load_u16 v4, v15, s[34:35] scale_offset
	global_load_u16 v5, v15, s[34:35] offset:64 scale_offset
	v_add_nc_u64_e32 v[80:81], v[6:7], v[38:39]
	v_add_nc_u64_e32 v[76:77], v[2:3], v[38:39]
	s_wait_loadcnt 0x0
	s_barrier_signal -1
	s_barrier_wait -1
	global_load_b128 v[0:3], v[0:1], off
	v_add_nc_u64_e32 v[16:17], v[16:17], v[38:39]
	v_add_nc_u64_e32 v[20:21], v[20:21], v[38:39]
	global_load_b128 v[80:83], v[80:81], off
	v_cvt_f32_f16_e32 v4, v4
	v_cvt_f32_f16_e32 v5, v5
	s_delay_alu instid0(VALU_DEP_1) | instskip(NEXT) | instid1(VALU_DEP_1)
	v_dual_add_f32 v4, v73, v4 :: v_dual_add_f32 v5, v74, v5
	v_dual_add_f32 v6, 0x40051340, v4 :: v_dual_add_f32 v7, 0x40051340, v5
	s_delay_alu instid0(VALU_DEP_1) | instskip(SKIP_3) | instid1(VALU_DEP_1)
	v_max3_num_f32 v6, v14, v6, v7
	ds_bpermute_b32 v7, v46, v6
	s_wait_dscnt 0x0
	v_max_num_f32_e32 v7, v7, v7
	v_max_num_f32_e32 v6, v6, v7
	ds_bpermute_b32 v7, v23, v6
	s_wait_dscnt 0x0
	v_max_num_f32_e32 v7, v7, v7
	s_delay_alu instid0(VALU_DEP_1) | instskip(SKIP_3) | instid1(VALU_DEP_1)
	v_max_num_f32_e32 v6, v6, v7
	ds_bpermute_b32 v7, v22, v6
	s_wait_dscnt 0x0
	v_max_num_f32_e32 v7, v7, v7
	v_max_num_f32_e32 v6, v6, v7
	ds_bpermute_b32 v7, v19, v6
	s_wait_dscnt 0x0
	v_max_num_f32_e32 v7, v7, v7
	s_delay_alu instid0(VALU_DEP_1) | instskip(SKIP_3) | instid1(VALU_DEP_1)
	v_max_num_f32_e32 v6, v6, v7
	ds_bpermute_b32 v7, v18, v6
	s_wait_dscnt 0x0
	v_max_num_f32_e32 v7, v7, v7
	v_max_num_f32_e32 v46, v6, v7
	s_delay_alu instid0(VALU_DEP_1) | instskip(NEXT) | instid1(VALU_DEP_1)
	v_sub_f32_e32 v18, v5, v46
	v_mul_f32_e32 v5, 0x3fb8aa3b, v18
	s_wait_xcnt 0x2
	v_dual_sub_f32 v14, v14, v46 :: v_dual_sub_f32 v15, v4, v46
	v_cmp_ngt_f32_e32 vcc_lo, 0xc2ce8ed0, v18
	s_delay_alu instid0(VALU_DEP_3) | instskip(SKIP_1) | instid1(VALU_DEP_4)
	v_fma_f32 v22, 0x3fb8aa3b, v18, -v5
	v_rndne_f32_e32 v23, v5
	v_mul_f32_e32 v6, 0x3fb8aa3b, v14
	v_cmp_ngt_f32_e64 s2, 0xc2ce8ed0, v14
	v_cmp_ngt_f32_e64 s3, 0xc2ce8ed0, v15
	s_delay_alu instid0(VALU_DEP_4) | instskip(NEXT) | instid1(VALU_DEP_4)
	v_dual_fmac_f32 v22, 0x32a5705f, v18 :: v_dual_sub_f32 v5, v5, v23
	v_rndne_f32_e32 v73, v6
	v_mul_f32_e32 v4, 0x3fb8aa3b, v15
	v_cvt_i32_f32_e32 v23, v23
	s_delay_alu instid0(VALU_DEP_3) | instskip(NEXT) | instid1(VALU_DEP_3)
	v_dual_add_f32 v22, v5, v22 :: v_dual_sub_f32 v5, v6, v73
	v_fma_f32 v7, 0x3fb8aa3b, v15, -v4
	v_rndne_f32_e32 v19, v4
	v_cvt_i32_f32_e32 v73, v73
	s_delay_alu instid0(VALU_DEP_4) | instskip(NEXT) | instid1(VALU_DEP_2)
	v_exp_f32_e32 v22, v22
	v_sub_f32_e32 v4, v4, v19
	s_delay_alu instid0(TRANS32_DEP_1) | instskip(NEXT) | instid1(VALU_DEP_1)
	v_ldexp_f32 v22, v22, v23
	v_dual_fmac_f32 v7, 0x32a5705f, v15 :: v_dual_cndmask_b32 v22, 0, v22
	s_delay_alu instid0(VALU_DEP_1) | instskip(SKIP_3) | instid1(VALU_DEP_3)
	v_add_f32_e32 v4, v4, v7
	v_fma_f32 v7, 0x3fb8aa3b, v14, -v6
	v_cvt_i32_f32_e32 v6, v19
	v_cmp_nlt_f32_e32 vcc_lo, 0x42b17218, v18
	v_fmac_f32_e32 v7, 0x32a5705f, v14
	v_cndmask_b32_e32 v75, 0x7f800000, v22, vcc_lo
	s_delay_alu instid0(VALU_DEP_2) | instskip(SKIP_1) | instid1(VALU_DEP_1)
	v_add_f32_e32 v19, v5, v7
	v_exp_f32_e32 v4, v4
	v_exp_f32_e32 v19, v19
	s_delay_alu instid0(TRANS32_DEP_2)
	v_ldexp_f32 v74, v4, v6
	s_clause 0x1
	global_load_b128 v[4:7], v[76:77], off
	global_load_b128 v[76:79], v[78:79], off
	v_ldexp_f32 v19, v19, v73
	v_cndmask_b32_e64 v23, 0, v74, s3
	v_cmp_nlt_f32_e64 s3, 0x42b17218, v15
	v_cvt_f16_f32_e32 v15, v75
	s_delay_alu instid0(VALU_DEP_4) | instskip(SKIP_1) | instid1(VALU_DEP_4)
	v_cndmask_b32_e64 v18, 0, v19, s2
	v_cmp_nlt_f32_e64 s2, 0x42b17218, v14
	v_cndmask_b32_e64 v74, 0x7f800000, v23, s3
	ds_store_b16 v65, v15 offset:64
	v_cndmask_b32_e64 v73, 0x7f800000, v18, s2
	v_cvt_f16_f32_e32 v14, v74
	ds_store_b16 v65, v14
	v_cvt_f16_f32_e32 v14, v73
	s_wait_loadcnt 0x3
	ds_store_b128 v63, v[0:3]
	s_wait_loadcnt 0x1
	ds_store_b128 v66, v[4:7]
	;; [unrolled: 2-line block ×3, first 2 shown]
	ds_store_b128 v68, v[80:83]
	s_wait_dscnt 0x0
	s_barrier_signal -1
	s_barrier_wait -1
	ds_load_b128 v[0:3], v61
	ds_load_2addr_b64 v[4:7], v47 offset1:32
	v_and_b32_e32 v14, 0xffff, v14
	ds_load_2addr_b64 v[80:83], v47 offset0:64 offset1:96
	ds_load_b128 v[76:79], v61 offset:16
	ds_load_b128 v[84:87], v61 offset:32
	v_mul_u32_u24_e32 v14, 0x10001, v14
	s_wait_dscnt 0x4
	v_and_b32_e32 v15, 0xffff, v0
	v_lshrrev_b32_e32 v0, 16, v0
	s_delay_alu instid0(VALU_DEP_2) | instskip(NEXT) | instid1(VALU_DEP_2)
	v_mul_u32_u24_e32 v15, 0x10001, v15
	v_mul_u32_u24_e32 v0, 0x10001, v0
	s_wait_dscnt 0x3
	s_delay_alu instid0(VALU_DEP_2) | instskip(SKIP_1) | instid1(VALU_DEP_2)
	v_pk_mul_f16 v4, v4, v15
	v_pk_mul_f16 v5, v5, v15
	v_pk_fma_f16 v4, v11, v14, v4
	s_delay_alu instid0(VALU_DEP_2) | instskip(SKIP_2) | instid1(VALU_DEP_4)
	v_pk_fma_f16 v5, v10, v14, v5
	v_and_b32_e32 v11, 0xffff, v1
	v_lshrrev_b32_e32 v1, 16, v1
	v_pk_fma_f16 v10, v6, v0, v4
	s_delay_alu instid0(VALU_DEP_4) | instskip(SKIP_4) | instid1(VALU_DEP_2)
	v_pk_fma_f16 v0, v7, v0, v5
	ds_load_2addr_b64 v[4:7], v47 offset0:128 offset1:160
	v_mul_u32_u24_e32 v11, 0x10001, v11
	v_mul_u32_u24_e32 v1, 0x10001, v1
	s_wait_dscnt 0x3
	v_pk_fma_f16 v10, v80, v11, v10
	v_pk_fma_f16 v0, v81, v11, v0
	s_delay_alu instid0(VALU_DEP_2) | instskip(NEXT) | instid1(VALU_DEP_2)
	v_pk_fma_f16 v10, v82, v1, v10
	v_pk_fma_f16 v0, v83, v1, v0
	v_and_b32_e32 v1, 0xffff, v2
	ds_load_2addr_b64 v[80:83], v47 offset0:192 offset1:224
	v_mul_u32_u24_e32 v1, 0x10001, v1
	s_wait_dscnt 0x1
	s_delay_alu instid0(VALU_DEP_1) | instskip(SKIP_2) | instid1(VALU_DEP_1)
	v_pk_fma_f16 v4, v4, v1, v10
	v_pk_fma_f16 v0, v5, v1, v0
	v_dual_lshrrev_b32 v1, 16, v2 :: v_dual_lshrrev_b32 v10, 16, v3
	v_mul_u32_u24_e32 v1, 0x10001, v1
	s_delay_alu instid0(VALU_DEP_2) | instskip(NEXT) | instid1(VALU_DEP_2)
	v_mul_u32_u24_e32 v10, 0x10001, v10
	v_pk_fma_f16 v2, v6, v1, v4
	v_pk_fma_f16 v0, v7, v1, v0
	v_and_b32_e32 v1, 0xffff, v3
	ds_load_2addr_b64 v[4:7], v69 offset1:32
	v_mul_u32_u24_e32 v1, 0x10001, v1
	s_wait_dscnt 0x1
	s_delay_alu instid0(VALU_DEP_1)
	v_pk_fma_f16 v11, v80, v1, v2
	v_pk_fma_f16 v14, v81, v1, v0
	ds_load_2addr_b64 v[0:3], v69 offset0:64 offset1:96
	v_pk_fma_f16 v11, v82, v10, v11
	v_pk_fma_f16 v10, v83, v10, v14
	v_and_b32_e32 v14, 0xffff, v76
	ds_load_2addr_b64 v[80:83], v69 offset0:128 offset1:160
	v_mul_u32_u24_e32 v14, 0x10001, v14
	s_wait_dscnt 0x2
	s_delay_alu instid0(VALU_DEP_1) | instskip(SKIP_3) | instid1(VALU_DEP_3)
	v_pk_fma_f16 v5, v5, v14, v10
	v_lshrrev_b32_e32 v10, 16, v76
	v_pk_fma_f16 v4, v4, v14, v11
	v_and_b32_e32 v14, 0xffff, v77
	v_mul_u32_u24_e32 v10, 0x10001, v10
	s_delay_alu instid0(VALU_DEP_2) | instskip(NEXT) | instid1(VALU_DEP_2)
	v_mul_u32_u24_e32 v14, 0x10001, v14
	v_pk_fma_f16 v11, v6, v10, v4
	v_pk_fma_f16 v10, v7, v10, v5
	ds_load_2addr_b64 v[4:7], v69 offset0:192 offset1:224
	s_wait_dscnt 0x2
	v_pk_fma_f16 v0, v0, v14, v11
	v_pk_fma_f16 v1, v1, v14, v10
	v_lshrrev_b32_e32 v10, 16, v77
	v_and_b32_e32 v14, 0xffff, v85
	s_delay_alu instid0(VALU_DEP_2) | instskip(NEXT) | instid1(VALU_DEP_2)
	v_mul_u32_u24_e32 v10, 0x10001, v10
	v_mul_u32_u24_e32 v14, 0x10001, v14
	s_delay_alu instid0(VALU_DEP_2) | instskip(SKIP_3) | instid1(VALU_DEP_3)
	v_pk_fma_f16 v0, v2, v10, v0
	v_and_b32_e32 v2, 0xffff, v78
	v_pk_fma_f16 v1, v3, v10, v1
	v_lshrrev_b32_e32 v3, 16, v79
	v_mul_u32_u24_e32 v2, 0x10001, v2
	s_wait_dscnt 0x1
	s_delay_alu instid0(VALU_DEP_1) | instskip(SKIP_2) | instid1(VALU_DEP_1)
	v_pk_fma_f16 v0, v80, v2, v0
	v_pk_fma_f16 v1, v81, v2, v1
	v_lshrrev_b32_e32 v2, 16, v78
	v_mul_u32_u24_e32 v2, 0x10001, v2
	s_delay_alu instid0(VALU_DEP_1) | instskip(NEXT) | instid1(VALU_DEP_4)
	v_pk_fma_f16 v0, v82, v2, v0
	v_pk_fma_f16 v1, v83, v2, v1
	v_and_b32_e32 v2, 0xffff, v79
	ds_load_2addr_b64 v[80:83], v70 offset1:32
	ds_load_2addr_b64 v[76:79], v70 offset0:64 offset1:96
	v_mul_u32_u24_e32 v2, 0x10001, v2
	s_wait_dscnt 0x2
	s_delay_alu instid0(VALU_DEP_1) | instskip(SKIP_2) | instid1(VALU_DEP_1)
	v_pk_fma_f16 v0, v4, v2, v0
	v_pk_fma_f16 v1, v5, v2, v1
	v_mul_u32_u24_e32 v2, 0x10001, v3
	v_pk_fma_f16 v4, v6, v2, v0
	v_and_b32_e32 v6, 0xffff, v84
	s_delay_alu instid0(VALU_DEP_4) | instskip(SKIP_4) | instid1(VALU_DEP_1)
	v_pk_fma_f16 v5, v7, v2, v1
	ds_load_b128 v[0:3], v61 offset:48
	v_lshrrev_b32_e32 v15, 16, v87
	v_mul_u32_u24_e32 v6, 0x10001, v6
	s_wait_dscnt 0x2
	v_pk_fma_f16 v4, v80, v6, v4
	v_pk_fma_f16 v5, v81, v6, v5
	v_lshrrev_b32_e32 v6, 16, v84
	s_delay_alu instid0(VALU_DEP_1) | instskip(NEXT) | instid1(VALU_DEP_1)
	v_mul_u32_u24_e32 v6, 0x10001, v6
	v_pk_fma_f16 v10, v82, v6, v4
	s_delay_alu instid0(VALU_DEP_4)
	v_pk_fma_f16 v11, v83, v6, v5
	ds_load_2addr_b64 v[4:7], v70 offset0:128 offset1:160
	ds_load_2addr_b64 v[80:83], v71 offset0:64 offset1:96
	s_wait_dscnt 0x3
	v_pk_fma_f16 v10, v76, v14, v10
	v_pk_fma_f16 v11, v77, v14, v11
	v_lshrrev_b32_e32 v14, 16, v85
	s_delay_alu instid0(VALU_DEP_1) | instskip(NEXT) | instid1(VALU_DEP_1)
	v_mul_u32_u24_e32 v14, 0x10001, v14
	v_pk_fma_f16 v10, v78, v14, v10
	s_delay_alu instid0(VALU_DEP_4) | instskip(SKIP_4) | instid1(VALU_DEP_1)
	v_pk_fma_f16 v11, v79, v14, v11
	v_and_b32_e32 v14, 0xffff, v86
	ds_load_2addr_b64 v[76:79], v70 offset0:192 offset1:224
	v_mul_u32_u24_e32 v14, 0x10001, v14
	s_wait_dscnt 0x2
	v_pk_fma_f16 v4, v4, v14, v10
	v_lshrrev_b32_e32 v10, 16, v86
	v_pk_fma_f16 v5, v5, v14, v11
	v_and_b32_e32 v14, 0xffff, v87
	s_delay_alu instid0(VALU_DEP_3) | instskip(NEXT) | instid1(VALU_DEP_2)
	v_mul_u32_u24_e32 v10, 0x10001, v10
	v_mul_u32_u24_e32 v14, 0x10001, v14
	s_delay_alu instid0(VALU_DEP_2)
	v_pk_fma_f16 v11, v6, v10, v4
	v_pk_fma_f16 v10, v7, v10, v5
	ds_load_2addr_b64 v[4:7], v71 offset1:32
	s_wait_dscnt 0x1
	v_pk_fma_f16 v11, v76, v14, v11
	v_pk_fma_f16 v10, v77, v14, v10
	v_mul_u32_u24_e32 v14, 0x10001, v15
	s_delay_alu instid0(VALU_DEP_1) | instskip(NEXT) | instid1(VALU_DEP_3)
	v_pk_fma_f16 v11, v78, v14, v11
	v_pk_fma_f16 v10, v79, v14, v10
	v_and_b32_e32 v14, 0xffff, v0
	v_lshrrev_b32_e32 v0, 16, v0
	ds_load_2addr_b64 v[76:79], v71 offset0:128 offset1:160
	v_mul_u32_u24_e32 v14, 0x10001, v14
	v_mul_u32_u24_e32 v0, 0x10001, v0
	s_wait_dscnt 0x1
	s_delay_alu instid0(VALU_DEP_2) | instskip(SKIP_3) | instid1(VALU_DEP_4)
	v_pk_fma_f16 v4, v4, v14, v11
	v_pk_fma_f16 v5, v5, v14, v10
	v_and_b32_e32 v11, 0xffff, v1
	v_lshrrev_b32_e32 v1, 16, v1
	v_pk_fma_f16 v10, v6, v0, v4
	s_delay_alu instid0(VALU_DEP_4) | instskip(NEXT) | instid1(VALU_DEP_4)
	v_pk_fma_f16 v0, v7, v0, v5
	v_mul_u32_u24_e32 v11, 0x10001, v11
	s_delay_alu instid0(VALU_DEP_4)
	v_mul_u32_u24_e32 v1, 0x10001, v1
	ds_load_2addr_b64 v[4:7], v71 offset0:192 offset1:224
	s_wait_dscnt 0x0
	s_barrier_signal -1
	v_pk_fma_f16 v10, v80, v11, v10
	v_pk_fma_f16 v0, v81, v11, v0
	s_barrier_wait -1
	s_delay_alu instid0(VALU_DEP_2) | instskip(NEXT) | instid1(VALU_DEP_2)
	v_pk_fma_f16 v18, v82, v1, v10
	v_pk_fma_f16 v0, v83, v1, v0
	v_and_b32_e32 v1, 0xffff, v2
	s_clause 0x1
	global_load_b128 v[8:11], v[8:9], off
	global_load_b128 v[12:15], v[12:13], off
	v_mul_u32_u24_e32 v1, 0x10001, v1
	s_delay_alu instid0(VALU_DEP_1) | instskip(SKIP_3) | instid1(VALU_DEP_2)
	v_pk_fma_f16 v18, v76, v1, v18
	v_pk_fma_f16 v0, v77, v1, v0
	v_dual_mov_b32 v76, v72 :: v_dual_lshrrev_b32 v1, 16, v2
	v_add_f32_e32 v72, v74, v75
	v_mul_u32_u24_e32 v1, 0x10001, v1
	s_delay_alu instid0(VALU_DEP_2) | instskip(NEXT) | instid1(VALU_DEP_2)
	v_fmac_f32_e32 v72, v76, v73
	v_pk_fma_f16 v2, v78, v1, v18
	s_clause 0x1
	global_load_b128 v[16:19], v[16:17], off
	global_load_b128 v[20:23], v[20:21], off
	v_pk_fma_f16 v0, v79, v1, v0
	v_and_b32_e32 v1, 0xffff, v3
	v_lshrrev_b32_e32 v3, 16, v3
	s_wait_loadcnt 0x3
	ds_store_b128 v63, v[8:11]
	s_wait_loadcnt 0x2
	ds_store_b128 v66, v[12:15]
	;; [unrolled: 2-line block ×4, first 2 shown]
	v_mul_u32_u24_e32 v1, 0x10001, v1
	v_mul_u32_u24_e32 v3, 0x10001, v3
	s_wait_dscnt 0x0
	s_barrier_signal -1
	s_barrier_wait -1
	v_pk_fma_f16 v2, v4, v1, v2
	v_pk_fma_f16 v0, v5, v1, v0
	s_delay_alu instid0(VALU_DEP_2) | instskip(NEXT) | instid1(VALU_DEP_2)
	v_pk_fma_f16 v74, v6, v3, v2
	v_pk_fma_f16 v75, v7, v3, v0
	ds_load_b128 v[0:3], v61 offset:64
	ds_load_2addr_b64 v[4:7], v47 offset1:32
	ds_load_2addr_b64 v[8:11], v47 offset0:64 offset1:96
	ds_load_2addr_b64 v[12:15], v47 offset0:128 offset1:160
	;; [unrolled: 1-line block ×3, first 2 shown]
	ds_load_b128 v[20:23], v61 offset:80
	s_wait_dscnt 0x5
	v_and_b32_e32 v77, 0xffff, v0
	v_dual_lshrrev_b32 v0, 16, v0 :: v_dual_lshrrev_b32 v78, 16, v3
	s_delay_alu instid0(VALU_DEP_2) | instskip(NEXT) | instid1(VALU_DEP_2)
	v_mul_u32_u24_e32 v77, 0x10001, v77
	v_mul_u32_u24_e32 v0, 0x10001, v0
	s_wait_dscnt 0x4
	s_delay_alu instid0(VALU_DEP_2)
	v_pk_fma_f16 v4, v4, v77, v74
	v_pk_fma_f16 v5, v5, v77, v75
	v_and_b32_e32 v75, 0xffff, v1
	v_lshrrev_b32_e32 v1, 16, v1
	v_and_b32_e32 v77, 0xffff, v3
	v_pk_fma_f16 v74, v6, v0, v4
	v_pk_fma_f16 v0, v7, v0, v5
	v_mul_u32_u24_e32 v75, 0x10001, v75
	v_mul_u32_u24_e32 v1, 0x10001, v1
	ds_load_2addr_b64 v[4:7], v69 offset1:32
	v_mul_u32_u24_e32 v77, 0x10001, v77
	s_wait_dscnt 0x4
	v_pk_fma_f16 v8, v8, v75, v74
	v_pk_fma_f16 v0, v9, v75, v0
	s_delay_alu instid0(VALU_DEP_2) | instskip(NEXT) | instid1(VALU_DEP_2)
	v_pk_fma_f16 v74, v10, v1, v8
	v_pk_fma_f16 v0, v11, v1, v0
	v_and_b32_e32 v1, 0xffff, v2
	v_lshrrev_b32_e32 v2, 16, v2
	ds_load_2addr_b64 v[8:11], v69 offset0:64 offset1:96
	v_mul_u32_u24_e32 v1, 0x10001, v1
	v_mul_u32_u24_e32 v2, 0x10001, v2
	s_wait_dscnt 0x4
	s_delay_alu instid0(VALU_DEP_2) | instskip(SKIP_1) | instid1(VALU_DEP_2)
	v_pk_fma_f16 v12, v12, v1, v74
	v_pk_fma_f16 v0, v13, v1, v0
	;; [unrolled: 1-line block ×3, first 2 shown]
	s_delay_alu instid0(VALU_DEP_2)
	v_pk_fma_f16 v75, v15, v2, v0
	ds_load_2addr_b64 v[12:15], v69 offset0:128 offset1:160
	ds_load_2addr_b64 v[0:3], v69 offset0:192 offset1:224
	s_wait_dscnt 0x5
	v_pk_fma_f16 v16, v16, v77, v74
	v_pk_fma_f16 v17, v17, v77, v75
	s_wait_dscnt 0x4
	v_and_b32_e32 v77, 0xffff, v20
	v_lshrrev_b32_e32 v20, 16, v20
	v_mul_u32_u24_e32 v78, 0x10001, v78
	s_delay_alu instid0(VALU_DEP_3) | instskip(NEXT) | instid1(VALU_DEP_3)
	v_mul_u32_u24_e32 v77, 0x10001, v77
	v_mul_u32_u24_e32 v20, 0x10001, v20
	s_delay_alu instid0(VALU_DEP_3)
	v_pk_fma_f16 v74, v18, v78, v16
	v_pk_fma_f16 v75, v19, v78, v17
	ds_load_b128 v[16:19], v61 offset:96
	v_lshrrev_b32_e32 v78, 16, v23
	s_wait_dscnt 0x4
	v_pk_fma_f16 v4, v4, v77, v74
	v_pk_fma_f16 v5, v5, v77, v75
	v_and_b32_e32 v75, 0xffff, v21
	v_lshrrev_b32_e32 v21, 16, v21
	v_and_b32_e32 v77, 0xffff, v23
	v_pk_fma_f16 v74, v6, v20, v4
	v_pk_fma_f16 v20, v7, v20, v5
	v_mul_u32_u24_e32 v75, 0x10001, v75
	ds_load_2addr_b64 v[4:7], v70 offset1:32
	v_mul_u32_u24_e32 v77, 0x10001, v77
	v_mul_u32_u24_e32 v78, 0x10001, v78
	s_wait_dscnt 0x4
	v_pk_fma_f16 v8, v8, v75, v74
	v_pk_fma_f16 v9, v9, v75, v20
	v_and_b32_e32 v74, 0xffff, v22
	v_lshrrev_b32_e32 v22, 16, v22
	v_mul_u32_u24_e32 v21, 0x10001, v21
	s_delay_alu instid0(VALU_DEP_3) | instskip(NEXT) | instid1(VALU_DEP_3)
	v_mul_u32_u24_e32 v74, 0x10001, v74
	v_mul_u32_u24_e32 v22, 0x10001, v22
	s_delay_alu instid0(VALU_DEP_3)
	v_pk_fma_f16 v20, v10, v21, v8
	v_pk_fma_f16 v21, v11, v21, v9
	ds_load_2addr_b64 v[8:11], v70 offset0:64 offset1:96
	s_wait_dscnt 0x4
	v_pk_fma_f16 v12, v12, v74, v20
	v_pk_fma_f16 v13, v13, v74, v21
	s_delay_alu instid0(VALU_DEP_2) | instskip(NEXT) | instid1(VALU_DEP_2)
	v_pk_fma_f16 v74, v14, v22, v12
	v_pk_fma_f16 v75, v15, v22, v13
	ds_load_2addr_b64 v[12:15], v70 offset0:128 offset1:160
	ds_load_2addr_b64 v[20:23], v70 offset0:192 offset1:224
	s_wait_dscnt 0x5
	v_pk_fma_f16 v0, v0, v77, v74
	v_pk_fma_f16 v1, v1, v77, v75
	s_delay_alu instid0(VALU_DEP_2) | instskip(NEXT) | instid1(VALU_DEP_2)
	v_pk_fma_f16 v74, v2, v78, v0
	v_pk_fma_f16 v75, v3, v78, v1
	ds_load_b128 v[0:3], v61 offset:112
	s_wait_dscnt 0x5
	v_and_b32_e32 v77, 0xffff, v16
	v_lshrrev_b32_e32 v16, 16, v16
	v_and_b32_e32 v78, 0xffff, v19
	v_lshrrev_b32_e32 v19, 16, v19
	s_delay_alu instid0(VALU_DEP_4) | instskip(NEXT) | instid1(VALU_DEP_4)
	v_mul_u32_u24_e32 v77, 0x10001, v77
	v_mul_u32_u24_e32 v16, 0x10001, v16
	s_wait_dscnt 0x4
	s_delay_alu instid0(VALU_DEP_2)
	v_pk_fma_f16 v4, v4, v77, v74
	v_pk_fma_f16 v5, v5, v77, v75
	v_and_b32_e32 v74, 0xffff, v17
	v_lshrrev_b32_e32 v17, 16, v17
	v_and_b32_e32 v77, 0xffff, v18
	v_pk_fma_f16 v75, v6, v16, v4
	v_pk_fma_f16 v16, v7, v16, v5
	v_mul_u32_u24_e32 v74, 0x10001, v74
	v_lshrrev_b32_e32 v18, 16, v18
	v_mul_u32_u24_e32 v17, 0x10001, v17
	ds_load_2addr_b64 v[4:7], v71 offset1:32
	s_wait_dscnt 0x1
	v_and_b32_e32 v79, 0xffff, v3
	v_pk_fma_f16 v8, v8, v74, v75
	v_pk_fma_f16 v9, v9, v74, v16
	v_and_b32_e32 v74, 0xffff, v0
	v_lshrrev_b32_e32 v75, 16, v0
	v_mul_u32_u24_e32 v0, 0x10001, v77
	v_pk_fma_f16 v16, v10, v17, v8
	v_pk_fma_f16 v17, v11, v17, v9
	ds_load_2addr_b64 v[8:11], v71 offset0:64 offset1:96
	v_dual_lshrrev_b32 v77, 16, v2 :: v_dual_lshrrev_b32 v80, 16, v3
	v_pk_fma_f16 v12, v12, v0, v16
	v_pk_fma_f16 v0, v13, v0, v17
	v_mul_u32_u24_e32 v13, 0x10001, v18
	v_and_b32_e32 v16, 0xffff, v1
	v_lshrrev_b32_e32 v17, 16, v1
	v_and_b32_e32 v18, 0xffff, v2
	s_delay_alu instid0(VALU_DEP_4)
	v_pk_fma_f16 v12, v14, v13, v12
	v_pk_fma_f16 v13, v15, v13, v0
	v_mul_u32_u24_e32 v14, 0x10001, v78
	v_mul_u32_u24_e32 v15, 0x10001, v19
	ds_load_2addr_b64 v[0:3], v71 offset0:128 offset1:160
	v_mul_u32_u24_e32 v16, 0x10001, v16
	v_mul_u32_u24_e32 v17, 0x10001, v17
	v_pk_fma_f16 v12, v20, v14, v12
	v_pk_fma_f16 v13, v21, v14, v13
	v_mul_u32_u24_e32 v21, 0x10001, v74
	v_mul_u32_u24_e32 v18, 0x10001, v18
	;; [unrolled: 1-line block ×3, first 2 shown]
	v_pk_fma_f16 v19, v22, v15, v12
	v_pk_fma_f16 v20, v23, v15, v13
	v_mul_u32_u24_e32 v22, 0x10001, v75
	ds_load_2addr_b64 v[12:15], v71 offset0:192 offset1:224
	s_wait_dscnt 0x0
	v_pk_fma_f16 v4, v4, v21, v19
	v_pk_fma_f16 v5, v5, v21, v20
	s_barrier_signal -1
	s_barrier_wait -1
	s_delay_alu instid0(VALU_DEP_2) | instskip(NEXT) | instid1(VALU_DEP_2)
	v_pk_fma_f16 v4, v6, v22, v4
	v_pk_fma_f16 v5, v7, v22, v5
	s_load_b32 s2, s[20:21], 0x4
	v_mul_u32_u24_e32 v23, 0x10001, v77
	s_delay_alu instid0(VALU_DEP_3) | instskip(NEXT) | instid1(VALU_DEP_3)
	v_pk_fma_f16 v4, v8, v16, v4
	v_pk_fma_f16 v5, v9, v16, v5
	s_delay_alu instid0(VALU_DEP_2) | instskip(NEXT) | instid1(VALU_DEP_2)
	v_pk_fma_f16 v4, v10, v17, v4
	v_pk_fma_f16 v5, v11, v17, v5
	s_delay_alu instid0(VALU_DEP_2) | instskip(NEXT) | instid1(VALU_DEP_2)
	;; [unrolled: 3-line block ×3, first 2 shown]
	v_pk_fma_f16 v0, v2, v23, v0
	v_pk_fma_f16 v1, v3, v23, v1
	v_mul_u32_u24_e32 v2, 0x10001, v80
	s_wait_kmcnt 0x0
	s_lshl_b32 s2, s2, 6
	v_pk_fma_f16 v0, v12, v74, v0
	v_pk_fma_f16 v1, v13, v74, v1
	s_add_co_i32 s4, s2, s4
	s_delay_alu instid0(SALU_CYCLE_1) | instskip(NEXT) | instid1(VALU_DEP_2)
	s_cmp_ge_i32 s4, s30
	v_pk_fma_f16 v11, v14, v2, v0
	s_delay_alu instid0(VALU_DEP_2)
	v_pk_fma_f16 v10, v15, v2, v1
	s_cbranch_scc0 .LBB30_9
; %bb.10:
	v_dual_mov_b32 v1, 32 :: v_dual_mov_b32 v3, v51
.LBB30_11:
	s_delay_alu instid0(VALU_DEP_1)
	v_cmp_lt_i32_e32 vcc_lo, v56, v1
	s_cmp_lg_u64 s[12:13], 0
	s_cselect_b32 s2, -1, 0
	s_cmp_eq_u32 s31, 0
	v_cndmask_b32_e32 v0, v3, v56, vcc_lo
	v_cmp_lt_i32_e32 vcc_lo, v55, v1
	s_cselect_b32 s3, -1, 0
	s_delay_alu instid0(SALU_CYCLE_1) | instskip(NEXT) | instid1(VALU_DEP_2)
	s_and_b32 s2, s3, s2
	v_dual_cndmask_b32 v2, v3, v55, vcc_lo :: v_dual_lshlrev_b32 v0, 2, v0
	v_cmp_lt_i32_e32 vcc_lo, v54, v1
	s_delay_alu instid0(VALU_DEP_2)
	v_lshlrev_b32_e32 v2, 2, v2
	ds_bpermute_b32 v0, v0, v72
	v_cndmask_b32_e32 v4, v3, v54, vcc_lo
	v_cmp_lt_i32_e32 vcc_lo, v53, v1
	s_wait_dscnt 0x0
	v_add_f32_e32 v0, v72, v0
	ds_bpermute_b32 v2, v2, v0
	s_wait_dscnt 0x0
	v_dual_lshlrev_b32 v4, 2, v4 :: v_dual_add_f32 v0, v0, v2
	ds_bpermute_b32 v2, v4, v0
	v_cndmask_b32_e32 v4, v3, v53, vcc_lo
	v_cmp_lt_i32_e32 vcc_lo, v52, v1
	s_wait_dscnt 0x0
	v_dual_add_f32 v0, v0, v2 :: v_dual_cndmask_b32 v1, v3, v52
	s_delay_alu instid0(VALU_DEP_3) | instskip(SKIP_1) | instid1(VALU_DEP_2)
	v_lshlrev_b32_e32 v4, 2, v4
	s_and_b32 vcc_lo, exec_lo, s2
	v_lshlrev_b32_e32 v1, 2, v1
	ds_bpermute_b32 v2, v4, v0
	s_wait_dscnt 0x0
	v_add_f32_e32 v0, v0, v2
	ds_bpermute_b32 v1, v1, v0
	s_wait_dscnt 0x0
	v_dual_add_f32 v47, v0, v1 :: v_dual_add_nc_u32 v2, s33, v24
	s_cbranch_vccz .LBB30_13
; %bb.12:
	global_load_b32 v1, v2, s[12:13] scale_offset
	s_wait_loadcnt 0x0
	v_dual_max_num_f32 v0, v46, v46 :: v_dual_max_num_f32 v3, v1, v1
	s_delay_alu instid0(VALU_DEP_1) | instskip(NEXT) | instid1(VALU_DEP_1)
	v_max_num_f32_e32 v0, v0, v3
	v_sub_f32_e32 v1, v1, v0
	s_delay_alu instid0(VALU_DEP_1) | instskip(SKIP_1) | instid1(VALU_DEP_2)
	v_mul_f32_e32 v7, 0x3fb8aa3b, v1
	v_sub_f32_e32 v3, v46, v0
	v_rndne_f32_e32 v9, v7
	s_delay_alu instid0(VALU_DEP_2) | instskip(NEXT) | instid1(VALU_DEP_1)
	v_mul_f32_e32 v4, 0x3fb8aa3b, v3
	v_fma_f32 v5, 0x3fb8aa3b, v3, -v4
	v_rndne_f32_e32 v6, v4
	s_delay_alu instid0(VALU_DEP_1) | instskip(SKIP_2) | instid1(VALU_DEP_3)
	v_dual_sub_f32 v4, v4, v6 :: v_dual_fmac_f32 v5, 0x32a5705f, v3
	v_cvt_i32_f32_e32 v6, v6
	v_cmp_ngt_f32_e32 vcc_lo, 0xc2ce8ed0, v3
	v_add_f32_e32 v4, v4, v5
	v_fma_f32 v8, 0x3fb8aa3b, v1, -v7
	v_sub_f32_e32 v5, v7, v9
	s_delay_alu instid0(VALU_DEP_3) | instskip(NEXT) | instid1(VALU_DEP_2)
	v_exp_f32_e32 v4, v4
	v_fmac_f32_e32 v8, 0x32a5705f, v1
	s_delay_alu instid0(TRANS32_DEP_1) | instskip(SKIP_1) | instid1(VALU_DEP_2)
	v_ldexp_f32 v4, v4, v6
	v_cvt_i32_f32_e32 v6, v9
	v_cndmask_b32_e32 v4, 0, v4, vcc_lo
	v_cmp_nlt_f32_e32 vcc_lo, 0x42b17218, v3
	s_delay_alu instid0(VALU_DEP_2) | instskip(SKIP_2) | instid1(VALU_DEP_2)
	v_cndmask_b32_e32 v3, 0x7f800000, v4, vcc_lo
	v_add_f32_e32 v5, v5, v8
	v_cmp_ngt_f32_e32 vcc_lo, 0xc2ce8ed0, v1
	v_exp_f32_e32 v5, v5
	v_nop
	s_delay_alu instid0(TRANS32_DEP_1) | instskip(SKIP_1) | instid1(VALU_DEP_2)
	v_ldexp_f32 v4, v5, v6
	v_cvt_f16_f32_e32 v5, v3
	v_cndmask_b32_e32 v4, 0, v4, vcc_lo
	v_cmp_nlt_f32_e32 vcc_lo, 0x42b17218, v1
	s_delay_alu instid0(VALU_DEP_3) | instskip(NEXT) | instid1(VALU_DEP_3)
	v_and_b32_e32 v5, 0xffff, v5
	v_cndmask_b32_e32 v1, 0x7f800000, v4, vcc_lo
	s_delay_alu instid0(VALU_DEP_2) | instskip(NEXT) | instid1(VALU_DEP_2)
	v_mul_u32_u24_e32 v4, 0x10001, v5
	v_fmac_f32_e32 v1, v47, v3
	s_delay_alu instid0(VALU_DEP_2) | instskip(SKIP_1) | instid1(VALU_DEP_3)
	v_pk_mul_f16 v11, v11, v4
	v_pk_mul_f16 v10, v10, v4
	v_mov_b64_e32 v[46:47], v[0:1]
	s_branch .LBB30_14
.LBB30_13:
	s_delay_alu instid0(VALU_DEP_1)
	v_mov_b32_e32 v1, v47
.LBB30_14:
	s_delay_alu instid0(VALU_DEP_1) | instskip(SKIP_2) | instid1(VALU_DEP_3)
	v_div_scale_f32 v0, null, v1, v1, 1.0
	v_div_scale_f32 v5, vcc_lo, 1.0, v1, 1.0
	v_mad_u32 v6, s28, s22, v49
	v_rcp_f32_e32 v4, v0
	s_load_b32 s0, s[0:1], 0xd4
	v_nop
	s_delay_alu instid0(TRANS32_DEP_1) | instskip(NEXT) | instid1(VALU_DEP_3)
	v_fma_f32 v3, -v0, v4, 1.0
	v_mad_u32 v2, v6, s23, v2
	v_cvt_f32_f16_e32 v6, v10
	s_delay_alu instid0(VALU_DEP_3) | instskip(NEXT) | instid1(VALU_DEP_1)
	v_fmac_f32_e32 v4, v3, v4
	v_mul_f32_e32 v7, v5, v4
	s_wait_kmcnt 0x0
	s_cmp_lg_u32 s0, 1
	s_delay_alu instid0(VALU_DEP_1) | instskip(NEXT) | instid1(VALU_DEP_1)
	v_fma_f32 v3, -v0, v7, v5
	v_dual_fmac_f32 v7, v3, v4 :: v_dual_mov_b32 v3, 0
	s_delay_alu instid0(VALU_DEP_1) | instskip(SKIP_2) | instid1(VALU_DEP_2)
	v_fma_f32 v5, -v0, v7, v5
	v_mad_u32 v0, s0, v2, s31
	s_cselect_b32 s0, -1, 0
	v_div_fmas_f32 v2, v5, v4, v7
	v_dual_lshrrev_b32 v5, 16, v11 :: v_dual_lshrrev_b32 v7, 16, v10
	v_cvt_f32_f16_e32 v4, v11
	v_cmp_eq_u32_e32 vcc_lo, 0, v48
	s_delay_alu instid0(VALU_DEP_4) | instskip(NEXT) | instid1(VALU_DEP_4)
	v_div_fixup_f32 v1, v2, v1, 1.0
	v_cvt_f32_f16_e32 v5, v5
	v_lshl_add_u32 v2, v0, 7, v25
	v_cvt_f32_f16_e32 v7, v7
	s_delay_alu instid0(VALU_DEP_4) | instskip(SKIP_1) | instid1(VALU_DEP_3)
	v_cndmask_b32_e64 v8, v1, 1.0, s0
	s_and_b32 s0, vcc_lo, s0
	v_lshl_add_u64 v[10:11], v[2:3], 2, s[16:17]
	s_delay_alu instid0(VALU_DEP_2)
	v_pk_mul_f32 v[2:3], v[8:9], v[4:5] op_sel_hi:[0,1]
	v_pk_mul_f32 v[4:5], v[8:9], v[6:7] op_sel_hi:[0,1]
	global_store_b128 v[10:11], v[2:5], off
	s_wait_xcnt 0x0
	s_and_saveexec_b32 s1, s0
	s_cbranch_execz .LBB30_16
; %bb.15:
	global_store_b64 v0, v[46:47], s[18:19] scale_offset
.LBB30_16:
	s_sendmsg sendmsg(MSG_DEALLOC_VGPRS)
	s_endpgm
	.section	.rodata,"a",@progbits
	.p2align	6, 0x0
	.amdhsa_kernel _ZL15flash_attn_tileILi128ELi128ELi1ELi4ELb0EEvPKcS1_S1_S1_S1_PKiPfP15HIP_vector_typeIfLj2EEffffjfiS5_IjLj3EEiiiiiiiiiiiliiliiiiil
		.amdhsa_group_segment_fixed_size 10752
		.amdhsa_private_segment_fixed_size 0
		.amdhsa_kernarg_size 464
		.amdhsa_user_sgpr_count 2
		.amdhsa_user_sgpr_dispatch_ptr 0
		.amdhsa_user_sgpr_queue_ptr 0
		.amdhsa_user_sgpr_kernarg_segment_ptr 1
		.amdhsa_user_sgpr_dispatch_id 0
		.amdhsa_user_sgpr_kernarg_preload_length 0
		.amdhsa_user_sgpr_kernarg_preload_offset 0
		.amdhsa_user_sgpr_private_segment_size 0
		.amdhsa_wavefront_size32 1
		.amdhsa_uses_dynamic_stack 0
		.amdhsa_enable_private_segment 0
		.amdhsa_system_sgpr_workgroup_id_x 1
		.amdhsa_system_sgpr_workgroup_id_y 1
		.amdhsa_system_sgpr_workgroup_id_z 1
		.amdhsa_system_sgpr_workgroup_info 0
		.amdhsa_system_vgpr_workitem_id 1
		.amdhsa_next_free_vgpr 88
		.amdhsa_next_free_sgpr 43
		.amdhsa_named_barrier_count 0
		.amdhsa_reserve_vcc 1
		.amdhsa_float_round_mode_32 0
		.amdhsa_float_round_mode_16_64 0
		.amdhsa_float_denorm_mode_32 3
		.amdhsa_float_denorm_mode_16_64 3
		.amdhsa_fp16_overflow 0
		.amdhsa_memory_ordered 1
		.amdhsa_forward_progress 1
		.amdhsa_inst_pref_size 55
		.amdhsa_round_robin_scheduling 0
		.amdhsa_exception_fp_ieee_invalid_op 0
		.amdhsa_exception_fp_denorm_src 0
		.amdhsa_exception_fp_ieee_div_zero 0
		.amdhsa_exception_fp_ieee_overflow 0
		.amdhsa_exception_fp_ieee_underflow 0
		.amdhsa_exception_fp_ieee_inexact 0
		.amdhsa_exception_int_div_zero 0
	.end_amdhsa_kernel
	.section	.text._ZL15flash_attn_tileILi128ELi128ELi1ELi4ELb0EEvPKcS1_S1_S1_S1_PKiPfP15HIP_vector_typeIfLj2EEffffjfiS5_IjLj3EEiiiiiiiiiiiliiliiiiil,"axG",@progbits,_ZL15flash_attn_tileILi128ELi128ELi1ELi4ELb0EEvPKcS1_S1_S1_S1_PKiPfP15HIP_vector_typeIfLj2EEffffjfiS5_IjLj3EEiiiiiiiiiiiliiliiiiil,comdat
.Lfunc_end30:
	.size	_ZL15flash_attn_tileILi128ELi128ELi1ELi4ELb0EEvPKcS1_S1_S1_S1_PKiPfP15HIP_vector_typeIfLj2EEffffjfiS5_IjLj3EEiiiiiiiiiiiliiliiiiil, .Lfunc_end30-_ZL15flash_attn_tileILi128ELi128ELi1ELi4ELb0EEvPKcS1_S1_S1_S1_PKiPfP15HIP_vector_typeIfLj2EEffffjfiS5_IjLj3EEiiiiiiiiiiiliiliiiiil
                                        ; -- End function
	.set _ZL15flash_attn_tileILi128ELi128ELi1ELi4ELb0EEvPKcS1_S1_S1_S1_PKiPfP15HIP_vector_typeIfLj2EEffffjfiS5_IjLj3EEiiiiiiiiiiiliiliiiiil.num_vgpr, 88
	.set _ZL15flash_attn_tileILi128ELi128ELi1ELi4ELb0EEvPKcS1_S1_S1_S1_PKiPfP15HIP_vector_typeIfLj2EEffffjfiS5_IjLj3EEiiiiiiiiiiiliiliiiiil.num_agpr, 0
	.set _ZL15flash_attn_tileILi128ELi128ELi1ELi4ELb0EEvPKcS1_S1_S1_S1_PKiPfP15HIP_vector_typeIfLj2EEffffjfiS5_IjLj3EEiiiiiiiiiiiliiliiiiil.numbered_sgpr, 43
	.set _ZL15flash_attn_tileILi128ELi128ELi1ELi4ELb0EEvPKcS1_S1_S1_S1_PKiPfP15HIP_vector_typeIfLj2EEffffjfiS5_IjLj3EEiiiiiiiiiiiliiliiiiil.num_named_barrier, 0
	.set _ZL15flash_attn_tileILi128ELi128ELi1ELi4ELb0EEvPKcS1_S1_S1_S1_PKiPfP15HIP_vector_typeIfLj2EEffffjfiS5_IjLj3EEiiiiiiiiiiiliiliiiiil.private_seg_size, 0
	.set _ZL15flash_attn_tileILi128ELi128ELi1ELi4ELb0EEvPKcS1_S1_S1_S1_PKiPfP15HIP_vector_typeIfLj2EEffffjfiS5_IjLj3EEiiiiiiiiiiiliiliiiiil.uses_vcc, 1
	.set _ZL15flash_attn_tileILi128ELi128ELi1ELi4ELb0EEvPKcS1_S1_S1_S1_PKiPfP15HIP_vector_typeIfLj2EEffffjfiS5_IjLj3EEiiiiiiiiiiiliiliiiiil.uses_flat_scratch, 0
	.set _ZL15flash_attn_tileILi128ELi128ELi1ELi4ELb0EEvPKcS1_S1_S1_S1_PKiPfP15HIP_vector_typeIfLj2EEffffjfiS5_IjLj3EEiiiiiiiiiiiliiliiiiil.has_dyn_sized_stack, 0
	.set _ZL15flash_attn_tileILi128ELi128ELi1ELi4ELb0EEvPKcS1_S1_S1_S1_PKiPfP15HIP_vector_typeIfLj2EEffffjfiS5_IjLj3EEiiiiiiiiiiiliiliiiiil.has_recursion, 0
	.set _ZL15flash_attn_tileILi128ELi128ELi1ELi4ELb0EEvPKcS1_S1_S1_S1_PKiPfP15HIP_vector_typeIfLj2EEffffjfiS5_IjLj3EEiiiiiiiiiiiliiliiiiil.has_indirect_call, 0
	.section	.AMDGPU.csdata,"",@progbits
; Kernel info:
; codeLenInByte = 7024
; TotalNumSgprs: 45
; NumVgprs: 88
; ScratchSize: 0
; MemoryBound: 0
; FloatMode: 240
; IeeeMode: 1
; LDSByteSize: 10752 bytes/workgroup (compile time only)
; SGPRBlocks: 0
; VGPRBlocks: 5
; NumSGPRsForWavesPerEU: 45
; NumVGPRsForWavesPerEU: 88
; NamedBarCnt: 0
; Occupancy: 10
; WaveLimiterHint : 1
; COMPUTE_PGM_RSRC2:SCRATCH_EN: 0
; COMPUTE_PGM_RSRC2:USER_SGPR: 2
; COMPUTE_PGM_RSRC2:TRAP_HANDLER: 0
; COMPUTE_PGM_RSRC2:TGID_X_EN: 1
; COMPUTE_PGM_RSRC2:TGID_Y_EN: 1
; COMPUTE_PGM_RSRC2:TGID_Z_EN: 1
; COMPUTE_PGM_RSRC2:TIDIG_COMP_CNT: 1
	.section	.text._ZL33flash_attn_stream_k_fixup_uniformILi128ELi1ELi4EEvPfPK15HIP_vector_typeIfLj2EEiiiiiiS1_IjLj3EES5_S5_,"axG",@progbits,_ZL33flash_attn_stream_k_fixup_uniformILi128ELi1ELi4EEvPfPK15HIP_vector_typeIfLj2EEiiiiiiS1_IjLj3EES5_S5_,comdat
	.globl	_ZL33flash_attn_stream_k_fixup_uniformILi128ELi1ELi4EEvPfPK15HIP_vector_typeIfLj2EEiiiiiiS1_IjLj3EES5_S5_ ; -- Begin function _ZL33flash_attn_stream_k_fixup_uniformILi128ELi1ELi4EEvPfPK15HIP_vector_typeIfLj2EEiiiiiiS1_IjLj3EES5_S5_
	.p2align	8
	.type	_ZL33flash_attn_stream_k_fixup_uniformILi128ELi1ELi4EEvPfPK15HIP_vector_typeIfLj2EEiiiiiiS1_IjLj3EES5_S5_,@function
_ZL33flash_attn_stream_k_fixup_uniformILi128ELi1ELi4EEvPfPK15HIP_vector_typeIfLj2EEiiiiiiS1_IjLj3EES5_S5_: ; @_ZL33flash_attn_stream_k_fixup_uniformILi128ELi1ELi4EEvPfPK15HIP_vector_typeIfLj2EEiiiiiiS1_IjLj3EES5_S5_
; %bb.0:
	s_load_b256 s[4:11], s[0:1], 0x1c
	s_bfe_u32 s2, ttmp6, 0x40014
	s_lshr_b32 s3, ttmp7, 16
	s_add_co_i32 s2, s2, 1
	s_bfe_u32 s13, ttmp6, 0x40010
	s_mul_i32 s2, s3, s2
	s_bfe_u32 s12, ttmp6, 0x40008
	s_and_b32 s15, ttmp7, 0xffff
	s_add_co_i32 s13, s13, 1
	s_bfe_u32 s14, ttmp6, 0x4000c
	s_add_co_i32 s12, s12, s2
	s_mul_i32 s2, s15, s13
	s_bfe_u32 s13, ttmp6, 0x40004
	s_add_co_i32 s14, s14, 1
	s_add_co_i32 s13, s13, s2
	s_and_b32 s2, ttmp6, 15
	s_mul_i32 s14, ttmp9, s14
	s_getreg_b32 s20, hwreg(HW_REG_IB_STS2, 6, 4)
	s_add_co_i32 s2, s2, s14
	s_load_b128 s[16:19], s[0:1], 0x3c
	s_cmp_eq_u32 s20, 0
	s_cselect_b32 s14, ttmp9, s2
	s_cselect_b32 s13, s15, s13
	s_wait_kmcnt 0x0
	s_mul_hi_u32 s2, s7, s14
	s_cselect_b32 s12, s3, s12
	s_add_co_i32 s2, s14, s2
	s_delay_alu instid0(SALU_CYCLE_1) | instskip(NEXT) | instid1(SALU_CYCLE_1)
	s_lshr_b32 s7, s2, s8
	s_mul_i32 s2, s7, s9
	s_delay_alu instid0(SALU_CYCLE_1) | instskip(SKIP_2) | instid1(SALU_CYCLE_1)
	s_sub_co_i32 s8, s14, s2
	s_load_b64 s[2:3], s[0:1], 0x10
	s_mul_hi_u32 s9, s8, s10
	s_add_co_i32 s9, s8, s9
	s_delay_alu instid0(SALU_CYCLE_1) | instskip(NEXT) | instid1(SALU_CYCLE_1)
	s_lshr_b32 s15, s9, s11
	s_mul_i32 s9, s15, s16
	s_delay_alu instid0(SALU_CYCLE_1) | instskip(NEXT) | instid1(SALU_CYCLE_1)
	s_sub_co_i32 s8, s8, s9
	s_mul_hi_u32 s9, s8, s17
	s_delay_alu instid0(SALU_CYCLE_1) | instskip(NEXT) | instid1(SALU_CYCLE_1)
	s_add_co_i32 s9, s8, s9
	s_lshr_b32 s9, s9, s18
	s_delay_alu instid0(SALU_CYCLE_1) | instskip(SKIP_2) | instid1(SALU_CYCLE_1)
	s_mul_i32 s10, s9, s19
	s_lshl_b32 s17, s9, 2
	s_sub_co_i32 s16, s8, s10
	s_add_co_i32 s16, s16, s13
	s_wait_kmcnt 0x0
	s_cmp_lt_i32 s16, s2
	s_cselect_b32 s8, -1, 0
	s_add_co_i32 s17, s17, s12
	s_delay_alu instid0(SALU_CYCLE_1) | instskip(SKIP_1) | instid1(SALU_CYCLE_1)
	s_cmp_lt_i32 s17, s5
	s_cselect_b32 s9, -1, 0
	s_and_b32 s8, s8, s9
	s_delay_alu instid0(SALU_CYCLE_1)
	s_and_not1_b32 vcc_lo, exec_lo, s8
	s_cbranch_vccnz .LBB31_6
; %bb.1:
	s_load_b128 s[8:11], s[0:1], 0x0
	s_mul_i32 s7, s7, s2
	s_mul_i32 s15, s15, s5
	s_wait_xcnt 0x0
	s_add_co_i32 s0, s16, s7
	s_add_co_i32 s1, s17, s15
	s_mul_i32 s0, s0, s3
	s_mul_i32 s7, s6, s14
	s_add_co_i32 s1, s1, s0
	s_add_co_i32 s5, s7, s6
	v_lshl_or_b32 v4, s1, 7, v0
	s_add_co_i32 s0, s13, s5
	s_add_co_i32 s2, s5, -2
	s_lshl_b32 s0, s0, 2
	s_delay_alu instid0(SALU_CYCLE_1) | instskip(SKIP_2) | instid1(SALU_CYCLE_1)
	s_add_co_i32 s0, s0, s12
	v_ashrrev_i32_e32 v5, 31, v4
	s_add_co_i32 s0, s0, -4
	s_ashr_i32 s1, s0, 31
	s_delay_alu instid0(SALU_CYCLE_1)
	s_lshl_b64 s[0:1], s[0:1], 3
	s_wait_kmcnt 0x0
	global_load_b32 v3, v4, s[8:9] scale_offset
	s_add_nc_u64 s[0:1], s[10:11], s[0:1]
	s_cmp_lt_i32 s2, s7
	s_load_b32 s15, s[0:1], 0x4
	s_cbranch_scc1 .LBB31_4
; %bb.2:
	s_wait_xcnt 0x0
	s_load_b32 s0, s[0:1], 0x0
	s_add_co_i32 s14, s14, 1
	s_wait_xcnt 0x0
	s_lshl_b32 s1, s12, 7
	s_mul_i32 s3, s6, s14
	s_lshl_b32 s6, s13, 9
	s_lshl_b32 s14, s3, 9
	s_add_co_i32 s1, s1, s6
	s_lshl_b32 s2, s4, 4
	s_add_co_i32 s1, s1, s14
	s_add_co_i32 s4, s13, s4
	s_wait_kmcnt 0x0
	v_dual_mov_b32 v2, s15 :: v_dual_bitop2_b32 v0, s1, v0 bitop3:0x54
	s_add_co_i32 s4, s4, s5
	s_ashr_i32 s3, s2, 31
	s_lshl_b32 s1, s4, 2
	s_delay_alu instid0(VALU_DEP_1)
	v_add_nc_u32_e32 v0, 0xfffffc00, v0
	s_lshl_b64 s[2:3], s[2:3], 2
	s_add_co_i32 s4, s12, s1
	s_add_nc_u64 s[2:3], s[10:11], s[2:3]
	s_add_co_i32 s1, s5, -1
	s_add_co_i32 s4, s4, -8
.LBB31_3:                               ; =>This Inner Loop Header: Depth=1
	global_load_b32 v7, v0, s[2:3] scale_offset
	s_ashr_i32 s5, s4, 31
	v_max_num_f32_e64 v1, s0, s0
	s_lshl_b64 s[12:13], s[4:5], 3
	s_delay_alu instid0(SALU_CYCLE_1) | instskip(SKIP_1) | instid1(VALU_DEP_1)
	s_add_nc_u64 s[12:13], s[10:11], s[12:13]
	s_load_b64 s[12:13], s[12:13], 0x0
	v_readfirstlane_b32 s5, v1
	v_add_nc_u32_e32 v0, 0xfffffe00, v0
	s_wait_kmcnt 0x0
	v_max_num_f32_e64 v1, s12, s12
	s_delay_alu instid0(VALU_DEP_1) | instskip(SKIP_1) | instid1(SALU_CYCLE_3)
	v_readfirstlane_b32 s6, v1
	s_max_num_f32 s5, s5, s6
	s_sub_f32 s0, s0, s5
	s_sub_f32 s6, s12, s5
	s_delay_alu instid0(SALU_CYCLE_2) | instskip(NEXT) | instid1(SALU_CYCLE_2)
	s_mul_f32 s12, s0, 0x3fb8aa3b
	s_mul_f32 s14, s6, 0x3fb8aa3b
	s_delay_alu instid0(SALU_CYCLE_2)
	s_xor_b32 s15, s12, 0x80000000
	s_rndne_f32 s16, s12
	s_fmamk_f32 s15, s0, 0x3fb8aa3b, s15
	s_cmp_nlt_f32 s0, 0xc2ce8ed0
	s_rndne_f32 s17, s14
	s_sub_f32 s12, s12, s16
	s_fmamk_f32 s15, s0, 0x32a5705f, s15
	s_cselect_b32 vcc_lo, -1, 0
	s_cmp_ngt_f32 s0, 0x42b17218
	s_delay_alu instid0(SALU_CYCLE_1) | instskip(SKIP_2) | instid1(SALU_CYCLE_1)
	s_add_f32 s12, s12, s15
	s_cvt_i32_f32 s15, s16
	s_sub_f32 s16, s14, s17
	v_s_exp_f32 s12, s12
	v_nop
	s_delay_alu instid0(TRANS32_DEP_1) | instskip(SKIP_1) | instid1(VALU_DEP_1)
	v_ldexp_f32 v1, s12, s15
	s_cvt_i32_f32 s12, s17
	v_cndmask_b32_e32 v1, 0, v1, vcc_lo
	s_cselect_b32 vcc_lo, -1, 0
	s_cmp_ge_f32 s0, 0xc1a00000
	s_delay_alu instid0(VALU_DEP_1)
	v_cndmask_b32_e32 v1, 0x7f800000, v1, vcc_lo
	s_cselect_b32 vcc_lo, -1, 0
	s_xor_b32 s0, s14, 0x80000000
	s_cmp_nlt_f32 s6, 0xc2ce8ed0
	s_fmamk_f32 s0, s6, 0x3fb8aa3b, s0
	v_cndmask_b32_e32 v10, 0, v1, vcc_lo
	s_delay_alu instid0(SALU_CYCLE_2) | instskip(NEXT) | instid1(SALU_CYCLE_3)
	s_fmamk_f32 s0, s6, 0x32a5705f, s0
	s_add_f32 s0, s16, s0
	s_delay_alu instid0(SALU_CYCLE_3) | instskip(SKIP_1) | instid1(TRANS32_DEP_1)
	v_s_exp_f32 s0, s0
	v_nop
	v_ldexp_f32 v6, s0, s12
	s_cselect_b32 s0, -1, 0
	s_cmp_ngt_f32 s6, 0x42b17218
	s_delay_alu instid0(VALU_DEP_1) | instskip(SKIP_2) | instid1(VALU_DEP_1)
	v_cndmask_b32_e64 v6, 0, v6, s0
	s_cselect_b32 s0, -1, 0
	s_cmp_ge_f32 s6, 0xc1a00000
	v_cndmask_b32_e64 v8, 0x7f800000, v6, s0
	s_cselect_b32 s0, -1, 0
	v_mov_b32_e32 v6, s13
	s_add_co_i32 s1, s1, -1
	s_add_co_i32 s4, s4, -4
	v_cndmask_b32_e64 v8, 0, v8, s0
	s_cmp_le_i32 s1, s7
	s_mov_b32 s0, s5
	s_wait_loadcnt 0x0
	s_delay_alu instid0(VALU_DEP_1) | instskip(NEXT) | instid1(VALU_DEP_1)
	v_pk_mul_f32 v[6:7], v[6:7], v[8:9] op_sel_hi:[1,0]
	v_pk_fma_f32 v[2:3], v[2:3], v[10:11], v[6:7] op_sel_hi:[1,0,1]
	s_cbranch_scc0 .LBB31_3
	s_branch .LBB31_5
.LBB31_4:
	s_wait_kmcnt 0x0
	v_mov_b32_e32 v2, s15
.LBB31_5:
	v_lshl_add_u64 v[0:1], v[4:5], 2, s[8:9]
	s_wait_loadcnt 0x0
	s_delay_alu instid0(VALU_DEP_2) | instskip(NEXT) | instid1(VALU_DEP_1)
	v_div_scale_f32 v4, null, v2, v2, v3
	v_rcp_f32_e32 v5, v4
	v_nop
	s_delay_alu instid0(TRANS32_DEP_1) | instskip(NEXT) | instid1(VALU_DEP_1)
	v_fma_f32 v6, -v4, v5, 1.0
	v_fmac_f32_e32 v5, v6, v5
	v_div_scale_f32 v6, vcc_lo, v3, v2, v3
	s_delay_alu instid0(VALU_DEP_1) | instskip(NEXT) | instid1(VALU_DEP_1)
	v_mul_f32_e32 v7, v6, v5
	v_fma_f32 v8, -v4, v7, v6
	s_delay_alu instid0(VALU_DEP_1) | instskip(NEXT) | instid1(VALU_DEP_1)
	v_fmac_f32_e32 v7, v8, v5
	v_fma_f32 v4, -v4, v7, v6
	s_delay_alu instid0(VALU_DEP_1) | instskip(NEXT) | instid1(VALU_DEP_1)
	v_div_fmas_f32 v4, v4, v5, v7
	v_div_fixup_f32 v2, v4, v2, v3
	global_store_b32 v[0:1], v2, off
.LBB31_6:
	s_endpgm
	.section	.rodata,"a",@progbits
	.p2align	6, 0x0
	.amdhsa_kernel _ZL33flash_attn_stream_k_fixup_uniformILi128ELi1ELi4EEvPfPK15HIP_vector_typeIfLj2EEiiiiiiS1_IjLj3EES5_S5_
		.amdhsa_group_segment_fixed_size 0
		.amdhsa_private_segment_fixed_size 0
		.amdhsa_kernarg_size 76
		.amdhsa_user_sgpr_count 2
		.amdhsa_user_sgpr_dispatch_ptr 0
		.amdhsa_user_sgpr_queue_ptr 0
		.amdhsa_user_sgpr_kernarg_segment_ptr 1
		.amdhsa_user_sgpr_dispatch_id 0
		.amdhsa_user_sgpr_kernarg_preload_length 0
		.amdhsa_user_sgpr_kernarg_preload_offset 0
		.amdhsa_user_sgpr_private_segment_size 0
		.amdhsa_wavefront_size32 1
		.amdhsa_uses_dynamic_stack 0
		.amdhsa_enable_private_segment 0
		.amdhsa_system_sgpr_workgroup_id_x 1
		.amdhsa_system_sgpr_workgroup_id_y 1
		.amdhsa_system_sgpr_workgroup_id_z 1
		.amdhsa_system_sgpr_workgroup_info 0
		.amdhsa_system_vgpr_workitem_id 0
		.amdhsa_next_free_vgpr 12
		.amdhsa_next_free_sgpr 21
		.amdhsa_named_barrier_count 0
		.amdhsa_reserve_vcc 1
		.amdhsa_float_round_mode_32 0
		.amdhsa_float_round_mode_16_64 0
		.amdhsa_float_denorm_mode_32 3
		.amdhsa_float_denorm_mode_16_64 3
		.amdhsa_fp16_overflow 0
		.amdhsa_memory_ordered 1
		.amdhsa_forward_progress 1
		.amdhsa_inst_pref_size 9
		.amdhsa_round_robin_scheduling 0
		.amdhsa_exception_fp_ieee_invalid_op 0
		.amdhsa_exception_fp_denorm_src 0
		.amdhsa_exception_fp_ieee_div_zero 0
		.amdhsa_exception_fp_ieee_overflow 0
		.amdhsa_exception_fp_ieee_underflow 0
		.amdhsa_exception_fp_ieee_inexact 0
		.amdhsa_exception_int_div_zero 0
	.end_amdhsa_kernel
	.section	.text._ZL33flash_attn_stream_k_fixup_uniformILi128ELi1ELi4EEvPfPK15HIP_vector_typeIfLj2EEiiiiiiS1_IjLj3EES5_S5_,"axG",@progbits,_ZL33flash_attn_stream_k_fixup_uniformILi128ELi1ELi4EEvPfPK15HIP_vector_typeIfLj2EEiiiiiiS1_IjLj3EES5_S5_,comdat
.Lfunc_end31:
	.size	_ZL33flash_attn_stream_k_fixup_uniformILi128ELi1ELi4EEvPfPK15HIP_vector_typeIfLj2EEiiiiiiS1_IjLj3EES5_S5_, .Lfunc_end31-_ZL33flash_attn_stream_k_fixup_uniformILi128ELi1ELi4EEvPfPK15HIP_vector_typeIfLj2EEiiiiiiS1_IjLj3EES5_S5_
                                        ; -- End function
	.set _ZL33flash_attn_stream_k_fixup_uniformILi128ELi1ELi4EEvPfPK15HIP_vector_typeIfLj2EEiiiiiiS1_IjLj3EES5_S5_.num_vgpr, 12
	.set _ZL33flash_attn_stream_k_fixup_uniformILi128ELi1ELi4EEvPfPK15HIP_vector_typeIfLj2EEiiiiiiS1_IjLj3EES5_S5_.num_agpr, 0
	.set _ZL33flash_attn_stream_k_fixup_uniformILi128ELi1ELi4EEvPfPK15HIP_vector_typeIfLj2EEiiiiiiS1_IjLj3EES5_S5_.numbered_sgpr, 21
	.set _ZL33flash_attn_stream_k_fixup_uniformILi128ELi1ELi4EEvPfPK15HIP_vector_typeIfLj2EEiiiiiiS1_IjLj3EES5_S5_.num_named_barrier, 0
	.set _ZL33flash_attn_stream_k_fixup_uniformILi128ELi1ELi4EEvPfPK15HIP_vector_typeIfLj2EEiiiiiiS1_IjLj3EES5_S5_.private_seg_size, 0
	.set _ZL33flash_attn_stream_k_fixup_uniformILi128ELi1ELi4EEvPfPK15HIP_vector_typeIfLj2EEiiiiiiS1_IjLj3EES5_S5_.uses_vcc, 1
	.set _ZL33flash_attn_stream_k_fixup_uniformILi128ELi1ELi4EEvPfPK15HIP_vector_typeIfLj2EEiiiiiiS1_IjLj3EES5_S5_.uses_flat_scratch, 0
	.set _ZL33flash_attn_stream_k_fixup_uniformILi128ELi1ELi4EEvPfPK15HIP_vector_typeIfLj2EEiiiiiiS1_IjLj3EES5_S5_.has_dyn_sized_stack, 0
	.set _ZL33flash_attn_stream_k_fixup_uniformILi128ELi1ELi4EEvPfPK15HIP_vector_typeIfLj2EEiiiiiiS1_IjLj3EES5_S5_.has_recursion, 0
	.set _ZL33flash_attn_stream_k_fixup_uniformILi128ELi1ELi4EEvPfPK15HIP_vector_typeIfLj2EEiiiiiiS1_IjLj3EES5_S5_.has_indirect_call, 0
	.section	.AMDGPU.csdata,"",@progbits
; Kernel info:
; codeLenInByte = 1072
; TotalNumSgprs: 23
; NumVgprs: 12
; ScratchSize: 0
; MemoryBound: 0
; FloatMode: 240
; IeeeMode: 1
; LDSByteSize: 0 bytes/workgroup (compile time only)
; SGPRBlocks: 0
; VGPRBlocks: 0
; NumSGPRsForWavesPerEU: 23
; NumVGPRsForWavesPerEU: 12
; NamedBarCnt: 0
; Occupancy: 16
; WaveLimiterHint : 0
; COMPUTE_PGM_RSRC2:SCRATCH_EN: 0
; COMPUTE_PGM_RSRC2:USER_SGPR: 2
; COMPUTE_PGM_RSRC2:TRAP_HANDLER: 0
; COMPUTE_PGM_RSRC2:TGID_X_EN: 1
; COMPUTE_PGM_RSRC2:TGID_Y_EN: 1
; COMPUTE_PGM_RSRC2:TGID_Z_EN: 1
; COMPUTE_PGM_RSRC2:TIDIG_COMP_CNT: 0
	.section	.text._ZL33flash_attn_stream_k_fixup_generalILi128ELi1ELi4EEvPfPK15HIP_vector_typeIfLj2EEiiiiS1_IjLj3EES5_S5_S5_,"axG",@progbits,_ZL33flash_attn_stream_k_fixup_generalILi128ELi1ELi4EEvPfPK15HIP_vector_typeIfLj2EEiiiiS1_IjLj3EES5_S5_S5_,comdat
	.globl	_ZL33flash_attn_stream_k_fixup_generalILi128ELi1ELi4EEvPfPK15HIP_vector_typeIfLj2EEiiiiS1_IjLj3EES5_S5_S5_ ; -- Begin function _ZL33flash_attn_stream_k_fixup_generalILi128ELi1ELi4EEvPfPK15HIP_vector_typeIfLj2EEiiiiS1_IjLj3EES5_S5_S5_
	.p2align	8
	.type	_ZL33flash_attn_stream_k_fixup_generalILi128ELi1ELi4EEvPfPK15HIP_vector_typeIfLj2EEiiiiS1_IjLj3EES5_S5_S5_,@function
_ZL33flash_attn_stream_k_fixup_generalILi128ELi1ELi4EEvPfPK15HIP_vector_typeIfLj2EEiiiiS1_IjLj3EES5_S5_S5_: ; @_ZL33flash_attn_stream_k_fixup_generalILi128ELi1ELi4EEvPfPK15HIP_vector_typeIfLj2EEiiiiS1_IjLj3EES5_S5_S5_
; %bb.0:
	s_clause 0x1
	s_load_b128 s[4:7], s[0:1], 0x10
	s_load_b32 s16, s[0:1], 0x50
	s_bfe_u32 s2, ttmp6, 0x4000c
	s_and_b32 s3, ttmp6, 15
	s_add_co_i32 s2, s2, 1
	s_getreg_b32 s15, hwreg(HW_REG_IB_STS2, 6, 4)
	s_mul_i32 s2, ttmp9, s2
	s_mov_b32 s17, 0
	s_add_co_i32 s3, s3, s2
	s_cmp_eq_u32 s15, 0
	s_cselect_b32 s2, ttmp9, s3
	s_delay_alu instid0(SALU_CYCLE_1) | instskip(SKIP_3) | instid1(SALU_CYCLE_1)
	s_ashr_i32 s3, s2, 31
	s_wait_kmcnt 0x0
	s_ashr_i32 s19, s7, 31
	s_mov_b32 s18, s7
	s_mul_u64 s[8:9], s[18:19], s[2:3]
	s_delay_alu instid0(SALU_CYCLE_1) | instskip(NEXT) | instid1(SALU_CYCLE_1)
	s_and_b64 s[10:11], s[8:9], 0xffffffff00000000
	s_cmp_lg_u64 s[10:11], 0
	s_cbranch_scc0 .LBB32_21
; %bb.1:
	s_add_nc_u64 s[10:11], s[16:17], 0
	s_mov_b32 s23, s17
	s_xor_b64 s[10:11], s[10:11], 0
	s_mov_b32 s27, s17
	s_cvt_f32_u32 s3, s10
	s_cvt_f32_u32 s7, s11
	s_sub_nc_u64 s[20:21], 0, s[10:11]
	s_delay_alu instid0(SALU_CYCLE_2) | instskip(NEXT) | instid1(SALU_CYCLE_3)
	s_fmamk_f32 s3, s7, 0x4f800000, s3
	v_s_rcp_f32 s3, s3
	s_delay_alu instid0(TRANS32_DEP_1) | instskip(NEXT) | instid1(SALU_CYCLE_3)
	s_mul_f32 s3, s3, 0x5f7ffffc
	s_mul_f32 s7, s3, 0x2f800000
	s_delay_alu instid0(SALU_CYCLE_3) | instskip(NEXT) | instid1(SALU_CYCLE_3)
	s_trunc_f32 s7, s7
	s_fmamk_f32 s3, s7, 0xcf800000, s3
	s_cvt_u32_f32 s13, s7
	s_delay_alu instid0(SALU_CYCLE_2) | instskip(NEXT) | instid1(SALU_CYCLE_3)
	s_cvt_u32_f32 s12, s3
	s_mul_u64 s[24:25], s[20:21], s[12:13]
	s_delay_alu instid0(SALU_CYCLE_1)
	s_mul_hi_u32 s29, s12, s25
	s_mul_i32 s28, s12, s25
	s_mul_hi_u32 s22, s12, s24
	s_mul_i32 s7, s13, s24
	s_add_nc_u64 s[22:23], s[22:23], s[28:29]
	s_mul_hi_u32 s3, s13, s24
	s_mul_hi_u32 s14, s13, s25
	s_add_co_u32 s7, s22, s7
	s_add_co_ci_u32 s26, s23, s3
	s_mul_i32 s24, s13, s25
	s_add_co_ci_u32 s25, s14, 0
	s_delay_alu instid0(SALU_CYCLE_1) | instskip(SKIP_3) | instid1(SALU_CYCLE_1)
	s_add_nc_u64 s[22:23], s[26:27], s[24:25]
	s_mov_b32 s25, s17
	s_add_co_u32 s12, s12, s22
	s_cselect_b32 s3, -1, 0
	s_cmp_lg_u32 s3, 0
	s_add_co_ci_u32 s13, s13, s23
	s_mov_b32 s23, s17
	s_mul_u64 s[20:21], s[20:21], s[12:13]
	s_delay_alu instid0(SALU_CYCLE_1)
	s_mul_hi_u32 s27, s12, s21
	s_mul_i32 s26, s12, s21
	s_mul_hi_u32 s22, s12, s20
	s_mul_i32 s7, s13, s20
	s_add_nc_u64 s[22:23], s[22:23], s[26:27]
	s_mul_hi_u32 s3, s13, s20
	s_mul_hi_u32 s14, s13, s21
	s_add_co_u32 s7, s22, s7
	s_add_co_ci_u32 s24, s23, s3
	s_mul_i32 s20, s13, s21
	s_add_co_ci_u32 s21, s14, 0
	s_mov_b32 s23, s17
	s_add_nc_u64 s[20:21], s[24:25], s[20:21]
	s_delay_alu instid0(SALU_CYCLE_1) | instskip(SKIP_1) | instid1(SALU_CYCLE_1)
	s_add_co_u32 s3, s12, s20
	s_cselect_b32 s7, -1, 0
	s_cmp_lg_u32 s7, 0
	s_add_co_ci_u32 s7, s13, s21
	s_ashr_i32 s12, s9, 31
	s_delay_alu instid0(SALU_CYCLE_1) | instskip(NEXT) | instid1(SALU_CYCLE_1)
	s_mov_b32 s13, s12
	s_add_nc_u64 s[20:21], s[8:9], s[12:13]
	s_delay_alu instid0(SALU_CYCLE_1) | instskip(NEXT) | instid1(SALU_CYCLE_1)
	s_xor_b64 s[20:21], s[20:21], s[12:13]
	s_mul_hi_u32 s27, s20, s7
	s_mul_i32 s26, s20, s7
	s_mul_hi_u32 s22, s20, s3
	s_mul_hi_u32 s14, s21, s3
	s_mul_i32 s3, s21, s3
	s_add_nc_u64 s[22:23], s[22:23], s[26:27]
	s_mul_hi_u32 s9, s21, s7
	s_add_co_u32 s3, s22, s3
	s_add_co_ci_u32 s24, s23, s14
	s_mul_i32 s26, s21, s7
	s_add_co_ci_u32 s27, s9, 0
	s_delay_alu instid0(SALU_CYCLE_1) | instskip(NEXT) | instid1(SALU_CYCLE_1)
	s_add_nc_u64 s[22:23], s[24:25], s[26:27]
	s_and_b64 s[24:25], s[22:23], 0xffffffff00000000
	s_delay_alu instid0(SALU_CYCLE_1) | instskip(NEXT) | instid1(SALU_CYCLE_1)
	s_or_b32 s24, s24, s22
	s_mul_u64 s[22:23], s[10:11], s[24:25]
	s_add_nc_u64 s[26:27], s[24:25], 1
	s_sub_co_u32 s3, s20, s22
	s_cselect_b32 s7, -1, 0
	s_sub_co_i32 s9, s21, s23
	s_cmp_lg_u32 s7, 0
	s_add_nc_u64 s[28:29], s[24:25], 2
	s_sub_co_ci_u32 s9, s9, s11
	s_sub_co_u32 s14, s3, s10
	s_cselect_b32 s20, -1, 0
	s_delay_alu instid0(SALU_CYCLE_1) | instskip(SKIP_1) | instid1(SALU_CYCLE_1)
	s_cmp_lg_u32 s20, 0
	s_sub_co_ci_u32 s9, s9, 0
	s_cmp_ge_u32 s9, s11
	s_cselect_b32 s20, -1, 0
	s_cmp_ge_u32 s14, s10
	s_cselect_b32 s14, -1, 0
	s_cmp_eq_u32 s9, s11
	s_cselect_b32 s9, s14, s20
	s_delay_alu instid0(SALU_CYCLE_1) | instskip(SKIP_4) | instid1(SALU_CYCLE_1)
	s_cmp_lg_u32 s9, 0
	s_cselect_b32 s9, s28, s26
	s_cselect_b32 s14, s29, s27
	s_cmp_lg_u32 s7, 0
	s_sub_co_ci_u32 s7, s21, s23
	s_cmp_ge_u32 s7, s11
	s_cselect_b32 s20, -1, 0
	s_cmp_ge_u32 s3, s10
	s_cselect_b32 s3, -1, 0
	s_cmp_eq_u32 s7, s11
	s_cselect_b32 s3, s3, s20
	s_delay_alu instid0(SALU_CYCLE_1) | instskip(SKIP_4) | instid1(SALU_CYCLE_1)
	s_cmp_lg_u32 s3, 0
	s_mov_b32 s3, s17
	s_cselect_b32 s11, s14, s25
	s_cselect_b32 s10, s9, s24
	s_xor_b64 s[12:13], s[12:13], 0
	s_xor_b64 s[10:11], s[10:11], s[12:13]
	s_delay_alu instid0(SALU_CYCLE_1)
	s_sub_nc_u64 s[20:21], s[10:11], s[12:13]
	s_and_not1_b32 vcc_lo, exec_lo, s3
	s_cbranch_vccnz .LBB32_3
.LBB32_2:
	v_cvt_f32_u32_e32 v1, s16
	s_sub_co_i32 s7, 0, s16
	s_mov_b32 s21, 0
	s_delay_alu instid0(VALU_DEP_1) | instskip(SKIP_1) | instid1(TRANS32_DEP_1)
	v_rcp_iflag_f32_e32 v1, v1
	v_nop
	v_mul_f32_e32 v1, 0x4f7ffffe, v1
	s_delay_alu instid0(VALU_DEP_1) | instskip(NEXT) | instid1(VALU_DEP_1)
	v_cvt_u32_f32_e32 v1, v1
	v_readfirstlane_b32 s3, v1
	s_mul_i32 s7, s7, s3
	s_delay_alu instid0(SALU_CYCLE_1) | instskip(NEXT) | instid1(SALU_CYCLE_1)
	s_mul_hi_u32 s7, s3, s7
	s_add_co_i32 s3, s3, s7
	s_delay_alu instid0(SALU_CYCLE_1) | instskip(NEXT) | instid1(SALU_CYCLE_1)
	s_mul_hi_u32 s3, s8, s3
	s_mul_i32 s7, s3, s16
	s_delay_alu instid0(SALU_CYCLE_1)
	s_sub_co_i32 s7, s8, s7
	s_add_co_i32 s8, s3, 1
	s_sub_co_i32 s9, s7, s16
	s_cmp_ge_u32 s7, s16
	s_cselect_b32 s3, s8, s3
	s_cselect_b32 s7, s9, s7
	s_add_co_i32 s8, s3, 1
	s_cmp_ge_u32 s7, s16
	s_cselect_b32 s20, s8, s3
.LBB32_3:
	s_add_co_i32 s8, s2, 1
	s_delay_alu instid0(SALU_CYCLE_1) | instskip(NEXT) | instid1(SALU_CYCLE_1)
	s_ashr_i32 s9, s8, 31
	s_mul_u64 s[8:9], s[18:19], s[8:9]
	s_delay_alu instid0(SALU_CYCLE_1) | instskip(NEXT) | instid1(SALU_CYCLE_1)
	s_and_b64 s[10:11], s[8:9], 0xffffffff00000000
	s_cmp_lg_u64 s[10:11], 0
	s_cbranch_scc0 .LBB32_22
; %bb.4:
	s_add_nc_u64 s[10:11], s[16:17], 0
	s_delay_alu instid0(SALU_CYCLE_1) | instskip(SKIP_4) | instid1(SALU_CYCLE_2)
	s_xor_b64 s[12:13], s[10:11], 0
	s_mov_b32 s11, 0
	s_cvt_f32_u32 s3, s12
	s_cvt_f32_u32 s7, s13
	s_sub_nc_u64 s[24:25], 0, s[12:13]
	s_fmamk_f32 s3, s7, 0x4f800000, s3
	s_delay_alu instid0(SALU_CYCLE_3) | instskip(NEXT) | instid1(TRANS32_DEP_1)
	v_s_rcp_f32 s3, s3
	s_mul_f32 s3, s3, 0x5f7ffffc
	s_delay_alu instid0(SALU_CYCLE_3) | instskip(NEXT) | instid1(SALU_CYCLE_3)
	s_mul_f32 s7, s3, 0x2f800000
	s_trunc_f32 s7, s7
	s_delay_alu instid0(SALU_CYCLE_3) | instskip(SKIP_1) | instid1(SALU_CYCLE_2)
	s_fmamk_f32 s3, s7, 0xcf800000, s3
	s_cvt_u32_f32 s23, s7
	s_cvt_u32_f32 s22, s3
	s_delay_alu instid0(SALU_CYCLE_3) | instskip(NEXT) | instid1(SALU_CYCLE_1)
	s_mul_u64 s[26:27], s[24:25], s[22:23]
	s_mul_hi_u32 s29, s22, s27
	s_mul_i32 s28, s22, s27
	s_mul_hi_u32 s10, s22, s26
	s_mul_i32 s7, s23, s26
	s_add_nc_u64 s[28:29], s[10:11], s[28:29]
	s_mul_hi_u32 s3, s23, s26
	s_mul_hi_u32 s14, s23, s27
	s_add_co_u32 s7, s28, s7
	s_add_co_ci_u32 s10, s29, s3
	s_mul_i32 s26, s23, s27
	s_add_co_ci_u32 s27, s14, 0
	s_delay_alu instid0(SALU_CYCLE_1) | instskip(NEXT) | instid1(SALU_CYCLE_1)
	s_add_nc_u64 s[26:27], s[10:11], s[26:27]
	s_add_co_u32 s22, s22, s26
	s_cselect_b32 s3, -1, 0
	s_delay_alu instid0(SALU_CYCLE_1) | instskip(SKIP_1) | instid1(SALU_CYCLE_1)
	s_cmp_lg_u32 s3, 0
	s_add_co_ci_u32 s23, s23, s27
	s_mul_u64 s[24:25], s[24:25], s[22:23]
	s_delay_alu instid0(SALU_CYCLE_1)
	s_mul_hi_u32 s27, s22, s25
	s_mul_i32 s26, s22, s25
	s_mul_hi_u32 s10, s22, s24
	s_mul_i32 s7, s23, s24
	s_add_nc_u64 s[26:27], s[10:11], s[26:27]
	s_mul_hi_u32 s3, s23, s24
	s_mul_hi_u32 s14, s23, s25
	s_add_co_u32 s7, s26, s7
	s_add_co_ci_u32 s10, s27, s3
	s_mul_i32 s24, s23, s25
	s_add_co_ci_u32 s25, s14, 0
	s_delay_alu instid0(SALU_CYCLE_1) | instskip(NEXT) | instid1(SALU_CYCLE_1)
	s_add_nc_u64 s[24:25], s[10:11], s[24:25]
	s_add_co_u32 s3, s22, s24
	s_cselect_b32 s7, -1, 0
	s_delay_alu instid0(SALU_CYCLE_1) | instskip(SKIP_2) | instid1(SALU_CYCLE_1)
	s_cmp_lg_u32 s7, 0
	s_add_co_ci_u32 s7, s23, s25
	s_ashr_i32 s22, s9, 31
	s_mov_b32 s23, s22
	s_delay_alu instid0(SALU_CYCLE_1) | instskip(NEXT) | instid1(SALU_CYCLE_1)
	s_add_nc_u64 s[24:25], s[8:9], s[22:23]
	s_xor_b64 s[24:25], s[24:25], s[22:23]
	s_delay_alu instid0(SALU_CYCLE_1)
	s_mul_hi_u32 s27, s24, s7
	s_mul_i32 s26, s24, s7
	s_mul_hi_u32 s10, s24, s3
	s_mul_hi_u32 s14, s25, s3
	s_mul_i32 s3, s25, s3
	s_add_nc_u64 s[26:27], s[10:11], s[26:27]
	s_mul_hi_u32 s9, s25, s7
	s_add_co_u32 s3, s26, s3
	s_add_co_ci_u32 s10, s27, s14
	s_mul_i32 s28, s25, s7
	s_add_co_ci_u32 s29, s9, 0
	s_delay_alu instid0(SALU_CYCLE_1) | instskip(NEXT) | instid1(SALU_CYCLE_1)
	s_add_nc_u64 s[26:27], s[10:11], s[28:29]
	s_and_b64 s[28:29], s[26:27], 0xffffffff00000000
	s_delay_alu instid0(SALU_CYCLE_1) | instskip(NEXT) | instid1(SALU_CYCLE_1)
	s_or_b32 s28, s28, s26
	s_mul_u64 s[26:27], s[12:13], s[28:29]
	s_add_nc_u64 s[30:31], s[28:29], 1
	s_sub_co_u32 s3, s24, s26
	s_cselect_b32 s7, -1, 0
	s_sub_co_i32 s9, s25, s27
	s_cmp_lg_u32 s7, 0
	s_add_nc_u64 s[34:35], s[28:29], 2
	s_sub_co_ci_u32 s9, s9, s13
	s_sub_co_u32 s10, s3, s12
	s_cselect_b32 s14, -1, 0
	s_delay_alu instid0(SALU_CYCLE_1) | instskip(SKIP_1) | instid1(SALU_CYCLE_1)
	s_cmp_lg_u32 s14, 0
	s_sub_co_ci_u32 s9, s9, 0
	s_cmp_ge_u32 s9, s13
	s_cselect_b32 s14, -1, 0
	s_cmp_ge_u32 s10, s12
	s_cselect_b32 s10, -1, 0
	s_cmp_eq_u32 s9, s13
	s_cselect_b32 s9, s10, s14
	s_delay_alu instid0(SALU_CYCLE_1) | instskip(SKIP_4) | instid1(SALU_CYCLE_1)
	s_cmp_lg_u32 s9, 0
	s_cselect_b32 s9, s34, s30
	s_cselect_b32 s10, s35, s31
	s_cmp_lg_u32 s7, 0
	s_sub_co_ci_u32 s7, s25, s27
	s_cmp_ge_u32 s7, s13
	s_cselect_b32 s14, -1, 0
	s_cmp_ge_u32 s3, s12
	s_cselect_b32 s3, -1, 0
	s_cmp_eq_u32 s7, s13
	s_cselect_b32 s3, s3, s14
	s_delay_alu instid0(SALU_CYCLE_1) | instskip(SKIP_3) | instid1(SALU_CYCLE_1)
	s_cmp_lg_u32 s3, 0
	s_cselect_b32 s13, s10, s29
	s_cselect_b32 s12, s9, s28
	s_xor_b64 s[22:23], s[22:23], 0
	s_xor_b64 s[12:13], s[12:13], s[22:23]
	s_delay_alu instid0(SALU_CYCLE_1)
	s_sub_nc_u64 s[24:25], s[12:13], s[22:23]
	s_load_b96 s[12:14], s[0:1], 0x44
	s_cbranch_execnz .LBB32_6
.LBB32_5:
	v_cvt_f32_u32_e32 v1, s16
	s_sub_co_i32 s7, 0, s16
	s_delay_alu instid0(VALU_DEP_1) | instskip(SKIP_1) | instid1(TRANS32_DEP_1)
	v_rcp_iflag_f32_e32 v1, v1
	v_nop
	v_mul_f32_e32 v1, 0x4f7ffffe, v1
	s_delay_alu instid0(VALU_DEP_1) | instskip(NEXT) | instid1(VALU_DEP_1)
	v_cvt_u32_f32_e32 v1, v1
	v_readfirstlane_b32 s3, v1
	s_mul_i32 s7, s7, s3
	s_delay_alu instid0(SALU_CYCLE_1) | instskip(NEXT) | instid1(SALU_CYCLE_1)
	s_mul_hi_u32 s7, s3, s7
	s_add_co_i32 s3, s3, s7
	s_delay_alu instid0(SALU_CYCLE_1) | instskip(NEXT) | instid1(SALU_CYCLE_1)
	s_mul_hi_u32 s3, s8, s3
	s_mul_i32 s7, s3, s16
	s_delay_alu instid0(SALU_CYCLE_1)
	s_sub_co_i32 s7, s8, s7
	s_add_co_i32 s8, s3, 1
	s_sub_co_i32 s9, s7, s16
	s_cmp_ge_u32 s7, s16
	s_cselect_b32 s3, s8, s3
	s_cselect_b32 s7, s9, s7
	s_add_co_i32 s8, s3, 1
	s_cmp_ge_u32 s7, s16
	s_cselect_b32 s24, s8, s3
.LBB32_6:
	s_delay_alu instid0(SALU_CYCLE_1)
	s_cmp_eq_u32 s20, s24
	s_mov_b64 s[8:9], 0xffffffff
	s_cselect_b32 s3, -1, 0
	s_and_b64 s[8:9], s[20:21], s[8:9]
	s_mov_b32 s23, 0
	s_wait_kmcnt 0x0
	s_mov_b32 s22, s12
	s_mov_b32 s25, s23
	s_mul_u64 s[10:11], s[8:9], s[22:23]
	s_delay_alu instid0(SALU_CYCLE_1) | instskip(SKIP_2) | instid1(SALU_CYCLE_1)
	s_add_co_i32 s7, s11, s20
	s_mul_u64 s[10:11], s[24:25], s[22:23]
	s_lshr_b32 s12, s7, s13
	s_mul_i32 s7, s12, s14
	s_delay_alu instid0(SALU_CYCLE_1) | instskip(SKIP_2) | instid1(SALU_CYCLE_1)
	s_cmp_eq_u32 s7, s20
	s_cselect_b32 s7, -1, 0
	s_add_co_i32 s10, s11, s24
	s_lshr_b32 s10, s10, s13
	s_delay_alu instid0(SALU_CYCLE_1)
	s_cmp_eq_u32 s12, s10
	s_mul_i32 s10, s10, s14
	s_cselect_b32 s11, -1, 0
	s_cmp_lg_u32 s10, s24
	s_cselect_b32 s10, -1, 0
	s_or_b32 s3, s3, s7
	s_and_b32 s10, s11, s10
	s_delay_alu instid0(SALU_CYCLE_1) | instskip(NEXT) | instid1(SALU_CYCLE_1)
	s_or_b32 s3, s3, s10
	s_and_b32 vcc_lo, exec_lo, s3
	s_cbranch_vccnz .LBB32_24
; %bb.7:
	s_load_b256 s[24:31], s[0:1], 0x20
	s_bfe_u32 s7, ttmp6, 0x40014
	s_bfe_u32 s33, ttmp6, 0x40010
	s_lshr_b32 s3, ttmp7, 16
	s_add_co_i32 s7, s7, 1
	s_and_b32 s21, ttmp7, 0xffff
	s_add_co_i32 s33, s33, 1
	s_bfe_u32 s10, ttmp6, 0x40008
	s_mul_i32 s7, s3, s7
	s_bfe_u32 s34, ttmp6, 0x40004
	s_mul_i32 s33, s21, s33
	s_mov_b32 s11, s23
	s_add_co_i32 s7, s10, s7
	s_add_co_i32 s34, s34, s33
	s_cmp_eq_u32 s15, 0
	s_cselect_b32 s15, s21, s34
	s_cselect_b32 s21, s3, s7
	s_wait_kmcnt 0x0
	s_mov_b32 s10, s24
	s_delay_alu instid0(SALU_CYCLE_1) | instskip(SKIP_2) | instid1(SALU_CYCLE_1)
	s_mul_u64 s[8:9], s[8:9], s[10:11]
	s_load_b32 s8, s[0:1], 0x40
	s_add_co_i32 s3, s9, s20
	s_lshr_b32 s3, s3, s25
	s_delay_alu instid0(SALU_CYCLE_1) | instskip(NEXT) | instid1(SALU_CYCLE_1)
	s_mul_i32 s7, s3, s26
	s_sub_co_i32 s9, s20, s7
	s_delay_alu instid0(SALU_CYCLE_1) | instskip(NEXT) | instid1(SALU_CYCLE_1)
	s_mul_hi_u32 s7, s9, s27
	s_add_co_i32 s7, s9, s7
	s_delay_alu instid0(SALU_CYCLE_1) | instskip(NEXT) | instid1(SALU_CYCLE_1)
	s_lshr_b32 s7, s7, s28
	s_mul_i32 s10, s7, s29
	s_delay_alu instid0(SALU_CYCLE_1) | instskip(NEXT) | instid1(SALU_CYCLE_1)
	s_sub_co_i32 s10, s9, s10
	s_mul_hi_u32 s9, s10, s30
	s_delay_alu instid0(SALU_CYCLE_1) | instskip(NEXT) | instid1(SALU_CYCLE_1)
	s_add_co_i32 s9, s10, s9
	s_lshr_b32 s25, s9, s31
	s_mov_b32 s9, s23
	s_wait_kmcnt 0x0
	s_mul_i32 s8, s25, s8
	s_lshl_b32 s25, s25, 2
	s_sub_co_i32 s8, s10, s8
	s_delay_alu instid0(SALU_CYCLE_1) | instskip(NEXT) | instid1(SALU_CYCLE_1)
	s_mul_u64 s[10:11], s[8:9], s[22:23]
	s_add_co_i32 s8, s8, s11
	s_delay_alu instid0(SALU_CYCLE_1) | instskip(NEXT) | instid1(SALU_CYCLE_1)
	s_lshr_b32 s24, s8, s13
	s_add_co_i32 s24, s24, s15
	s_delay_alu instid0(SALU_CYCLE_1) | instskip(SKIP_2) | instid1(SALU_CYCLE_1)
	s_cmp_lt_i32 s24, s4
	s_cselect_b32 s8, -1, 0
	s_add_co_i32 s25, s25, s21
	s_cmp_lt_i32 s25, s6
	s_cselect_b32 s9, -1, 0
	s_delay_alu instid0(SALU_CYCLE_1) | instskip(NEXT) | instid1(SALU_CYCLE_1)
	s_and_b32 s8, s8, s9
	s_and_not1_b32 vcc_lo, exec_lo, s8
	s_cbranch_vccnz .LBB32_24
; %bb.8:
	s_load_b128 s[8:11], s[0:1], 0x0
	s_mul_i32 s3, s3, s4
	s_mul_i32 s7, s7, s6
	s_wait_xcnt 0x0
	s_add_co_i32 s0, s24, s3
	s_add_co_i32 s1, s25, s7
	s_mul_i32 s0, s0, s5
	s_add_co_i32 s3, s15, s2
	s_add_co_i32 s1, s1, s0
	v_cvt_f32_u32_e32 v4, s16
	v_lshl_or_b32 v2, s1, 7, v0
	s_add_nc_u64 s[0:1], s[16:17], 0
	s_lshl_b32 s24, s16, 4
	s_xor_b64 s[6:7], s[0:1], 0
	s_lshl_b32 s0, s3, 2
	s_cvt_f32_u32 s3, s6
	s_cvt_f32_u32 s4, s7
	s_add_co_i32 s0, s0, s21
	v_rcp_iflag_f32_e32 v4, v4
	s_ashr_i32 s1, s0, 31
	s_fmamk_f32 s3, s4, 0x4f800000, s3
	s_wait_kmcnt 0x0
	global_load_b32 v1, v2, s[8:9] scale_offset
	s_lshl_b64 s[0:1], s[0:1], 3
	s_mov_b32 s25, 0
	v_s_rcp_f32 s3, s3
	s_add_nc_u64 s[0:1], s[10:11], s[0:1]
	v_dual_mul_f32 v4, 0x4f7ffffe, v4 :: v_dual_ashrrev_i32 v3, 31, v2
	s_load_b64 s[28:29], s[0:1], 0x0
	s_wait_xcnt 0x0
	s_lshl_b64 s[0:1], s[24:25], 2
	v_lshl_or_b32 v6, s21, 7, v0
	s_add_nc_u64 s[26:27], s[10:11], s[0:1]
	s_mul_f32 s3, s3, 0x5f7ffffc
	v_lshl_add_u64 v[2:3], v[2:3], 2, s[8:9]
	v_cvt_u32_f32_e32 v7, v4
	s_mov_b64 s[8:9], 0xffffffff
	s_mul_f32 s4, s3, 0x2f800000
	s_add_co_i32 s36, s2, -1
	s_sub_nc_u64 s[34:35], 0, s[6:7]
	s_delay_alu instid0(SALU_CYCLE_1) | instskip(NEXT) | instid1(SALU_CYCLE_3)
	s_trunc_f32 s4, s4
	s_fmamk_f32 s0, s4, 0xcf800000, s3
	s_cvt_u32_f32 s31, s4
	s_wait_kmcnt 0x0
	v_mov_b32_e32 v0, s29
	s_cvt_u32_f32 s30, s0
.LBB32_9:                               ; =>This Inner Loop Header: Depth=1
	s_ashr_i32 s37, s36, 31
                                        ; implicit-def: $sgpr40_sgpr41
	s_delay_alu instid0(SALU_CYCLE_1) | instskip(NEXT) | instid1(SALU_CYCLE_1)
	s_mul_u64 s[0:1], s[36:37], s[18:19]
	s_and_b64 s[2:3], s[0:1], 0xffffffff00000000
	s_delay_alu instid0(SALU_CYCLE_1)
	s_cmp_lg_u64 s[2:3], 0
	s_mov_b32 s2, -1
	s_cbranch_scc0 .LBB32_11
; %bb.10:                               ;   in Loop: Header=BB32_9 Depth=1
	s_mul_u64 s[2:3], s[34:35], s[30:31]
	s_delay_alu instid0(SALU_CYCLE_1)
	s_mul_hi_u32 s5, s30, s3
	s_mul_i32 s4, s30, s3
	s_mul_hi_u32 s24, s30, s2
	s_mul_hi_u32 s17, s31, s2
	s_add_nc_u64 s[4:5], s[24:25], s[4:5]
	s_mul_i32 s2, s31, s2
	s_mul_hi_u32 s29, s31, s3
	s_add_co_u32 s2, s4, s2
	s_add_co_ci_u32 s24, s5, s17
	s_add_co_ci_u32 s5, s29, 0
	s_mul_i32 s4, s31, s3
	s_delay_alu instid0(SALU_CYCLE_1) | instskip(NEXT) | instid1(SALU_CYCLE_1)
	s_add_nc_u64 s[2:3], s[24:25], s[4:5]
	s_add_co_u32 s2, s30, s2
	s_cselect_b32 s4, -1, 0
	s_delay_alu instid0(SALU_CYCLE_1) | instskip(SKIP_1) | instid1(SALU_CYCLE_1)
	s_cmp_lg_u32 s4, 0
	s_add_co_ci_u32 s3, s31, s3
	s_mul_u64 s[4:5], s[34:35], s[2:3]
	s_delay_alu instid0(SALU_CYCLE_1)
	s_mul_hi_u32 s39, s2, s5
	s_mul_i32 s38, s2, s5
	s_mul_hi_u32 s24, s2, s4
	s_mul_hi_u32 s17, s3, s4
	s_mul_i32 s4, s3, s4
	s_add_nc_u64 s[38:39], s[24:25], s[38:39]
	s_mul_hi_u32 s29, s3, s5
	s_add_co_u32 s4, s38, s4
	s_add_co_ci_u32 s24, s39, s17
	s_mul_i32 s4, s3, s5
	s_add_co_ci_u32 s5, s29, 0
	s_delay_alu instid0(SALU_CYCLE_1) | instskip(NEXT) | instid1(SALU_CYCLE_1)
	s_add_nc_u64 s[4:5], s[24:25], s[4:5]
	s_add_co_u32 s17, s2, s4
	s_cselect_b32 s2, -1, 0
	s_delay_alu instid0(SALU_CYCLE_1) | instskip(SKIP_2) | instid1(SALU_CYCLE_1)
	s_cmp_lg_u32 s2, 0
	s_add_co_ci_u32 s29, s3, s5
	s_ashr_i32 s2, s1, 31
	s_mov_b32 s3, s2
	s_delay_alu instid0(SALU_CYCLE_1) | instskip(NEXT) | instid1(SALU_CYCLE_1)
	s_add_nc_u64 s[4:5], s[0:1], s[2:3]
	s_xor_b64 s[4:5], s[4:5], s[2:3]
	s_delay_alu instid0(SALU_CYCLE_1)
	s_mul_hi_u32 s39, s4, s29
	s_mul_i32 s38, s4, s29
	s_mul_hi_u32 s24, s4, s17
	s_mul_hi_u32 s33, s5, s17
	s_mul_i32 s17, s5, s17
	s_add_nc_u64 s[38:39], s[24:25], s[38:39]
	s_mul_hi_u32 s1, s5, s29
	s_add_co_u32 s17, s38, s17
	s_add_co_ci_u32 s24, s39, s33
	s_mul_i32 s40, s5, s29
	s_add_co_ci_u32 s41, s1, 0
	s_delay_alu instid0(SALU_CYCLE_1) | instskip(NEXT) | instid1(SALU_CYCLE_1)
	s_add_nc_u64 s[38:39], s[24:25], s[40:41]
	s_and_b64 s[40:41], s[38:39], 0xffffffff00000000
	s_delay_alu instid0(SALU_CYCLE_1) | instskip(NEXT) | instid1(SALU_CYCLE_1)
	s_or_b32 s40, s40, s38
	s_mul_u64 s[38:39], s[6:7], s[40:41]
	s_add_nc_u64 s[42:43], s[40:41], 1
	s_sub_co_u32 s1, s4, s38
	s_cselect_b32 s4, -1, 0
	s_sub_co_i32 s17, s5, s39
	s_cmp_lg_u32 s4, 0
	s_add_nc_u64 s[44:45], s[40:41], 2
	s_sub_co_ci_u32 s17, s17, s7
	s_sub_co_u32 s24, s1, s6
	s_cselect_b32 s29, -1, 0
	s_delay_alu instid0(SALU_CYCLE_1) | instskip(SKIP_1) | instid1(SALU_CYCLE_1)
	s_cmp_lg_u32 s29, 0
	s_sub_co_ci_u32 s17, s17, 0
	s_cmp_ge_u32 s17, s7
	s_cselect_b32 s29, -1, 0
	s_cmp_ge_u32 s24, s6
	s_cselect_b32 s24, -1, 0
	s_cmp_eq_u32 s17, s7
	s_cselect_b32 s17, s24, s29
	s_delay_alu instid0(SALU_CYCLE_1) | instskip(SKIP_4) | instid1(SALU_CYCLE_1)
	s_cmp_lg_u32 s17, 0
	s_cselect_b32 s17, s44, s42
	s_cselect_b32 s24, s45, s43
	s_cmp_lg_u32 s4, 0
	s_sub_co_ci_u32 s4, s5, s39
	s_cmp_ge_u32 s4, s7
	s_cselect_b32 s5, -1, 0
	s_cmp_ge_u32 s1, s6
	s_cselect_b32 s1, -1, 0
	s_cmp_eq_u32 s4, s7
	s_cselect_b32 s1, s1, s5
	s_delay_alu instid0(SALU_CYCLE_1) | instskip(SKIP_3) | instid1(SALU_CYCLE_1)
	s_cmp_lg_u32 s1, 0
	s_cselect_b32 s5, s24, s41
	s_cselect_b32 s4, s17, s40
	s_xor_b64 s[2:3], s[2:3], 0
	s_xor_b64 s[4:5], s[4:5], s[2:3]
	s_delay_alu instid0(SALU_CYCLE_1)
	s_sub_nc_u64 s[40:41], s[4:5], s[2:3]
	s_mov_b32 s2, 0
.LBB32_11:                              ;   in Loop: Header=BB32_9 Depth=1
	s_delay_alu instid0(SALU_CYCLE_1)
	s_and_not1_b32 vcc_lo, exec_lo, s2
	s_cbranch_vccnz .LBB32_13
; %bb.12:                               ;   in Loop: Header=BB32_9 Depth=1
	v_readfirstlane_b32 s1, v7
	s_sub_co_i32 s2, 0, s16
	s_delay_alu instid0(SALU_CYCLE_1) | instskip(NEXT) | instid1(SALU_CYCLE_1)
	s_mul_i32 s2, s2, s1
	s_mul_hi_u32 s2, s1, s2
	s_delay_alu instid0(SALU_CYCLE_1) | instskip(NEXT) | instid1(SALU_CYCLE_1)
	s_add_co_i32 s1, s1, s2
	s_mul_hi_u32 s1, s0, s1
	s_delay_alu instid0(SALU_CYCLE_1) | instskip(NEXT) | instid1(SALU_CYCLE_1)
	s_mul_i32 s2, s1, s16
	s_sub_co_i32 s0, s0, s2
	s_add_co_i32 s2, s1, 1
	s_sub_co_i32 s3, s0, s16
	s_cmp_ge_u32 s0, s16
	s_cselect_b32 s1, s2, s1
	s_cselect_b32 s0, s3, s0
	s_add_co_i32 s2, s1, 1
	s_cmp_ge_u32 s0, s16
	s_cselect_b32 s24, s2, s1
	s_delay_alu instid0(SALU_CYCLE_1)
	s_mov_b64 s[40:41], s[24:25]
.LBB32_13:                              ;   in Loop: Header=BB32_9 Depth=1
	s_delay_alu instid0(SALU_CYCLE_1)
	s_cmp_lg_u32 s20, s40
	s_mov_b32 s0, -1
                                        ; implicit-def: $vgpr4_vgpr5
                                        ; implicit-def: $sgpr29
                                        ; implicit-def: $sgpr17
                                        ; implicit-def: $sgpr24
                                        ; implicit-def: $sgpr33
	s_cbranch_scc0 .LBB32_18
; %bb.14:                               ;   in Loop: Header=BB32_9 Depth=1
	s_add_co_i32 s42, s36, s15
	v_max_num_f32_e64 v4, s28, s28
	s_add_co_i32 s0, s42, s16
	s_mov_b32 s33, s20
	s_lshl_b32 s0, s0, 2
	s_delay_alu instid0(SALU_CYCLE_1)
	s_add_co_i32 s0, s0, s21
	s_load_b64 s[38:39], s[10:11], s0 offset:0x0 scale_offset
	s_wait_xcnt 0x0
	v_readfirstlane_b32 s0, v4
	s_wait_kmcnt 0x0
	v_max_num_f32_e64 v5, s38, s38
	s_delay_alu instid0(VALU_DEP_1) | instskip(SKIP_1) | instid1(SALU_CYCLE_3)
	v_readfirstlane_b32 s1, v5
	s_max_num_f32 s17, s0, s1
	s_sub_f32 s37, s28, s17
	s_sub_f32 s38, s38, s17
	s_delay_alu instid0(SALU_CYCLE_2)
	s_cmp_nlt_f32 s37, 0xc2ce8ed0
	s_cselect_b32 s1, -1, 0
	s_cmp_ngt_f32 s37, 0x42b17218
	s_cselect_b32 s2, -1, 0
	s_cmp_ge_f32 s37, 0xc1a00000
	s_cselect_b32 s0, -1, 0
	s_cmp_nlt_f32 s38, 0xc2ce8ed0
	s_cselect_b32 s3, -1, 0
	s_cmp_ngt_f32 s38, 0x42b17218
	s_cselect_b32 s4, -1, 0
	s_cmp_ge_f32 s38, 0xc1a00000
	s_cselect_b32 s5, -1, 0
	s_and_b64 s[44:45], s[40:41], s[8:9]
	s_delay_alu instid0(SALU_CYCLE_1) | instskip(NEXT) | instid1(SALU_CYCLE_1)
	s_mul_u64 s[44:45], s[44:45], s[22:23]
	s_add_co_i32 s24, s45, s40
	s_delay_alu instid0(SALU_CYCLE_1) | instskip(NEXT) | instid1(SALU_CYCLE_1)
	s_lshr_b32 s24, s24, s13
	s_mul_i32 s29, s24, s14
	s_delay_alu instid0(SALU_CYCLE_1) | instskip(SKIP_3) | instid1(SALU_CYCLE_1)
	s_cmp_eq_u32 s29, s40
	s_cselect_b32 s29, -1, 0
	s_cmp_lt_u32 s24, s12
	s_cselect_b32 s24, -1, 0
	s_or_b32 s24, s24, s29
	s_mov_b32 s29, -1
	s_and_b32 vcc_lo, exec_lo, s24
	s_mov_b32 s24, s36
	s_cbranch_vccnz .LBB32_16
; %bb.15:                               ;   in Loop: Header=BB32_9 Depth=1
	s_add_co_i32 s24, s36, -1
	s_mov_b32 s29, 0
	s_mov_b32 s33, s40
.LBB32_16:                              ;   in Loop: Header=BB32_9 Depth=1
	v_lshl_add_u32 v4, s42, 9, v6
	s_mul_f32 s41, s37, 0x3fb8aa3b
	s_mul_f32 s40, s38, 0x3fb8aa3b
	s_delay_alu instid0(SALU_CYCLE_2)
	s_xor_b32 s43, s41, 0x80000000
	global_load_b32 v5, v4, s[26:27] scale_offset
	s_fmamk_f32 s43, s37, 0x3fb8aa3b, s43
	s_rndne_f32 s45, s41
	s_xor_b32 s42, s40, 0x80000000
	s_rndne_f32 s44, s40
	s_fmamk_f32 s37, s37, 0x32a5705f, s43
	s_sub_f32 s41, s41, s45
	s_fmamk_f32 s42, s38, 0x3fb8aa3b, s42
	s_sub_f32 s40, s40, s44
	s_delay_alu instid0(SALU_CYCLE_1) | instskip(NEXT) | instid1(SALU_CYCLE_1)
	s_add_f32 s37, s41, s37
	s_fmamk_f32 s38, s38, 0x32a5705f, s42
	s_cvt_i32_f32 s41, s45
	s_delay_alu instid0(SALU_CYCLE_1) | instskip(NEXT) | instid1(SALU_CYCLE_1)
	v_s_exp_f32 s37, s37
	s_add_f32 s38, s40, s38
	s_cvt_i32_f32 s40, s44
	s_delay_alu instid0(SALU_CYCLE_2) | instskip(NEXT) | instid1(TRANS32_DEP_2)
	v_s_exp_f32 s38, s38
	v_ldexp_f32 v8, s37, s41
	s_wait_xcnt 0x0
	s_delay_alu instid0(TRANS32_DEP_1) | instskip(NEXT) | instid1(VALU_DEP_2)
	v_ldexp_f32 v4, s38, s40
	v_cndmask_b32_e64 v8, 0, v8, s1
	s_delay_alu instid0(VALU_DEP_1) | instskip(NEXT) | instid1(VALU_DEP_1)
	v_cndmask_b32_e64 v9, 0x7f800000, v8, s2
	v_dual_cndmask_b32 v4, 0, v4, s3 :: v_dual_cndmask_b32 v10, 0, v9, s0
	s_delay_alu instid0(VALU_DEP_1) | instskip(NEXT) | instid1(VALU_DEP_1)
	v_cndmask_b32_e64 v4, 0x7f800000, v4, s4
	v_dual_cndmask_b32 v8, 0, v4, s5 :: v_dual_mov_b32 v4, s39
	s_wait_loadcnt 0x0
	s_delay_alu instid0(VALU_DEP_1) | instskip(NEXT) | instid1(VALU_DEP_1)
	v_pk_mul_f32 v[4:5], v[4:5], v[8:9] op_sel_hi:[1,0]
	v_pk_fma_f32 v[4:5], v[0:1], v[10:11], v[4:5] op_sel_hi:[1,0,1]
	s_cbranch_execz .LBB32_19
.LBB32_17:                              ;   in Loop: Header=BB32_9 Depth=1
	s_and_not1_b32 vcc_lo, exec_lo, s29
	s_cbranch_vccnz .LBB32_20
	s_branch .LBB32_23
.LBB32_18:                              ;   in Loop: Header=BB32_9 Depth=1
	s_and_not1_b32 vcc_lo, exec_lo, s0
	s_cbranch_vccnz .LBB32_17
.LBB32_19:                              ;   in Loop: Header=BB32_9 Depth=1
	s_wait_loadcnt 0x0
	v_mov_b64_e32 v[4:5], v[0:1]
	s_add_co_i32 s24, s36, -1
	s_mov_b32 s33, s20
	s_mov_b32 s17, s28
	s_cbranch_execz .LBB32_23
.LBB32_20:                              ;   in Loop: Header=BB32_9 Depth=1
	s_wait_loadcnt 0x0
	s_delay_alu instid0(VALU_DEP_1)
	v_mov_b64_e32 v[0:1], v[4:5]
	s_mov_b32 s20, s33
	s_mov_b32 s36, s24
	;; [unrolled: 1-line block ×3, first 2 shown]
	s_branch .LBB32_9
.LBB32_21:
                                        ; implicit-def: $sgpr20_sgpr21
	s_branch .LBB32_2
.LBB32_22:
                                        ; implicit-def: $sgpr24_sgpr25
	s_load_b96 s[12:14], s[0:1], 0x44
	s_branch .LBB32_5
.LBB32_23:
	s_delay_alu instid0(VALU_DEP_1) | instskip(SKIP_1) | instid1(VALU_DEP_1)
	v_div_scale_f32 v0, null, v4, v4, v5
	s_wait_loadcnt 0x0
	v_rcp_f32_e32 v1, v0
	v_nop
	s_delay_alu instid0(TRANS32_DEP_1) | instskip(NEXT) | instid1(VALU_DEP_1)
	v_fma_f32 v6, -v0, v1, 1.0
	v_fmac_f32_e32 v1, v6, v1
	v_div_scale_f32 v6, vcc_lo, v5, v4, v5
	s_delay_alu instid0(VALU_DEP_1) | instskip(NEXT) | instid1(VALU_DEP_1)
	v_mul_f32_e32 v7, v6, v1
	v_fma_f32 v8, -v0, v7, v6
	s_delay_alu instid0(VALU_DEP_1) | instskip(NEXT) | instid1(VALU_DEP_1)
	v_fmac_f32_e32 v7, v8, v1
	v_fma_f32 v0, -v0, v7, v6
	s_delay_alu instid0(VALU_DEP_1) | instskip(NEXT) | instid1(VALU_DEP_1)
	v_div_fmas_f32 v0, v0, v1, v7
	v_div_fixup_f32 v0, v0, v4, v5
	global_store_b32 v[2:3], v0, off
.LBB32_24:
	s_endpgm
	.section	.rodata,"a",@progbits
	.p2align	6, 0x0
	.amdhsa_kernel _ZL33flash_attn_stream_k_fixup_generalILi128ELi1ELi4EEvPfPK15HIP_vector_typeIfLj2EEiiiiS1_IjLj3EES5_S5_S5_
		.amdhsa_group_segment_fixed_size 0
		.amdhsa_private_segment_fixed_size 0
		.amdhsa_kernarg_size 336
		.amdhsa_user_sgpr_count 2
		.amdhsa_user_sgpr_dispatch_ptr 0
		.amdhsa_user_sgpr_queue_ptr 0
		.amdhsa_user_sgpr_kernarg_segment_ptr 1
		.amdhsa_user_sgpr_dispatch_id 0
		.amdhsa_user_sgpr_kernarg_preload_length 0
		.amdhsa_user_sgpr_kernarg_preload_offset 0
		.amdhsa_user_sgpr_private_segment_size 0
		.amdhsa_wavefront_size32 1
		.amdhsa_uses_dynamic_stack 0
		.amdhsa_enable_private_segment 0
		.amdhsa_system_sgpr_workgroup_id_x 1
		.amdhsa_system_sgpr_workgroup_id_y 1
		.amdhsa_system_sgpr_workgroup_id_z 1
		.amdhsa_system_sgpr_workgroup_info 0
		.amdhsa_system_vgpr_workitem_id 0
		.amdhsa_next_free_vgpr 12
		.amdhsa_next_free_sgpr 46
		.amdhsa_named_barrier_count 0
		.amdhsa_reserve_vcc 1
		.amdhsa_float_round_mode_32 0
		.amdhsa_float_round_mode_16_64 0
		.amdhsa_float_denorm_mode_32 3
		.amdhsa_float_denorm_mode_16_64 3
		.amdhsa_fp16_overflow 0
		.amdhsa_memory_ordered 1
		.amdhsa_forward_progress 1
		.amdhsa_inst_pref_size 26
		.amdhsa_round_robin_scheduling 0
		.amdhsa_exception_fp_ieee_invalid_op 0
		.amdhsa_exception_fp_denorm_src 0
		.amdhsa_exception_fp_ieee_div_zero 0
		.amdhsa_exception_fp_ieee_overflow 0
		.amdhsa_exception_fp_ieee_underflow 0
		.amdhsa_exception_fp_ieee_inexact 0
		.amdhsa_exception_int_div_zero 0
	.end_amdhsa_kernel
	.section	.text._ZL33flash_attn_stream_k_fixup_generalILi128ELi1ELi4EEvPfPK15HIP_vector_typeIfLj2EEiiiiS1_IjLj3EES5_S5_S5_,"axG",@progbits,_ZL33flash_attn_stream_k_fixup_generalILi128ELi1ELi4EEvPfPK15HIP_vector_typeIfLj2EEiiiiS1_IjLj3EES5_S5_S5_,comdat
.Lfunc_end32:
	.size	_ZL33flash_attn_stream_k_fixup_generalILi128ELi1ELi4EEvPfPK15HIP_vector_typeIfLj2EEiiiiS1_IjLj3EES5_S5_S5_, .Lfunc_end32-_ZL33flash_attn_stream_k_fixup_generalILi128ELi1ELi4EEvPfPK15HIP_vector_typeIfLj2EEiiiiS1_IjLj3EES5_S5_S5_
                                        ; -- End function
	.set _ZL33flash_attn_stream_k_fixup_generalILi128ELi1ELi4EEvPfPK15HIP_vector_typeIfLj2EEiiiiS1_IjLj3EES5_S5_S5_.num_vgpr, 12
	.set _ZL33flash_attn_stream_k_fixup_generalILi128ELi1ELi4EEvPfPK15HIP_vector_typeIfLj2EEiiiiS1_IjLj3EES5_S5_S5_.num_agpr, 0
	.set _ZL33flash_attn_stream_k_fixup_generalILi128ELi1ELi4EEvPfPK15HIP_vector_typeIfLj2EEiiiiS1_IjLj3EES5_S5_S5_.numbered_sgpr, 46
	.set _ZL33flash_attn_stream_k_fixup_generalILi128ELi1ELi4EEvPfPK15HIP_vector_typeIfLj2EEiiiiS1_IjLj3EES5_S5_S5_.num_named_barrier, 0
	.set _ZL33flash_attn_stream_k_fixup_generalILi128ELi1ELi4EEvPfPK15HIP_vector_typeIfLj2EEiiiiS1_IjLj3EES5_S5_S5_.private_seg_size, 0
	.set _ZL33flash_attn_stream_k_fixup_generalILi128ELi1ELi4EEvPfPK15HIP_vector_typeIfLj2EEiiiiS1_IjLj3EES5_S5_S5_.uses_vcc, 1
	.set _ZL33flash_attn_stream_k_fixup_generalILi128ELi1ELi4EEvPfPK15HIP_vector_typeIfLj2EEiiiiS1_IjLj3EES5_S5_S5_.uses_flat_scratch, 0
	.set _ZL33flash_attn_stream_k_fixup_generalILi128ELi1ELi4EEvPfPK15HIP_vector_typeIfLj2EEiiiiS1_IjLj3EES5_S5_S5_.has_dyn_sized_stack, 0
	.set _ZL33flash_attn_stream_k_fixup_generalILi128ELi1ELi4EEvPfPK15HIP_vector_typeIfLj2EEiiiiS1_IjLj3EES5_S5_S5_.has_recursion, 0
	.set _ZL33flash_attn_stream_k_fixup_generalILi128ELi1ELi4EEvPfPK15HIP_vector_typeIfLj2EEiiiiS1_IjLj3EES5_S5_S5_.has_indirect_call, 0
	.section	.AMDGPU.csdata,"",@progbits
; Kernel info:
; codeLenInByte = 3328
; TotalNumSgprs: 48
; NumVgprs: 12
; ScratchSize: 0
; MemoryBound: 0
; FloatMode: 240
; IeeeMode: 1
; LDSByteSize: 0 bytes/workgroup (compile time only)
; SGPRBlocks: 0
; VGPRBlocks: 0
; NumSGPRsForWavesPerEU: 48
; NumVGPRsForWavesPerEU: 12
; NamedBarCnt: 0
; Occupancy: 16
; WaveLimiterHint : 0
; COMPUTE_PGM_RSRC2:SCRATCH_EN: 0
; COMPUTE_PGM_RSRC2:USER_SGPR: 2
; COMPUTE_PGM_RSRC2:TRAP_HANDLER: 0
; COMPUTE_PGM_RSRC2:TGID_X_EN: 1
; COMPUTE_PGM_RSRC2:TGID_Y_EN: 1
; COMPUTE_PGM_RSRC2:TGID_Z_EN: 1
; COMPUTE_PGM_RSRC2:TIDIG_COMP_CNT: 0
	.section	.text._ZL15flash_attn_tileILi128ELi128ELi32ELi2ELb0EEvPKcS1_S1_S1_S1_PKiPfP15HIP_vector_typeIfLj2EEffffjfiS5_IjLj3EEiiiiiiiiiiiliiliiiiil,"axG",@progbits,_ZL15flash_attn_tileILi128ELi128ELi32ELi2ELb0EEvPKcS1_S1_S1_S1_PKiPfP15HIP_vector_typeIfLj2EEffffjfiS5_IjLj3EEiiiiiiiiiiiliiliiiiil,comdat
	.globl	_ZL15flash_attn_tileILi128ELi128ELi32ELi2ELb0EEvPKcS1_S1_S1_S1_PKiPfP15HIP_vector_typeIfLj2EEffffjfiS5_IjLj3EEiiiiiiiiiiiliiliiiiil ; -- Begin function _ZL15flash_attn_tileILi128ELi128ELi32ELi2ELb0EEvPKcS1_S1_S1_S1_PKiPfP15HIP_vector_typeIfLj2EEffffjfiS5_IjLj3EEiiiiiiiiiiiliiliiiiil
	.p2align	8
	.type	_ZL15flash_attn_tileILi128ELi128ELi32ELi2ELb0EEvPKcS1_S1_S1_S1_PKiPfP15HIP_vector_typeIfLj2EEffffjfiS5_IjLj3EEiiiiiiiiiiiliiliiiiil,@function
_ZL15flash_attn_tileILi128ELi128ELi32ELi2ELb0EEvPKcS1_S1_S1_S1_PKiPfP15HIP_vector_typeIfLj2EEffffjfiS5_IjLj3EEiiiiiiiiiiiliiliiiiil: ; @_ZL15flash_attn_tileILi128ELi128ELi32ELi2ELb0EEvPKcS1_S1_S1_S1_PKiPfP15HIP_vector_typeIfLj2EEffffjfiS5_IjLj3EEiiiiiiiiiiiliiliiiiil
; %bb.0:
	s_clause 0x1
	s_load_b128 s[28:31], s[0:1], 0x5c
	s_load_b64 s[38:39], s[0:1], 0x80
	s_bfe_u32 s5, ttmp6, 0x40014
	s_lshr_b32 s4, ttmp7, 16
	s_add_co_i32 s5, s5, 1
	s_bfe_u32 s6, ttmp6, 0x40008
	s_mul_i32 s5, s4, s5
	s_getreg_b32 s10, hwreg(HW_REG_IB_STS2, 6, 4)
	s_add_co_i32 s6, s6, s5
	s_clause 0x1
	s_load_b512 s[12:27], s[0:1], 0x0
	s_load_b64 s[8:9], s[0:1], 0xb8
	s_mov_b64 s[40:41], 0
	s_wait_kmcnt 0x0
	s_lshr_b32 s2, s31, 31
	s_delay_alu instid0(SALU_CYCLE_1) | instskip(NEXT) | instid1(SALU_CYCLE_1)
	s_add_co_i32 s2, s31, s2
	s_ashr_i32 s2, s2, 1
	s_delay_alu instid0(SALU_CYCLE_1) | instskip(SKIP_1) | instid1(SALU_CYCLE_2)
	s_cvt_f32_u32 s3, s2
	s_sub_co_i32 s7, 0, s2
	v_rcp_iflag_f32_e32 v1, s3
	v_nop
	s_delay_alu instid0(TRANS32_DEP_1) | instskip(SKIP_1) | instid1(SALU_CYCLE_3)
	v_readfirstlane_b32 s3, v1
	s_mul_f32 s3, s3, 0x4f7ffffe
	s_cvt_u32_f32 s3, s3
	s_delay_alu instid0(SALU_CYCLE_3) | instskip(NEXT) | instid1(SALU_CYCLE_1)
	s_mul_i32 s7, s7, s3
	s_mul_hi_u32 s7, s3, s7
	s_delay_alu instid0(SALU_CYCLE_1) | instskip(SKIP_2) | instid1(SALU_CYCLE_1)
	s_add_co_i32 s3, s3, s7
	s_cmp_eq_u32 s10, 0
	s_cselect_b32 s4, s4, s6
	s_mul_hi_u32 s3, s4, s3
	s_delay_alu instid0(SALU_CYCLE_1) | instskip(SKIP_2) | instid1(SALU_CYCLE_1)
	s_mul_i32 s5, s3, s2
	s_add_co_i32 s6, s3, 1
	s_sub_co_i32 s5, s4, s5
	s_sub_co_i32 s7, s5, s2
	s_cmp_ge_u32 s5, s2
	s_cselect_b32 s3, s6, s3
	s_cselect_b32 s5, s7, s5
	s_add_co_i32 s6, s3, 1
	s_cmp_ge_u32 s5, s2
	s_cselect_b32 s36, s6, s3
	s_abs_i32 s2, s39
	s_abs_i32 s7, s31
	s_cvt_f32_u32 s3, s2
	s_sub_co_i32 s5, 0, s2
	s_lshl_b32 s4, s4, 1
	s_mul_i32 s6, s36, s31
	v_rcp_iflag_f32_e32 v1, s3
	s_sub_co_i32 s34, s4, s6
	s_xor_b32 s4, s31, s39
	s_delay_alu instid0(SALU_CYCLE_1) | instskip(SKIP_1) | instid1(TRANS32_DEP_1)
	s_ashr_i32 s4, s4, 31
	v_nop
	v_readfirstlane_b32 s3, v1
	s_mul_f32 s3, s3, 0x4f7ffffe
	s_delay_alu instid0(SALU_CYCLE_3) | instskip(NEXT) | instid1(SALU_CYCLE_3)
	s_cvt_u32_f32 s3, s3
	s_mul_i32 s5, s5, s3
	s_delay_alu instid0(SALU_CYCLE_1) | instskip(NEXT) | instid1(SALU_CYCLE_1)
	s_mul_hi_u32 s5, s3, s5
	s_add_co_i32 s3, s3, s5
	s_delay_alu instid0(SALU_CYCLE_1) | instskip(NEXT) | instid1(SALU_CYCLE_1)
	s_mul_hi_u32 s3, s7, s3
	s_mul_i32 s5, s3, s2
	s_add_co_i32 s6, s3, 1
	s_sub_co_i32 s5, s7, s5
	s_delay_alu instid0(SALU_CYCLE_1)
	s_sub_co_i32 s7, s5, s2
	s_cmp_ge_u32 s5, s2
	s_cselect_b32 s3, s6, s3
	s_cselect_b32 s5, s7, s5
	s_add_co_i32 s6, s3, 1
	s_cmp_ge_u32 s5, s2
	s_cselect_b32 s2, s6, s3
	s_mov_b32 s3, 0
	s_xor_b32 s2, s2, s4
	s_delay_alu instid0(SALU_CYCLE_1) | instskip(NEXT) | instid1(SALU_CYCLE_1)
	s_sub_co_i32 s7, s2, s4
	s_abs_i32 s35, s7
	s_cmp_eq_u64 s[18:19], 0
	s_cvt_f32_u32 s2, s35
	s_delay_alu instid0(SALU_CYCLE_3) | instskip(SKIP_1) | instid1(TRANS32_DEP_1)
	v_rcp_iflag_f32_e32 v1, s2
	v_nop
	v_readfirstlane_b32 s2, v1
	s_cbranch_scc1 .LBB33_2
; %bb.1:
	s_abs_i32 s6, s8
	s_abs_i32 s8, s36
	s_cvt_f32_u32 s4, s6
	s_sub_co_i32 s5, 0, s6
	s_delay_alu instid0(SALU_CYCLE_2) | instskip(SKIP_1) | instid1(TRANS32_DEP_1)
	v_rcp_iflag_f32_e32 v1, s4
	v_nop
	v_readfirstlane_b32 s4, v1
	s_mul_f32 s4, s4, 0x4f7ffffe
	s_delay_alu instid0(SALU_CYCLE_3) | instskip(NEXT) | instid1(SALU_CYCLE_3)
	s_cvt_u32_f32 s4, s4
	s_mul_i32 s5, s5, s4
	s_delay_alu instid0(SALU_CYCLE_1) | instskip(NEXT) | instid1(SALU_CYCLE_1)
	s_mul_hi_u32 s5, s4, s5
	s_add_co_i32 s4, s4, s5
	s_delay_alu instid0(SALU_CYCLE_1) | instskip(SKIP_2) | instid1(SALU_CYCLE_1)
	s_mul_hi_u32 s11, s8, s4
	s_load_b64 s[4:5], s[0:1], 0xc8
	s_mul_i32 s11, s11, s6
	s_sub_co_i32 s8, s8, s11
	s_ashr_i32 s11, s36, 31
	s_sub_co_i32 s33, s8, s6
	s_cmp_ge_u32 s8, s6
	s_cselect_b32 s8, s33, s8
	s_delay_alu instid0(SALU_CYCLE_1) | instskip(SKIP_2) | instid1(SALU_CYCLE_1)
	s_sub_co_i32 s33, s8, s6
	s_cmp_ge_u32 s8, s6
	s_cselect_b32 s6, s33, s8
	s_xor_b32 s6, s6, s11
	s_delay_alu instid0(SALU_CYCLE_1) | instskip(NEXT) | instid1(SALU_CYCLE_1)
	s_sub_co_i32 s40, s6, s11
	s_ashr_i32 s41, s40, 31
	s_wait_kmcnt 0x0
	s_mul_u64 s[4:5], s[4:5], s[40:41]
	s_delay_alu instid0(SALU_CYCLE_1)
	s_add_nc_u64 s[40:41], s[18:19], s[4:5]
.LBB33_2:
	v_bfe_u32 v12, v0, 10, 10
	v_mov_b32_e32 v9, 0
	s_bfe_u32 s4, ttmp6, 0x4000c
	s_and_b32 s8, ttmp6, 15
	s_add_co_i32 s11, s4, 1
	s_delay_alu instid0(VALU_DEP_1) | instskip(SKIP_3) | instid1(VALU_DEP_2)
	v_dual_lshlrev_b32 v1, 3, v12 :: v_dual_mov_b32 v3, v9
	s_mul_i32 s11, ttmp9, s11
	v_mov_b32_e32 v5, v9
	s_add_co_i32 s8, s8, s11
	v_or_b32_e32 v13, 2, v1
	s_cmp_eq_u32 s10, 0
	v_or_b32_e32 v42, 3, v1
	s_cselect_b32 s8, ttmp9, s8
	s_clause 0x1
	s_load_b96 s[4:6], s[0:1], 0x70
	s_load_b32 s11, s[0:1], 0x40
	v_dual_lshrrev_b32 v86, 1, v13 :: v_dual_lshrrev_b32 v84, 1, v42
	s_lshl_b32 s39, s8, 5
	v_or_b32_e32 v43, 4, v1
	s_delay_alu instid0(VALU_DEP_2) | instskip(NEXT) | instid1(VALU_DEP_3)
	v_dual_add_nc_u32 v88, s39, v86 :: v_dual_bitop2_b32 v46, 7, v1 bitop3:0x54
	v_dual_add_nc_u32 v85, s39, v84 :: v_dual_bitop2_b32 v44, 5, v1 bitop3:0x54
	s_delay_alu instid0(VALU_DEP_3) | instskip(NEXT) | instid1(VALU_DEP_3)
	v_dual_lshrrev_b32 v82, 1, v43 :: v_dual_bitop2_b32 v45, 6, v1 bitop3:0x54
	v_mul_hi_u32 v1, v88, s28
	s_delay_alu instid0(VALU_DEP_3) | instskip(NEXT) | instid1(VALU_DEP_4)
	v_lshrrev_b32_e32 v80, 1, v44
	v_mul_hi_u32 v2, v85, s28
	s_delay_alu instid0(VALU_DEP_4) | instskip(NEXT) | instid1(VALU_DEP_3)
	v_dual_add_nc_u32 v83, s39, v82 :: v_dual_lshrrev_b32 v78, 1, v45
	v_dual_lshrrev_b32 v76, 1, v46 :: v_dual_add_nc_u32 v81, s39, v80
	v_and_b32_e32 v90, 0x3ff, v0
	s_delay_alu instid0(VALU_DEP_3) | instskip(NEXT) | instid1(VALU_DEP_3)
	v_mul_hi_u32 v4, v83, s28
	v_dual_add_nc_u32 v79, s39, v78 :: v_dual_add_nc_u32 v77, s39, v76
	v_dual_add_nc_u32 v1, v88, v1 :: v_dual_lshlrev_b32 v89, 2, v12
	v_mul_hi_u32 v6, v81, s28
	s_delay_alu instid0(VALU_DEP_3) | instskip(NEXT) | instid1(VALU_DEP_3)
	v_mul_hi_u32 v7, v79, s28
	v_dual_add_nc_u32 v2, v85, v2 :: v_dual_lshrrev_b32 v1, s29, v1
	s_delay_alu instid0(VALU_DEP_4) | instskip(SKIP_1) | instid1(VALU_DEP_3)
	v_add_nc_u32_e32 v91, s39, v89
	v_mul_hi_u32 v8, v77, s28
	v_dual_add_nc_u32 v4, v83, v4 :: v_dual_lshrrev_b32 v2, s29, v2
	s_delay_alu instid0(VALU_DEP_4) | instskip(NEXT) | instid1(VALU_DEP_4)
	v_mul_lo_u32 v1, v1, s30
	v_mul_hi_u32 v10, v91, s28
	s_wait_kmcnt 0x0
	s_mul_i32 s18, s34, s5
	v_dual_add_nc_u32 v6, v81, v6 :: v_dual_add_nc_u32 v7, v79, v7
	v_lshrrev_b32_e32 v4, s29, v4
	v_mul_lo_u32 v11, v2, s30
	s_ashr_i32 s43, s5, 31
	s_delay_alu instid0(VALU_DEP_3)
	v_dual_lshrrev_b32 v2, s29, v6 :: v_dual_add_nc_u32 v6, v77, v8
	s_mov_b32 s42, s5
	s_ashr_i32 s5, s4, 31
	v_add_nc_u32_e32 v8, v91, v10
	v_mul_lo_u32 v10, v4, s30
	v_lshrrev_b32_e32 v4, s29, v7
	v_mul_lo_u32 v14, v2, s30
	s_delay_alu instid0(VALU_DEP_4) | instskip(SKIP_1) | instid1(VALU_DEP_4)
	v_dual_sub_nc_u32 v2, v88, v1 :: v_dual_lshrrev_b32 v1, s29, v8
	v_lshrrev_b32_e32 v6, s29, v6
	v_mul_lo_u32 v16, v4, s30
	v_sub_nc_u32_e32 v4, v85, v11
	s_lshr_b64 s[4:5], s[4:5], 2
	v_mul_lo_u32 v1, v1, s30
	v_mul_u64_e32 v[2:3], s[4:5], v[2:3]
	v_mul_lo_u32 v18, v6, s30
	v_mul_u64_e32 v[4:5], s[4:5], v[4:5]
	v_dual_mov_b32 v7, v9 :: v_dual_sub_nc_u32 v6, v83, v10
	v_dual_mov_b32 v11, v9 :: v_dual_mov_b32 v15, v9
	v_dual_sub_nc_u32 v10, v81, v14 :: v_dual_sub_nc_u32 v14, v79, v16
	s_delay_alu instid0(VALU_DEP_3) | instskip(SKIP_2) | instid1(VALU_DEP_3)
	v_mul_u64_e32 v[6:7], s[4:5], v[6:7]
	v_sub_nc_u32_e32 v8, v91, v1
	s_ashr_i32 s19, s18, 31
	v_mul_u64_e32 v[16:17], s[4:5], v[10:11]
	v_sub_nc_u32_e32 v10, v77, v18
	v_mul_u64_e32 v[14:15], s[4:5], v[14:15]
	v_mul_u64_e32 v[18:19], s[4:5], v[8:9]
	s_delay_alu instid0(VALU_DEP_3) | instskip(SKIP_3) | instid1(SALU_CYCLE_1)
	v_mul_u64_e32 v[20:21], s[4:5], v[10:11]
	s_mul_i32 s4, s36, s6
	v_lshlrev_b32_e32 v10, 4, v90
	s_ashr_i32 s5, s4, 31
	s_add_nc_u64 s[4:5], s[12:13], s[4:5]
	s_and_b64 s[12:13], s[42:43], -4
	s_add_nc_u64 s[4:5], s[4:5], s[18:19]
	s_cmp_eq_u64 s[22:23], 0
	s_add_nc_u64 s[12:13], s[4:5], s[12:13]
	v_lshl_add_u64 v[0:1], v[2:3], 2, s[4:5]
	v_lshl_add_u64 v[2:3], v[4:5], 2, s[12:13]
	s_delay_alu instid0(VALU_DEP_2) | instskip(NEXT) | instid1(VALU_DEP_2)
	v_add_nc_u64_e32 v[0:1], v[0:1], v[10:11]
	v_add_nc_u64_e32 v[22:23], v[2:3], v[10:11]
	v_lshl_add_u64 v[6:7], v[6:7], 2, s[4:5]
	v_lshl_add_u64 v[24:25], v[16:17], 2, s[12:13]
	global_load_b128 v[2:5], v[0:1], off
	v_lshl_add_u64 v[26:27], v[14:15], 2, s[4:5]
	global_load_b128 v[14:17], v[22:23], off
	s_wait_xcnt 0x1
	v_add_nc_u64_e32 v[0:1], v[6:7], v[10:11]
	v_lshlrev_b64_e32 v[6:7], 2, v[18:19]
	s_wait_xcnt 0x0
	v_add_nc_u64_e32 v[22:23], v[24:25], v[10:11]
	v_lshl_add_u64 v[28:29], v[20:21], 2, s[12:13]
	global_load_b128 v[18:21], v[0:1], off
	v_add_nc_u64_e32 v[30:31], s[4:5], v[6:7]
	global_load_b128 v[22:25], v[22:23], off
	s_wait_xcnt 0x1
	v_add_nc_u64_e32 v[0:1], v[26:27], v[10:11]
	v_add_nc_u64_e32 v[6:7], s[12:13], v[6:7]
	;; [unrolled: 1-line block ×3, first 2 shown]
	global_load_b128 v[26:29], v[0:1], off
	s_wait_xcnt 0x0
	v_add_nc_u64_e32 v[0:1], v[30:31], v[10:11]
	v_add_nc_u64_e32 v[6:7], v[6:7], v[10:11]
	s_clause 0x2
	global_load_b128 v[30:33], v[32:33], off
	global_load_b128 v[34:37], v[0:1], off
	;; [unrolled: 1-line block ×3, first 2 shown]
	s_wait_xcnt 0x1
	v_lshlrev_b32_e32 v0, 3, v90
	s_delay_alu instid0(VALU_DEP_1)
	v_lshl_add_u32 v9, v13, 8, v0
	v_lshl_add_u32 v11, v42, 8, v0
	;; [unrolled: 1-line block ×6, first 2 shown]
	s_wait_loadcnt 0x7
	v_fma_mixlo_f16 v2, s11, v2, 0
	v_fma_mixlo_f16 v3, s11, v3, 0
	v_lshlrev_b32_e32 v92, 11, v12
	v_fma_mixlo_f16 v4, s11, v4, 0
	v_fma_mixlo_f16 v5, s11, v5, 0
	s_wait_loadcnt 0x6
	s_wait_xcnt 0x0
	v_fma_mixlo_f16 v6, s11, v14, 0
	v_fma_mixlo_f16 v7, s11, v15, 0
	;; [unrolled: 1-line block ×4, first 2 shown]
	v_lshlrev_b32_e32 v3, 16, v3
	s_wait_loadcnt 0x5
	v_fma_mixlo_f16 v16, s11, v18, 0
	v_fma_mixlo_f16 v17, s11, v19, 0
	;; [unrolled: 1-line block ×4, first 2 shown]
	s_wait_loadcnt 0x4
	v_fma_mixlo_f16 v20, s11, v22, 0
	v_fma_mixlo_f16 v21, s11, v23, 0
	;; [unrolled: 1-line block ×4, first 2 shown]
	v_and_b32_e32 v2, 0xffff, v2
	v_dual_add_nc_u32 v1, v0, v92 :: v_dual_lshlrev_b32 v5, 16, v5
	s_wait_loadcnt 0x3
	v_fma_mixlo_f16 v24, s11, v26, 0
	v_fma_mixlo_f16 v25, s11, v27, 0
	v_fma_mixlo_f16 v26, s11, v28, 0
	v_fma_mixlo_f16 v27, s11, v29, 0
	s_wait_loadcnt 0x2
	v_fma_mixlo_f16 v28, s11, v30, 0
	v_fma_mixlo_f16 v29, s11, v31, 0
	v_fma_mixlo_f16 v30, s11, v32, 0
	v_fma_mixlo_f16 v31, s11, v33, 0
	;; [unrolled: 5-line block ×3, first 2 shown]
	s_wait_loadcnt 0x0
	v_fma_mixlo_f16 v36, s11, v38, 0
	v_fma_mixlo_f16 v37, s11, v39, 0
	;; [unrolled: 1-line block ×3, first 2 shown]
	v_and_b32_e32 v4, 0xffff, v4
	v_dual_lshlrev_b32 v7, 16, v7 :: v_dual_lshlrev_b32 v17, 16, v17
	v_and_b32_e32 v6, 0xffff, v6
	v_and_b32_e32 v16, 0xffff, v16
	v_dual_lshlrev_b32 v15, 16, v15 :: v_dual_lshlrev_b32 v21, 16, v21
	v_and_b32_e32 v14, 0xffff, v14
	;; [unrolled: 3-line block ×3, first 2 shown]
	v_fma_mixlo_f16 v38, s11, v40, 0
	v_and_b32_e32 v18, 0xffff, v18
	v_dual_lshlrev_b32 v23, 16, v23 :: v_dual_lshlrev_b32 v29, 16, v29
	v_and_b32_e32 v22, 0xffff, v22
	v_dual_lshlrev_b32 v27, 16, v27 :: v_dual_lshlrev_b32 v33, 16, v33
	;; [unrolled: 2-line block ×3, first 2 shown]
	v_and_b32_e32 v32, 0xffff, v32
	v_dual_lshlrev_b32 v35, 16, v35 :: v_dual_bitop2_b32 v2, v3, v2 bitop3:0x54
	v_and_b32_e32 v36, 0xffff, v36
	v_lshlrev_b32_e32 v39, 16, v39
	v_or3_b32 v3, v5, v4, 0
	v_or_b32_e32 v4, v7, v6
	v_or_b32_e32 v6, v17, v16
	v_or3_b32 v5, v15, v14, 0
	v_or_b32_e32 v14, v21, v20
	v_and_b32_e32 v26, 0xffff, v26
	v_or_b32_e32 v16, v25, v24
	v_and_b32_e32 v30, 0xffff, v30
	v_and_b32_e32 v34, 0xffff, v34
	v_and_b32_e32 v38, 0xffff, v38
	v_or3_b32 v7, v19, v18, 0
	v_or3_b32 v15, v23, v22, 0
	v_or_b32_e32 v18, v29, v28
	v_or_b32_e32 v20, v33, v32
	;; [unrolled: 1-line block ×3, first 2 shown]
	v_or3_b32 v2, 0, 0, v2
	v_or3_b32 v4, 0, 0, v4
	;; [unrolled: 1-line block ×12, first 2 shown]
	ds_store_b64 v9, v[2:3]
	ds_store_b64 v11, v[4:5]
	;; [unrolled: 1-line block ×6, first 2 shown]
	ds_store_2addr_b64 v1, v[20:21], v[22:23] offset1:32
	s_wait_dscnt 0x0
	s_barrier_signal -1
	s_barrier_wait -1
	s_cbranch_scc1 .LBB33_4
; %bb.3:
	s_load_b32 s4, s[0:1], 0xd0
	s_wait_kmcnt 0x0
	s_mul_i32 s4, s4, s36
	s_delay_alu instid0(SALU_CYCLE_1)
	s_add_co_i32 s4, s4, s8
	s_load_b32 s38, s[22:23], s4 offset:0x0 scale_offset
.LBB33_4:
	s_wait_xcnt 0x0
	s_bfe_u32 s4, ttmp6, 0x40010
	s_and_b32 s5, ttmp7, 0xffff
	s_add_co_i32 s4, s4, 1
	s_bfe_u32 s6, ttmp6, 0x40004
	s_mul_i32 s4, s5, s4
	v_mbcnt_lo_u32_b32 v97, -1, 0
	s_add_co_i32 s6, s6, s4
	s_cmp_eq_u32 s10, 0
	s_mov_b32 s4, 0
	s_cselect_b32 s33, s5, s6
	s_delay_alu instid0(SALU_CYCLE_1)
	s_lshl_b32 s18, s33, 6
	s_wait_kmcnt 0x0
	s_cmp_lt_i32 s18, s38
	s_cbranch_scc1 .LBB33_7
; %bb.5:
	v_mbcnt_lo_u32_b32 v11, -1, 0
	s_delay_alu instid0(VALU_DEP_1)
	v_dual_mov_b32 v9, 32 :: v_dual_bitop2_b32 v98, 16, v11 bitop3:0x14
	v_xor_b32_e32 v96, 8, v11
	v_xor_b32_e32 v95, 4, v11
	;; [unrolled: 1-line block ×3, first 2 shown]
	v_dual_lshlrev_b32 v87, 2, v90 :: v_dual_bitop2_b32 v93, 1, v11 bitop3:0x14
	s_and_not1_b32 vcc_lo, exec_lo, s4
	s_cbranch_vccz .LBB33_8
; %bb.6:
	v_dual_mov_b32 v128, 0 :: v_dual_mov_b32 v57, 0
	v_dual_mov_b32 v7, 0xfeffffff :: v_dual_mov_b32 v6, 0xfeffffff
	;; [unrolled: 1-line block ×16, first 2 shown]
	s_branch .LBB33_11
.LBB33_7:
                                        ; implicit-def: $vgpr11
                                        ; implicit-def: $vgpr9
                                        ; implicit-def: $vgpr98
                                        ; implicit-def: $vgpr96
                                        ; implicit-def: $vgpr95
                                        ; implicit-def: $vgpr94
                                        ; implicit-def: $vgpr93
	v_lshlrev_b32_e32 v87, 2, v90
.LBB33_8:
	v_dual_mov_b32 v65, 0 :: v_dual_add_nc_u32 v64, 1, v91
	s_mov_b32 s44, s28
	s_mov_b32 s45, s3
	s_ashr_i32 s8, s9, 1
	v_dual_lshrrev_b32 v11, 4, v90 :: v_dual_bitop2_b32 v16, 60, v87 bitop3:0x40
	v_mul_u64_e32 v[2:3], s[44:45], v[64:65]
	v_mul_lo_u32 v102, v8, s8
	s_ashr_i32 s46, s7, 31
	s_clause 0x2
	s_load_b64 s[10:11], s[0:1], 0x8c
	s_load_b128 s[4:7], s[0:1], 0x98
	s_load_b64 s[12:13], s[0:1], 0xa8
	s_mul_f32 s19, s2, 0x4f7ffffe
	s_movk_i32 s9, 0x4000
	s_sub_co_i32 s28, 0, s35
	v_mad_u32_u24 v101, 0x90, v90, s9
	s_cvt_u32_f32 s9, s19
	s_ashr_i32 s42, s34, 31
	s_abs_i32 s2, s34
	s_mov_b32 s43, s3
	s_mul_i32 s28, s28, s9
	s_xor_b32 s46, s42, s46
	s_mul_hi_u32 s19, s9, s28
	v_lshl_add_u32 v11, v12, 1, v11
	s_add_co_i32 s42, s9, s19
	v_lshl_add_u32 v99, v12, 10, 0x6400
	s_mul_u64 s[42:43], s[2:3], s[42:43]
	v_dual_lshlrev_b32 v12, 2, v16 :: v_dual_bitop2_b32 v94, 2, v97 bitop3:0x14
	s_wait_kmcnt 0x0
	s_ashr_i32 s42, s10, 2
	s_ashr_i32 s28, s6, 2
	v_dual_add_nc_u32 v103, v99, v10 :: v_dual_bitop2_b32 v93, 1, v97 bitop3:0x14
	v_lshl_or_b32 v10, v11, 8, v12
	s_mul_i32 s3, s43, s35
	s_ashr_i32 s37, s36, 31
	s_sub_co_i32 s19, s2, s3
	s_add_co_i32 s9, s43, 1
	v_lshrrev_b32_e32 v9, 3, v90
	v_dual_mov_b32 v124, v65 :: v_dual_add_nc_u32 v109, 0x4000, v10
	v_add_nc_u32_e32 v1, v64, v3
	v_dual_mov_b32 v125, v65 :: v_dual_add_nc_u32 v110, 0x5000, v10
	s_delay_alu instid0(VALU_DEP_4) | instskip(NEXT) | instid1(VALU_DEP_3)
	v_dual_add_nc_u32 v17, v9, v89 :: v_dual_lshlrev_b32 v66, 2, v16
	v_lshrrev_b32_e32 v1, s29, v1
	s_sub_co_i32 s6, s19, s35
	s_cmp_ge_u32 s19, s35
	s_delay_alu instid0(VALU_DEP_2)
	v_mul_lo_u32 v68, s42, v17
	s_cselect_b32 s9, s9, s43
	v_mul_lo_u32 v1, v1, s30
	s_cselect_b32 s6, s6, s19
	s_add_co_i32 s10, s9, 1
	s_cmp_ge_u32 s6, s35
	v_or_b32_e32 v100, 0x4000, v0
	s_cselect_b32 s6, s10, s9
	s_mul_u64 s[2:3], s[4:5], s[36:37]
	s_xor_b32 s6, s6, s46
	s_mul_u64 s[4:5], s[12:13], s[36:37]
	v_lshl_add_u32 v70, s42, 5, v68
	s_sub_co_i32 s9, s6, s46
	v_dual_sub_nc_u32 v13, v64, v1 :: v_dual_add_nc_u32 v64, 2, v91
	s_mul_i32 s6, s9, s11
	s_mul_i32 s10, s9, s7
	v_dual_mov_b32 v0, 0xfeffffff :: v_dual_mov_b32 v1, 0xfeffffff
	s_delay_alu instid0(VALU_DEP_2)
	v_mul_u64_e32 v[14:15], s[44:45], v[64:65]
	v_xor_b32_e32 v98, 16, v97
	v_and_b32_e32 v14, 28, v87
	v_xor_b32_e32 v96, 8, v97
	v_mul_lo_u32 v111, v13, s8
	v_dual_mov_b32 v2, 0xfeffffff :: v_dual_mov_b32 v3, 0xfeffffff
	s_delay_alu instid0(VALU_DEP_4)
	v_lshlrev_b32_e32 v18, 2, v14
	v_dual_mov_b32 v4, 0xfeffffff :: v_dual_mov_b32 v5, 0xfeffffff
	v_dual_mov_b32 v6, 0xfeffffff :: v_dual_mov_b32 v7, 0xfeffffff
	v_dual_mov_b32 v67, v65 :: v_dual_add_nc_u32 v104, 0x800, v100
	v_dual_mov_b32 v114, v65 :: v_dual_add_nc_u32 v105, 0x1000, v100
	;; [unrolled: 1-line block ×3, first 2 shown]
	v_dual_mov_b32 v117, v65 :: v_dual_mov_b32 v116, v65
	v_dual_mov_b32 v119, v65 :: v_dual_mov_b32 v118, v65
	;; [unrolled: 1-line block ×7, first 2 shown]
	v_dual_add_nc_u32 v15, v64, v15 :: v_dual_bitop2_b32 v95, 4, v97 bitop3:0x14
	v_dual_mov_b32 v127, v65 :: v_dual_mov_b32 v126, v65
	v_dual_mov_b32 v129, v65 :: v_dual_mov_b32 v128, v65
	s_delay_alu instid0(VALU_DEP_3)
	v_lshrrev_b32_e32 v8, s29, v15
	s_add_nc_u64 s[2:3], s[14:15], s[2:3]
	s_add_nc_u64 s[4:5], s[16:17], s[4:5]
	s_ashr_i32 s7, s6, 31
	s_ashr_i32 s11, s10, 31
	v_mul_lo_u32 v8, v8, s30
	s_add_nc_u64 s[22:23], s[0:1], 0xd0
	s_ashr_i32 s43, s42, 31
	s_add_nc_u64 s[46:47], s[4:5], s[10:11]
	v_dual_mov_b32 v123, v65 :: v_dual_ashrrev_i32 v69, 31, v68
	s_delay_alu instid0(VALU_DEP_2) | instskip(SKIP_1) | instid1(VALU_DEP_2)
	v_dual_ashrrev_i32 v71, 31, v70 :: v_dual_sub_nc_u32 v15, v64, v8
	v_add_nc_u32_e32 v64, 3, v91
	v_mul_lo_u32 v112, v15, s8
	s_delay_alu instid0(VALU_DEP_2) | instskip(SKIP_3) | instid1(VALU_DEP_2)
	v_mul_u64_e32 v[8:9], s[44:45], v[64:65]
	v_mad_u32_u24 v8, 0x90, v17, v18
	v_mov_b32_e32 v122, v65
	s_add_nc_u64 s[44:45], s[2:3], s[6:7]
	v_add_nc_u32_e32 v107, 0x4000, v8
	v_add_nc_u32_e32 v108, 0x5200, v8
	v_mul_lo_u32 v8, s28, v11
	s_delay_alu instid0(VALU_DEP_1) | instskip(NEXT) | instid1(VALU_DEP_1)
	v_lshl_add_u32 v10, s28, 4, v8
	v_ashrrev_i32_e32 v11, 31, v10
	s_delay_alu instid0(VALU_DEP_1) | instskip(SKIP_1) | instid1(VALU_DEP_1)
	v_lshlrev_b64_e32 v[74:75], 2, v[10:11]
	v_add_nc_u32_e32 v9, v64, v9
	v_lshrrev_b32_e32 v9, s29, v9
	s_ashr_i32 s29, s28, 31
	s_delay_alu instid0(VALU_DEP_1) | instskip(SKIP_1) | instid1(VALU_DEP_1)
	v_mul_lo_u32 v12, v9, s30
	v_ashrrev_i32_e32 v9, 31, v8
	v_lshlrev_b64_e32 v[72:73], 2, v[8:9]
	s_delay_alu instid0(VALU_DEP_3) | instskip(NEXT) | instid1(VALU_DEP_1)
	v_dual_sub_nc_u32 v8, v64, v12 :: v_dual_lshlrev_b32 v64, 2, v14
	v_mul_lo_u32 v113, v8, s8
.LBB33_9:                               ; =>This Inner Loop Header: Depth=1
	v_cmp_gt_i32_e32 vcc_lo, 32, v98
	v_dual_add_nc_u32 v8, s18, v90 :: v_dual_mov_b32 v130, v0
	s_ashr_i32 s19, s18, 31
	v_dual_mov_b32 v131, v1 :: v_dual_mov_b32 v133, v3
	v_cndmask_b32_e32 v0, v97, v98, vcc_lo
	v_cmp_gt_i32_e32 vcc_lo, 32, v96
	s_mul_u64 s[2:3], s[18:19], s[42:43]
	s_mul_u64 s[4:5], s[18:19], s[28:29]
	s_lshl_b64 s[2:3], s[2:3], 2
	s_lshl_b64 s[4:5], s[4:5], 2
	v_cndmask_b32_e32 v9, v97, v96, vcc_lo
	v_cmp_gt_i32_e32 vcc_lo, 32, v95
	s_add_nc_u64 s[2:3], s[44:45], s[2:3]
	v_lshlrev_b32_e32 v20, 2, v0
	v_lshl_add_u64 v[0:1], v[68:69], 2, s[2:3]
	s_add_nc_u64 s[4:5], s[46:47], s[4:5]
	v_cndmask_b32_e32 v10, v97, v95, vcc_lo
	v_cmp_gt_i32_e32 vcc_lo, 32, v94
	v_dual_mov_b32 v134, v4 :: v_dual_mov_b32 v135, v5
	v_add_nc_u64_e32 v[38:39], s[4:5], v[74:75]
	v_add_nc_u64_e32 v[4:5], v[0:1], v[64:65]
	v_cndmask_b32_e32 v11, v97, v94, vcc_lo
	v_cmp_gt_i32_e32 vcc_lo, 32, v93
	v_mov_b32_e32 v132, v2
	v_lshl_add_u64 v[2:3], v[70:71], 2, s[2:3]
	v_dual_mov_b32 v136, v6 :: v_dual_mov_b32 v137, v7
	v_dual_cndmask_b32 v12, v97, v93 :: v_dual_mov_b32 v21, 0
	v_mov_b32_e32 v22, 0
	s_delay_alu instid0(VALU_DEP_4)
	v_add_nc_u64_e32 v[6:7], v[2:3], v[64:65]
	v_add_nc_u64_e32 v[2:3], v[38:39], v[66:67]
	v_dual_mov_b32 v23, 0 :: v_dual_mov_b32 v24, 0
	s_clause 0x1
	global_load_b128 v[38:41], v[4:5], off
	global_load_b128 v[42:45], v[6:7], off
	v_dual_mov_b32 v25, 0 :: v_dual_mov_b32 v26, 0
	v_dual_mov_b32 v27, 0 :: v_dual_mov_b32 v28, 0
	;; [unrolled: 1-line block ×6, first 2 shown]
	v_dual_add_nc_u32 v13, v8, v102 :: v_dual_add_nc_u32 v14, v8, v111
	v_dual_add_nc_u32 v15, v8, v112 :: v_dual_add_nc_u32 v8, v8, v113
	v_dual_lshlrev_b32 v18, 2, v10 :: v_dual_lshlrev_b32 v17, 2, v11
	v_add_nc_u64_e32 v[10:11], s[4:5], v[72:73]
	v_lshlrev_b32_e32 v19, 2, v9
	s_wait_loadcnt 0x1
	ds_store_b128 v107, v[38:41]
	s_wait_loadcnt 0x0
	ds_store_b128 v108, v[42:45]
	s_wait_dscnt 0x0
	s_barrier_signal -1
	s_barrier_wait -1
	ds_load_b128 v[38:41], v101
	ds_load_b128 v[42:45], v92
	ds_load_b128 v[46:49], v92 offset:256
	ds_load_b128 v[50:53], v92 offset:512
	;; [unrolled: 1-line block ×8, first 2 shown]
	v_add_nc_u64_e32 v[0:1], v[10:11], v[66:67]
	s_wait_dscnt 0x8
	;;#ASMSTART
	v_dot2_f32_f16 v21, v38, v42, v21
	;;#ASMEND
	;;#ASMSTART
	v_dot2_f32_f16 v21, v39, v43, v21
	;;#ASMEND
	;;#ASMSTART
	v_dot2_f32_f16 v21, v40, v44, v21
	;;#ASMEND
	;;#ASMSTART
	v_dot2_f32_f16 v21, v41, v45, v21
	;;#ASMEND
	s_wait_dscnt 0x7
	;;#ASMSTART
	v_dot2_f32_f16 v22, v38, v46, v22
	;;#ASMEND
	;;#ASMSTART
	v_dot2_f32_f16 v22, v39, v47, v22
	;;#ASMEND
	;;#ASMSTART
	v_dot2_f32_f16 v22, v40, v48, v22
	;;#ASMEND
	;;#ASMSTART
	v_dot2_f32_f16 v22, v41, v49, v22
	;;#ASMEND
	s_wait_dscnt 0x6
	;;#ASMSTART
	v_dot2_f32_f16 v23, v38, v50, v23
	;;#ASMEND
	;;#ASMSTART
	v_dot2_f32_f16 v23, v39, v51, v23
	;;#ASMEND
	;;#ASMSTART
	v_dot2_f32_f16 v23, v40, v52, v23
	;;#ASMEND
	;;#ASMSTART
	v_dot2_f32_f16 v23, v41, v53, v23
	;;#ASMEND
	s_wait_dscnt 0x5
	;;#ASMSTART
	v_dot2_f32_f16 v24, v38, v138, v24
	;;#ASMEND
	;;#ASMSTART
	v_dot2_f32_f16 v24, v39, v139, v24
	;;#ASMEND
	;;#ASMSTART
	v_dot2_f32_f16 v24, v40, v140, v24
	;;#ASMEND
	;;#ASMSTART
	v_dot2_f32_f16 v24, v41, v141, v24
	;;#ASMEND
	s_wait_dscnt 0x3
	;;#ASMSTART
	v_dot2_f32_f16 v25, v38, v146, v25
	;;#ASMEND
	;;#ASMSTART
	v_dot2_f32_f16 v25, v39, v147, v25
	;;#ASMEND
	;;#ASMSTART
	v_dot2_f32_f16 v25, v40, v148, v25
	;;#ASMEND
	;;#ASMSTART
	v_dot2_f32_f16 v25, v41, v149, v25
	;;#ASMEND
	s_wait_dscnt 0x2
	;;#ASMSTART
	v_dot2_f32_f16 v26, v38, v150, v26
	;;#ASMEND
	;;#ASMSTART
	v_dot2_f32_f16 v26, v39, v151, v26
	;;#ASMEND
	;;#ASMSTART
	v_dot2_f32_f16 v26, v40, v152, v26
	;;#ASMEND
	;;#ASMSTART
	v_dot2_f32_f16 v26, v41, v153, v26
	;;#ASMEND
	s_wait_dscnt 0x1
	;;#ASMSTART
	v_dot2_f32_f16 v27, v38, v154, v27
	;;#ASMEND
	;;#ASMSTART
	v_dot2_f32_f16 v27, v39, v155, v27
	;;#ASMEND
	;;#ASMSTART
	v_dot2_f32_f16 v27, v40, v156, v27
	;;#ASMEND
	;;#ASMSTART
	v_dot2_f32_f16 v27, v41, v157, v27
	;;#ASMEND
	s_wait_dscnt 0x0
	;;#ASMSTART
	v_dot2_f32_f16 v28, v38, v158, v28
	;;#ASMEND
	;;#ASMSTART
	v_dot2_f32_f16 v28, v39, v159, v28
	;;#ASMEND
	;;#ASMSTART
	v_dot2_f32_f16 v28, v40, v160, v28
	;;#ASMEND
	;;#ASMSTART
	v_dot2_f32_f16 v28, v41, v161, v28
	;;#ASMEND
	;;#ASMSTART
	v_dot2_f32_f16 v29, v142, v42, v29
	;;#ASMEND
	;;#ASMSTART
	v_dot2_f32_f16 v29, v143, v43, v29
	;;#ASMEND
	;; [unrolled: 3-line block ×32, first 2 shown]
	ds_load_b128 v[38:41], v101 offset:16
	ds_load_b128 v[42:45], v92 offset:16
	;; [unrolled: 1-line block ×10, first 2 shown]
	s_wait_dscnt 0x8
	;;#ASMSTART
	v_dot2_f32_f16 v21, v38, v42, v21
	;;#ASMEND
	;;#ASMSTART
	v_dot2_f32_f16 v21, v39, v43, v21
	;;#ASMEND
	;;#ASMSTART
	v_dot2_f32_f16 v21, v40, v44, v21
	;;#ASMEND
	;;#ASMSTART
	v_dot2_f32_f16 v21, v41, v45, v21
	;;#ASMEND
	s_wait_dscnt 0x7
	;;#ASMSTART
	v_dot2_f32_f16 v22, v38, v46, v22
	;;#ASMEND
	;;#ASMSTART
	v_dot2_f32_f16 v22, v39, v47, v22
	;;#ASMEND
	;;#ASMSTART
	v_dot2_f32_f16 v22, v40, v48, v22
	;;#ASMEND
	;;#ASMSTART
	v_dot2_f32_f16 v22, v41, v49, v22
	;;#ASMEND
	s_wait_dscnt 0x6
	;;#ASMSTART
	v_dot2_f32_f16 v23, v38, v50, v23
	;;#ASMEND
	;;#ASMSTART
	v_dot2_f32_f16 v23, v39, v51, v23
	;;#ASMEND
	;;#ASMSTART
	v_dot2_f32_f16 v23, v40, v52, v23
	;;#ASMEND
	;;#ASMSTART
	v_dot2_f32_f16 v23, v41, v53, v23
	;;#ASMEND
	s_wait_dscnt 0x5
	;;#ASMSTART
	v_dot2_f32_f16 v24, v38, v138, v24
	;;#ASMEND
	;;#ASMSTART
	v_dot2_f32_f16 v24, v39, v139, v24
	;;#ASMEND
	;;#ASMSTART
	v_dot2_f32_f16 v24, v40, v140, v24
	;;#ASMEND
	;;#ASMSTART
	v_dot2_f32_f16 v24, v41, v141, v24
	;;#ASMEND
	s_wait_dscnt 0x3
	;;#ASMSTART
	v_dot2_f32_f16 v25, v38, v146, v25
	;;#ASMEND
	;;#ASMSTART
	v_dot2_f32_f16 v25, v39, v147, v25
	;;#ASMEND
	;;#ASMSTART
	v_dot2_f32_f16 v25, v40, v148, v25
	;;#ASMEND
	;;#ASMSTART
	v_dot2_f32_f16 v25, v41, v149, v25
	;;#ASMEND
	s_wait_dscnt 0x2
	;;#ASMSTART
	v_dot2_f32_f16 v26, v38, v150, v26
	;;#ASMEND
	;;#ASMSTART
	v_dot2_f32_f16 v26, v39, v151, v26
	;;#ASMEND
	;;#ASMSTART
	v_dot2_f32_f16 v26, v40, v152, v26
	;;#ASMEND
	;;#ASMSTART
	v_dot2_f32_f16 v26, v41, v153, v26
	;;#ASMEND
	s_wait_dscnt 0x1
	;;#ASMSTART
	v_dot2_f32_f16 v27, v38, v154, v27
	;;#ASMEND
	;;#ASMSTART
	v_dot2_f32_f16 v27, v39, v155, v27
	;;#ASMEND
	;;#ASMSTART
	v_dot2_f32_f16 v27, v40, v156, v27
	;;#ASMEND
	;;#ASMSTART
	v_dot2_f32_f16 v27, v41, v157, v27
	;;#ASMEND
	s_wait_dscnt 0x0
	;;#ASMSTART
	v_dot2_f32_f16 v28, v38, v158, v28
	;;#ASMEND
	;;#ASMSTART
	v_dot2_f32_f16 v28, v39, v159, v28
	;;#ASMEND
	;;#ASMSTART
	v_dot2_f32_f16 v28, v40, v160, v28
	;;#ASMEND
	;;#ASMSTART
	v_dot2_f32_f16 v28, v41, v161, v28
	;;#ASMEND
	;;#ASMSTART
	v_dot2_f32_f16 v29, v142, v42, v29
	;;#ASMEND
	;;#ASMSTART
	v_dot2_f32_f16 v29, v143, v43, v29
	;;#ASMEND
	;; [unrolled: 3-line block ×32, first 2 shown]
	ds_load_b128 v[38:41], v101 offset:32
	ds_load_b128 v[42:45], v92 offset:32
	;; [unrolled: 1-line block ×10, first 2 shown]
	s_wait_dscnt 0x8
	;;#ASMSTART
	v_dot2_f32_f16 v21, v38, v42, v21
	;;#ASMEND
	;;#ASMSTART
	v_dot2_f32_f16 v21, v39, v43, v21
	;;#ASMEND
	;;#ASMSTART
	v_dot2_f32_f16 v21, v40, v44, v21
	;;#ASMEND
	;;#ASMSTART
	v_dot2_f32_f16 v21, v41, v45, v21
	;;#ASMEND
	s_wait_dscnt 0x7
	;;#ASMSTART
	v_dot2_f32_f16 v22, v38, v46, v22
	;;#ASMEND
	;;#ASMSTART
	v_dot2_f32_f16 v22, v39, v47, v22
	;;#ASMEND
	;;#ASMSTART
	v_dot2_f32_f16 v22, v40, v48, v22
	;;#ASMEND
	;;#ASMSTART
	v_dot2_f32_f16 v22, v41, v49, v22
	;;#ASMEND
	;; [unrolled: 13-line block ×8, first 2 shown]
	;;#ASMSTART
	v_dot2_f32_f16 v29, v142, v42, v29
	;;#ASMEND
	;;#ASMSTART
	v_dot2_f32_f16 v29, v143, v43, v29
	;;#ASMEND
	;; [unrolled: 3-line block ×32, first 2 shown]
	ds_load_b128 v[38:41], v101 offset:48
	ds_load_b128 v[42:45], v92 offset:48
	;; [unrolled: 1-line block ×10, first 2 shown]
	s_wait_dscnt 0x8
	;;#ASMSTART
	v_dot2_f32_f16 v21, v38, v42, v21
	;;#ASMEND
	;;#ASMSTART
	v_dot2_f32_f16 v21, v39, v43, v21
	;;#ASMEND
	;;#ASMSTART
	v_dot2_f32_f16 v21, v40, v44, v21
	;;#ASMEND
	;;#ASMSTART
	v_dot2_f32_f16 v21, v41, v45, v21
	;;#ASMEND
	s_wait_dscnt 0x7
	;;#ASMSTART
	v_dot2_f32_f16 v22, v38, v46, v22
	;;#ASMEND
	;;#ASMSTART
	v_dot2_f32_f16 v22, v39, v47, v22
	;;#ASMEND
	;;#ASMSTART
	v_dot2_f32_f16 v22, v40, v48, v22
	;;#ASMEND
	;;#ASMSTART
	v_dot2_f32_f16 v22, v41, v49, v22
	;;#ASMEND
	;; [unrolled: 13-line block ×8, first 2 shown]
	;;#ASMSTART
	v_dot2_f32_f16 v29, v142, v42, v29
	;;#ASMEND
	;;#ASMSTART
	v_dot2_f32_f16 v29, v143, v43, v29
	;;#ASMEND
	;; [unrolled: 3-line block ×32, first 2 shown]
	ds_load_b128 v[38:41], v101 offset:64
	ds_load_b128 v[42:45], v92 offset:64
	;; [unrolled: 1-line block ×10, first 2 shown]
	s_wait_dscnt 0x8
	;;#ASMSTART
	v_dot2_f32_f16 v21, v38, v42, v21
	;;#ASMEND
	;;#ASMSTART
	v_dot2_f32_f16 v21, v39, v43, v21
	;;#ASMEND
	;;#ASMSTART
	v_dot2_f32_f16 v21, v40, v44, v21
	;;#ASMEND
	;;#ASMSTART
	v_dot2_f32_f16 v21, v41, v45, v21
	;;#ASMEND
	s_wait_dscnt 0x7
	;;#ASMSTART
	v_dot2_f32_f16 v22, v38, v46, v22
	;;#ASMEND
	;;#ASMSTART
	v_dot2_f32_f16 v22, v39, v47, v22
	;;#ASMEND
	;;#ASMSTART
	v_dot2_f32_f16 v22, v40, v48, v22
	;;#ASMEND
	;;#ASMSTART
	v_dot2_f32_f16 v22, v41, v49, v22
	;;#ASMEND
	;; [unrolled: 13-line block ×8, first 2 shown]
	;;#ASMSTART
	v_dot2_f32_f16 v29, v142, v42, v29
	;;#ASMEND
	;;#ASMSTART
	v_dot2_f32_f16 v29, v143, v43, v29
	;;#ASMEND
	;; [unrolled: 3-line block ×32, first 2 shown]
	ds_load_b128 v[38:41], v101 offset:80
	ds_load_b128 v[42:45], v92 offset:80
	;; [unrolled: 1-line block ×10, first 2 shown]
	s_wait_dscnt 0x8
	;;#ASMSTART
	v_dot2_f32_f16 v21, v38, v42, v21
	;;#ASMEND
	;;#ASMSTART
	v_dot2_f32_f16 v21, v39, v43, v21
	;;#ASMEND
	;;#ASMSTART
	v_dot2_f32_f16 v21, v40, v44, v21
	;;#ASMEND
	;;#ASMSTART
	v_dot2_f32_f16 v21, v41, v45, v21
	;;#ASMEND
	s_wait_dscnt 0x7
	;;#ASMSTART
	v_dot2_f32_f16 v22, v38, v46, v22
	;;#ASMEND
	;;#ASMSTART
	v_dot2_f32_f16 v22, v39, v47, v22
	;;#ASMEND
	;;#ASMSTART
	v_dot2_f32_f16 v22, v40, v48, v22
	;;#ASMEND
	;;#ASMSTART
	v_dot2_f32_f16 v22, v41, v49, v22
	;;#ASMEND
	;; [unrolled: 13-line block ×8, first 2 shown]
	;;#ASMSTART
	v_dot2_f32_f16 v29, v142, v42, v29
	;;#ASMEND
	;;#ASMSTART
	v_dot2_f32_f16 v29, v143, v43, v29
	;;#ASMEND
	;; [unrolled: 3-line block ×32, first 2 shown]
	ds_load_b128 v[38:41], v101 offset:96
	ds_load_b128 v[42:45], v92 offset:96
	;; [unrolled: 1-line block ×10, first 2 shown]
	s_wait_dscnt 0x8
	;;#ASMSTART
	v_dot2_f32_f16 v21, v38, v42, v21
	;;#ASMEND
	;;#ASMSTART
	v_dot2_f32_f16 v21, v39, v43, v21
	;;#ASMEND
	;;#ASMSTART
	v_dot2_f32_f16 v21, v40, v44, v21
	;;#ASMEND
	;;#ASMSTART
	v_dot2_f32_f16 v21, v41, v45, v21
	;;#ASMEND
	s_wait_dscnt 0x7
	;;#ASMSTART
	v_dot2_f32_f16 v22, v38, v46, v22
	;;#ASMEND
	;;#ASMSTART
	v_dot2_f32_f16 v22, v39, v47, v22
	;;#ASMEND
	;;#ASMSTART
	v_dot2_f32_f16 v22, v40, v48, v22
	;;#ASMEND
	;;#ASMSTART
	v_dot2_f32_f16 v22, v41, v49, v22
	;;#ASMEND
	;; [unrolled: 13-line block ×8, first 2 shown]
	;;#ASMSTART
	v_dot2_f32_f16 v29, v142, v42, v29
	;;#ASMEND
	;;#ASMSTART
	v_dot2_f32_f16 v29, v143, v43, v29
	;;#ASMEND
	;; [unrolled: 3-line block ×32, first 2 shown]
	ds_load_b128 v[38:41], v101 offset:112
	ds_load_b128 v[42:45], v92 offset:112
	;; [unrolled: 1-line block ×10, first 2 shown]
	s_wait_dscnt 0x8
	;;#ASMSTART
	v_dot2_f32_f16 v21, v38, v42, v21
	;;#ASMEND
	;;#ASMSTART
	v_dot2_f32_f16 v21, v39, v43, v21
	;;#ASMEND
	;;#ASMSTART
	v_dot2_f32_f16 v21, v40, v44, v21
	;;#ASMEND
	;;#ASMSTART
	v_dot2_f32_f16 v21, v41, v45, v21
	;;#ASMEND
	s_wait_dscnt 0x7
	;;#ASMSTART
	v_dot2_f32_f16 v22, v38, v46, v22
	;;#ASMEND
	;;#ASMSTART
	v_dot2_f32_f16 v22, v39, v47, v22
	;;#ASMEND
	;;#ASMSTART
	v_dot2_f32_f16 v22, v40, v48, v22
	;;#ASMEND
	;;#ASMSTART
	v_dot2_f32_f16 v22, v41, v49, v22
	;;#ASMEND
	;; [unrolled: 13-line block ×8, first 2 shown]
	;;#ASMSTART
	v_dot2_f32_f16 v29, v142, v42, v29
	;;#ASMEND
	;;#ASMSTART
	v_dot2_f32_f16 v29, v143, v43, v29
	;;#ASMEND
	;; [unrolled: 3-line block ×32, first 2 shown]
	s_barrier_signal -1
	s_barrier_wait -1
	s_clause 0x1
	global_load_b128 v[38:41], v[4:5], off offset:128
	global_load_b128 v[42:45], v[6:7], off offset:128
	s_wait_loadcnt 0x1
	ds_store_b128 v107, v[38:41]
	s_wait_loadcnt 0x0
	ds_store_b128 v108, v[42:45]
	s_wait_dscnt 0x0
	s_barrier_signal -1
	s_barrier_wait -1
	ds_load_b128 v[4:7], v101
	ds_load_b128 v[38:41], v92 offset:128
	ds_load_b128 v[42:45], v92 offset:384
	;; [unrolled: 1-line block ×9, first 2 shown]
	s_wait_dscnt 0x8
	;;#ASMSTART
	v_dot2_f32_f16 v21, v4, v38, v21
	;;#ASMEND
	;;#ASMSTART
	v_dot2_f32_f16 v21, v5, v39, v21
	;;#ASMEND
	;;#ASMSTART
	v_dot2_f32_f16 v21, v6, v40, v21
	;;#ASMEND
	;;#ASMSTART
	v_dot2_f32_f16 v21, v7, v41, v21
	;;#ASMEND
	s_wait_dscnt 0x7
	;;#ASMSTART
	v_dot2_f32_f16 v22, v4, v42, v22
	;;#ASMEND
	;;#ASMSTART
	v_dot2_f32_f16 v22, v5, v43, v22
	;;#ASMEND
	;;#ASMSTART
	v_dot2_f32_f16 v22, v6, v44, v22
	;;#ASMEND
	;;#ASMSTART
	v_dot2_f32_f16 v22, v7, v45, v22
	;;#ASMEND
	;; [unrolled: 13-line block ×8, first 2 shown]
	;;#ASMSTART
	v_dot2_f32_f16 v29, v138, v38, v29
	;;#ASMEND
	;;#ASMSTART
	v_dot2_f32_f16 v29, v139, v39, v29
	;;#ASMEND
	;; [unrolled: 3-line block ×32, first 2 shown]
	ds_load_b128 v[4:7], v101 offset:16
	ds_load_b128 v[38:41], v92 offset:144
	ds_load_b128 v[42:45], v92 offset:400
	ds_load_b128 v[46:49], v92 offset:656
	ds_load_b128 v[50:53], v92 offset:912
	ds_load_b128 v[138:141], v101 offset:4624
	ds_load_b128 v[142:145], v92 offset:1168
	ds_load_b128 v[146:149], v92 offset:1424
	ds_load_b128 v[150:153], v92 offset:1680
	ds_load_b128 v[154:157], v92 offset:1936
	s_wait_dscnt 0x8
	;;#ASMSTART
	v_dot2_f32_f16 v21, v4, v38, v21
	;;#ASMEND
	;;#ASMSTART
	v_dot2_f32_f16 v21, v5, v39, v21
	;;#ASMEND
	;;#ASMSTART
	v_dot2_f32_f16 v21, v6, v40, v21
	;;#ASMEND
	;;#ASMSTART
	v_dot2_f32_f16 v21, v7, v41, v21
	;;#ASMEND
	s_wait_dscnt 0x7
	;;#ASMSTART
	v_dot2_f32_f16 v22, v4, v42, v22
	;;#ASMEND
	;;#ASMSTART
	v_dot2_f32_f16 v22, v5, v43, v22
	;;#ASMEND
	;;#ASMSTART
	v_dot2_f32_f16 v22, v6, v44, v22
	;;#ASMEND
	;;#ASMSTART
	v_dot2_f32_f16 v22, v7, v45, v22
	;;#ASMEND
	;; [unrolled: 13-line block ×8, first 2 shown]
	;;#ASMSTART
	v_dot2_f32_f16 v29, v138, v38, v29
	;;#ASMEND
	;;#ASMSTART
	v_dot2_f32_f16 v29, v139, v39, v29
	;;#ASMEND
	;; [unrolled: 3-line block ×32, first 2 shown]
	ds_load_b128 v[4:7], v101 offset:32
	ds_load_b128 v[38:41], v92 offset:160
	;; [unrolled: 1-line block ×10, first 2 shown]
	s_wait_dscnt 0x8
	;;#ASMSTART
	v_dot2_f32_f16 v21, v4, v38, v21
	;;#ASMEND
	;;#ASMSTART
	v_dot2_f32_f16 v21, v5, v39, v21
	;;#ASMEND
	;;#ASMSTART
	v_dot2_f32_f16 v21, v6, v40, v21
	;;#ASMEND
	;;#ASMSTART
	v_dot2_f32_f16 v21, v7, v41, v21
	;;#ASMEND
	s_wait_dscnt 0x7
	;;#ASMSTART
	v_dot2_f32_f16 v22, v4, v42, v22
	;;#ASMEND
	;;#ASMSTART
	v_dot2_f32_f16 v22, v5, v43, v22
	;;#ASMEND
	;;#ASMSTART
	v_dot2_f32_f16 v22, v6, v44, v22
	;;#ASMEND
	;;#ASMSTART
	v_dot2_f32_f16 v22, v7, v45, v22
	;;#ASMEND
	;; [unrolled: 13-line block ×8, first 2 shown]
	;;#ASMSTART
	v_dot2_f32_f16 v29, v138, v38, v29
	;;#ASMEND
	;;#ASMSTART
	v_dot2_f32_f16 v29, v139, v39, v29
	;;#ASMEND
	;; [unrolled: 3-line block ×32, first 2 shown]
	ds_load_b128 v[4:7], v101 offset:48
	ds_load_b128 v[38:41], v92 offset:176
	;; [unrolled: 1-line block ×10, first 2 shown]
	s_wait_dscnt 0x8
	;;#ASMSTART
	v_dot2_f32_f16 v21, v4, v38, v21
	;;#ASMEND
	;;#ASMSTART
	v_dot2_f32_f16 v21, v5, v39, v21
	;;#ASMEND
	;;#ASMSTART
	v_dot2_f32_f16 v21, v6, v40, v21
	;;#ASMEND
	;;#ASMSTART
	v_dot2_f32_f16 v21, v7, v41, v21
	;;#ASMEND
	s_wait_dscnt 0x7
	;;#ASMSTART
	v_dot2_f32_f16 v22, v4, v42, v22
	;;#ASMEND
	;;#ASMSTART
	v_dot2_f32_f16 v22, v5, v43, v22
	;;#ASMEND
	;;#ASMSTART
	v_dot2_f32_f16 v22, v6, v44, v22
	;;#ASMEND
	;;#ASMSTART
	v_dot2_f32_f16 v22, v7, v45, v22
	;;#ASMEND
	;; [unrolled: 13-line block ×8, first 2 shown]
	;;#ASMSTART
	v_dot2_f32_f16 v29, v138, v38, v29
	;;#ASMEND
	;;#ASMSTART
	v_dot2_f32_f16 v29, v139, v39, v29
	;;#ASMEND
	;; [unrolled: 3-line block ×32, first 2 shown]
	ds_load_b128 v[4:7], v101 offset:64
	ds_load_b128 v[38:41], v92 offset:192
	;; [unrolled: 1-line block ×10, first 2 shown]
	s_wait_dscnt 0x8
	;;#ASMSTART
	v_dot2_f32_f16 v21, v4, v38, v21
	;;#ASMEND
	;;#ASMSTART
	v_dot2_f32_f16 v21, v5, v39, v21
	;;#ASMEND
	;;#ASMSTART
	v_dot2_f32_f16 v21, v6, v40, v21
	;;#ASMEND
	;;#ASMSTART
	v_dot2_f32_f16 v21, v7, v41, v21
	;;#ASMEND
	s_wait_dscnt 0x7
	;;#ASMSTART
	v_dot2_f32_f16 v22, v4, v42, v22
	;;#ASMEND
	;;#ASMSTART
	v_dot2_f32_f16 v22, v5, v43, v22
	;;#ASMEND
	;;#ASMSTART
	v_dot2_f32_f16 v22, v6, v44, v22
	;;#ASMEND
	;;#ASMSTART
	v_dot2_f32_f16 v22, v7, v45, v22
	;;#ASMEND
	;; [unrolled: 13-line block ×8, first 2 shown]
	;;#ASMSTART
	v_dot2_f32_f16 v29, v138, v38, v29
	;;#ASMEND
	;;#ASMSTART
	v_dot2_f32_f16 v29, v139, v39, v29
	;;#ASMEND
	;; [unrolled: 3-line block ×32, first 2 shown]
	ds_load_b128 v[4:7], v101 offset:80
	ds_load_b128 v[38:41], v92 offset:208
	;; [unrolled: 1-line block ×10, first 2 shown]
	s_wait_dscnt 0x8
	;;#ASMSTART
	v_dot2_f32_f16 v21, v4, v38, v21
	;;#ASMEND
	;;#ASMSTART
	v_dot2_f32_f16 v21, v5, v39, v21
	;;#ASMEND
	;;#ASMSTART
	v_dot2_f32_f16 v21, v6, v40, v21
	;;#ASMEND
	;;#ASMSTART
	v_dot2_f32_f16 v21, v7, v41, v21
	;;#ASMEND
	s_wait_dscnt 0x7
	;;#ASMSTART
	v_dot2_f32_f16 v22, v4, v42, v22
	;;#ASMEND
	;;#ASMSTART
	v_dot2_f32_f16 v22, v5, v43, v22
	;;#ASMEND
	;;#ASMSTART
	v_dot2_f32_f16 v22, v6, v44, v22
	;;#ASMEND
	;;#ASMSTART
	v_dot2_f32_f16 v22, v7, v45, v22
	;;#ASMEND
	s_wait_dscnt 0x6
	;;#ASMSTART
	v_dot2_f32_f16 v23, v4, v46, v23
	;;#ASMEND
	;;#ASMSTART
	v_dot2_f32_f16 v23, v5, v47, v23
	;;#ASMEND
	;;#ASMSTART
	v_dot2_f32_f16 v23, v6, v48, v23
	;;#ASMEND
	;;#ASMSTART
	v_dot2_f32_f16 v23, v7, v49, v23
	;;#ASMEND
	s_wait_dscnt 0x5
	;;#ASMSTART
	v_dot2_f32_f16 v24, v4, v50, v24
	;;#ASMEND
	;;#ASMSTART
	v_dot2_f32_f16 v24, v5, v51, v24
	;;#ASMEND
	;;#ASMSTART
	v_dot2_f32_f16 v24, v6, v52, v24
	;;#ASMEND
	;;#ASMSTART
	v_dot2_f32_f16 v24, v7, v53, v24
	;;#ASMEND
	s_wait_dscnt 0x3
	;;#ASMSTART
	v_dot2_f32_f16 v25, v4, v142, v25
	;;#ASMEND
	;;#ASMSTART
	v_dot2_f32_f16 v25, v5, v143, v25
	;;#ASMEND
	;;#ASMSTART
	v_dot2_f32_f16 v25, v6, v144, v25
	;;#ASMEND
	;;#ASMSTART
	v_dot2_f32_f16 v25, v7, v145, v25
	;;#ASMEND
	s_wait_dscnt 0x2
	;;#ASMSTART
	v_dot2_f32_f16 v26, v4, v146, v26
	;;#ASMEND
	;;#ASMSTART
	v_dot2_f32_f16 v26, v5, v147, v26
	;;#ASMEND
	;;#ASMSTART
	v_dot2_f32_f16 v26, v6, v148, v26
	;;#ASMEND
	;;#ASMSTART
	v_dot2_f32_f16 v26, v7, v149, v26
	;;#ASMEND
	s_wait_dscnt 0x1
	;;#ASMSTART
	v_dot2_f32_f16 v27, v4, v150, v27
	;;#ASMEND
	;;#ASMSTART
	v_dot2_f32_f16 v27, v5, v151, v27
	;;#ASMEND
	;;#ASMSTART
	v_dot2_f32_f16 v27, v6, v152, v27
	;;#ASMEND
	;;#ASMSTART
	v_dot2_f32_f16 v27, v7, v153, v27
	;;#ASMEND
	s_wait_dscnt 0x0
	;;#ASMSTART
	v_dot2_f32_f16 v28, v4, v154, v28
	;;#ASMEND
	;;#ASMSTART
	v_dot2_f32_f16 v28, v5, v155, v28
	;;#ASMEND
	;;#ASMSTART
	v_dot2_f32_f16 v28, v6, v156, v28
	;;#ASMEND
	;;#ASMSTART
	v_dot2_f32_f16 v28, v7, v157, v28
	;;#ASMEND
	;;#ASMSTART
	v_dot2_f32_f16 v29, v138, v38, v29
	;;#ASMEND
	;;#ASMSTART
	v_dot2_f32_f16 v29, v139, v39, v29
	;;#ASMEND
	;; [unrolled: 3-line block ×32, first 2 shown]
	ds_load_b128 v[4:7], v101 offset:96
	ds_load_b128 v[38:41], v92 offset:224
	;; [unrolled: 1-line block ×10, first 2 shown]
	s_wait_dscnt 0x8
	;;#ASMSTART
	v_dot2_f32_f16 v21, v4, v38, v21
	;;#ASMEND
	;;#ASMSTART
	v_dot2_f32_f16 v21, v5, v39, v21
	;;#ASMEND
	;;#ASMSTART
	v_dot2_f32_f16 v21, v6, v40, v21
	;;#ASMEND
	;;#ASMSTART
	v_dot2_f32_f16 v21, v7, v41, v21
	;;#ASMEND
	s_wait_dscnt 0x7
	;;#ASMSTART
	v_dot2_f32_f16 v22, v4, v42, v22
	;;#ASMEND
	;;#ASMSTART
	v_dot2_f32_f16 v22, v5, v43, v22
	;;#ASMEND
	;;#ASMSTART
	v_dot2_f32_f16 v22, v6, v44, v22
	;;#ASMEND
	;;#ASMSTART
	v_dot2_f32_f16 v22, v7, v45, v22
	;;#ASMEND
	s_wait_dscnt 0x6
	;;#ASMSTART
	v_dot2_f32_f16 v23, v4, v46, v23
	;;#ASMEND
	;;#ASMSTART
	v_dot2_f32_f16 v23, v5, v47, v23
	;;#ASMEND
	;;#ASMSTART
	v_dot2_f32_f16 v23, v6, v48, v23
	;;#ASMEND
	;;#ASMSTART
	v_dot2_f32_f16 v23, v7, v49, v23
	;;#ASMEND
	s_wait_dscnt 0x5
	;;#ASMSTART
	v_dot2_f32_f16 v24, v4, v50, v24
	;;#ASMEND
	;;#ASMSTART
	v_dot2_f32_f16 v24, v5, v51, v24
	;;#ASMEND
	;;#ASMSTART
	v_dot2_f32_f16 v24, v6, v52, v24
	;;#ASMEND
	;;#ASMSTART
	v_dot2_f32_f16 v24, v7, v53, v24
	;;#ASMEND
	s_wait_dscnt 0x3
	;;#ASMSTART
	v_dot2_f32_f16 v25, v4, v142, v25
	;;#ASMEND
	;;#ASMSTART
	v_dot2_f32_f16 v25, v5, v143, v25
	;;#ASMEND
	;;#ASMSTART
	v_dot2_f32_f16 v25, v6, v144, v25
	;;#ASMEND
	;;#ASMSTART
	v_dot2_f32_f16 v25, v7, v145, v25
	;;#ASMEND
	s_wait_dscnt 0x2
	;;#ASMSTART
	v_dot2_f32_f16 v26, v4, v146, v26
	;;#ASMEND
	;;#ASMSTART
	v_dot2_f32_f16 v26, v5, v147, v26
	;;#ASMEND
	;;#ASMSTART
	v_dot2_f32_f16 v26, v6, v148, v26
	;;#ASMEND
	;;#ASMSTART
	v_dot2_f32_f16 v26, v7, v149, v26
	;;#ASMEND
	s_wait_dscnt 0x1
	;;#ASMSTART
	v_dot2_f32_f16 v27, v4, v150, v27
	;;#ASMEND
	;;#ASMSTART
	v_dot2_f32_f16 v27, v5, v151, v27
	;;#ASMEND
	;;#ASMSTART
	v_dot2_f32_f16 v27, v6, v152, v27
	;;#ASMEND
	;;#ASMSTART
	v_dot2_f32_f16 v27, v7, v153, v27
	;;#ASMEND
	s_wait_dscnt 0x0
	;;#ASMSTART
	v_dot2_f32_f16 v28, v4, v154, v28
	;;#ASMEND
	;;#ASMSTART
	v_dot2_f32_f16 v28, v5, v155, v28
	;;#ASMEND
	;;#ASMSTART
	v_dot2_f32_f16 v28, v6, v156, v28
	;;#ASMEND
	;;#ASMSTART
	v_dot2_f32_f16 v28, v7, v157, v28
	;;#ASMEND
	;;#ASMSTART
	v_dot2_f32_f16 v29, v138, v38, v29
	;;#ASMEND
	;;#ASMSTART
	v_dot2_f32_f16 v29, v139, v39, v29
	;;#ASMEND
	;; [unrolled: 3-line block ×32, first 2 shown]
	ds_load_b128 v[4:7], v101 offset:112
	ds_load_b128 v[38:41], v92 offset:240
	;; [unrolled: 1-line block ×10, first 2 shown]
	s_wait_dscnt 0x8
	;;#ASMSTART
	v_dot2_f32_f16 v21, v4, v38, v21
	;;#ASMEND
	;;#ASMSTART
	v_dot2_f32_f16 v21, v5, v39, v21
	;;#ASMEND
	;;#ASMSTART
	v_dot2_f32_f16 v21, v6, v40, v21
	;;#ASMEND
	;;#ASMSTART
	v_dot2_f32_f16 v21, v7, v41, v21
	;;#ASMEND
	s_wait_dscnt 0x7
	;;#ASMSTART
	v_dot2_f32_f16 v22, v4, v42, v22
	;;#ASMEND
	;;#ASMSTART
	v_dot2_f32_f16 v22, v5, v43, v22
	;;#ASMEND
	;;#ASMSTART
	v_dot2_f32_f16 v22, v6, v44, v22
	;;#ASMEND
	;;#ASMSTART
	v_dot2_f32_f16 v22, v7, v45, v22
	;;#ASMEND
	;; [unrolled: 13-line block ×8, first 2 shown]
	;;#ASMSTART
	v_dot2_f32_f16 v29, v138, v38, v29
	;;#ASMEND
	;;#ASMSTART
	v_dot2_f32_f16 v29, v139, v39, v29
	;;#ASMEND
	;; [unrolled: 3-line block ×32, first 2 shown]
	s_clause 0x7
	global_load_u16 v4, v13, s[40:41] scale_offset
	global_load_u16 v5, v13, s[40:41] offset:64 scale_offset
	global_load_u16 v6, v14, s[40:41] scale_offset
	global_load_u16 v7, v14, s[40:41] offset:64 scale_offset
	;; [unrolled: 2-line block ×4, first 2 shown]
	v_lshlrev_b32_e32 v16, 2, v12
	s_wait_loadcnt 0x0
	s_barrier_signal -1
	s_barrier_wait -1
	s_clause 0x1
	global_load_b128 v[8:11], v[0:1], off
	global_load_b128 v[12:15], v[2:3], off
	s_wait_xcnt 0x1
	v_cvt_f32_f16_e32 v0, v4
	v_cvt_f32_f16_e32 v1, v5
	s_wait_xcnt 0x0
	v_cvt_f32_f16_e32 v2, v6
	v_cvt_f32_f16_e32 v3, v7
	;; [unrolled: 1-line block ×4, first 2 shown]
	v_dual_add_f32 v21, v21, v0 :: v_dual_add_f32 v22, v22, v0
	v_cvt_f32_f16_e32 v7, v40
	v_add_f32_e32 v29, v29, v1
	v_cvt_f32_f16_e32 v6, v39
	v_dual_add_f32 v30, v30, v1 :: v_dual_add_f32 v23, v23, v2
	v_dual_add_f32 v31, v31, v3 :: v_dual_add_f32 v24, v24, v2
	;; [unrolled: 1-line block ×12, first 2 shown]
	v_max3_num_f32 v0, v130, v0, v1
	v_max3_num_f32 v1, v131, v2, v3
	;; [unrolled: 1-line block ×3, first 2 shown]
	s_delay_alu instid0(VALU_DEP_4)
	v_max3_num_f32 v4, v134, v37, v38
	v_dual_add_f32 v40, 0x40051340, v34 :: v_dual_add_f32 v41, 0x40051340, v27
	ds_bpermute_b32 v37, v20, v0
	v_dual_add_f32 v42, 0x40051340, v35 :: v_dual_add_f32 v43, 0x40051340, v28
	v_add_f32_e32 v44, 0x40051340, v36
	v_max3_num_f32 v3, v133, v6, v7
	v_max3_num_f32 v5, v135, v39, v40
	s_delay_alu instid0(VALU_DEP_4)
	v_max3_num_f32 v6, v136, v41, v42
	ds_bpermute_b32 v38, v20, v1
	ds_bpermute_b32 v39, v20, v2
	ds_bpermute_b32 v40, v20, v3
	ds_bpermute_b32 v41, v20, v4
	ds_bpermute_b32 v42, v20, v5
	s_wait_dscnt 0x5
	v_max_num_f32_e32 v37, v37, v37
	v_max3_num_f32 v7, v137, v43, v44
	ds_bpermute_b32 v43, v20, v6
	ds_bpermute_b32 v20, v20, v7
	s_wait_dscnt 0x5
	v_dual_max_num_f32 v38, v38, v38 :: v_dual_max_num_f32 v39, v39, v39
	v_max_num_f32_e32 v0, v0, v37
	s_wait_dscnt 0x3
	v_dual_max_num_f32 v40, v40, v40 :: v_dual_max_num_f32 v41, v41, v41
	s_delay_alu instid0(VALU_DEP_3) | instskip(SKIP_1) | instid1(VALU_DEP_2)
	v_dual_max_num_f32 v1, v1, v38 :: v_dual_max_num_f32 v2, v2, v39
	s_wait_dscnt 0x2
	v_dual_max_num_f32 v42, v42, v42 :: v_dual_max_num_f32 v3, v3, v40
	s_delay_alu instid0(VALU_DEP_3)
	v_max_num_f32_e32 v4, v4, v41
	ds_bpermute_b32 v37, v19, v1
	ds_bpermute_b32 v38, v19, v2
	;; [unrolled: 1-line block ×4, first 2 shown]
	s_wait_dscnt 0x5
	v_dual_max_num_f32 v43, v43, v43 :: v_dual_max_num_f32 v5, v5, v42
	s_wait_dscnt 0x4
	s_delay_alu instid0(VALU_DEP_1)
	v_dual_max_num_f32 v20, v20, v20 :: v_dual_max_num_f32 v6, v6, v43
	ds_bpermute_b32 v41, v19, v5
	v_max_num_f32_e32 v7, v7, v20
	ds_bpermute_b32 v20, v19, v0
	ds_bpermute_b32 v42, v19, v6
	s_wait_dscnt 0x5
	v_dual_max_num_f32 v37, v37, v37 :: v_dual_max_num_f32 v38, v38, v38
	s_wait_dscnt 0x3
	v_dual_max_num_f32 v39, v39, v39 :: v_dual_max_num_f32 v40, v40, v40
	s_delay_alu instid0(VALU_DEP_2) | instskip(NEXT) | instid1(VALU_DEP_2)
	v_dual_max_num_f32 v1, v1, v37 :: v_dual_max_num_f32 v2, v2, v38
	v_dual_max_num_f32 v3, v3, v39 :: v_dual_max_num_f32 v4, v4, v40
	s_wait_dscnt 0x2
	v_max_num_f32_e32 v41, v41, v41
	ds_bpermute_b32 v37, v18, v2
	ds_bpermute_b32 v38, v18, v3
	;; [unrolled: 1-line block ×3, first 2 shown]
	s_wait_dscnt 0x4
	v_max_num_f32_e32 v20, v20, v20
	ds_bpermute_b32 v19, v19, v7
	s_wait_dscnt 0x4
	v_dual_max_num_f32 v42, v42, v42 :: v_dual_max_num_f32 v5, v5, v41
	v_max_num_f32_e32 v0, v0, v20
	ds_bpermute_b32 v20, v18, v1
	v_max_num_f32_e32 v6, v6, v42
	ds_bpermute_b32 v40, v18, v5
	ds_bpermute_b32 v41, v18, v6
	s_wait_dscnt 0x5
	v_dual_max_num_f32 v37, v37, v37 :: v_dual_max_num_f32 v38, v38, v38
	s_wait_dscnt 0x4
	v_max_num_f32_e32 v39, v39, v39
	s_wait_dscnt 0x3
	s_delay_alu instid0(VALU_DEP_2) | instskip(NEXT) | instid1(VALU_DEP_2)
	v_dual_max_num_f32 v19, v19, v19 :: v_dual_max_num_f32 v2, v2, v37
	v_dual_max_num_f32 v3, v3, v38 :: v_dual_max_num_f32 v4, v4, v39
	s_wait_dscnt 0x2
	s_delay_alu instid0(VALU_DEP_2)
	v_dual_max_num_f32 v7, v7, v19 :: v_dual_max_num_f32 v20, v20, v20
	ds_bpermute_b32 v19, v18, v0
	s_wait_dscnt 0x2
	v_max_num_f32_e32 v40, v40, v40
	ds_bpermute_b32 v37, v17, v3
	ds_bpermute_b32 v18, v18, v7
	s_wait_dscnt 0x3
	v_max_num_f32_e32 v41, v41, v41
	v_max_num_f32_e32 v1, v1, v20
	;; [unrolled: 1-line block ×3, first 2 shown]
	ds_bpermute_b32 v20, v17, v2
	ds_bpermute_b32 v38, v17, v4
	v_max_num_f32_e32 v6, v6, v41
	ds_bpermute_b32 v39, v17, v5
	ds_bpermute_b32 v40, v17, v6
	s_wait_dscnt 0x5
	v_dual_max_num_f32 v19, v19, v19 :: v_dual_max_num_f32 v37, v37, v37
	s_wait_dscnt 0x4
	s_delay_alu instid0(VALU_DEP_1)
	v_dual_max_num_f32 v18, v18, v18 :: v_dual_max_num_f32 v0, v0, v19
	ds_bpermute_b32 v19, v17, v1
	s_wait_dscnt 0x4
	v_dual_max_num_f32 v20, v20, v20 :: v_dual_max_num_f32 v7, v7, v18
	s_wait_dscnt 0x3
	v_max_num_f32_e32 v38, v38, v38
	ds_bpermute_b32 v18, v17, v0
	s_wait_dscnt 0x3
	v_dual_max_num_f32 v39, v39, v39 :: v_dual_max_num_f32 v2, v2, v20
	v_dual_max_num_f32 v3, v3, v37 :: v_dual_max_num_f32 v4, v4, v38
	s_wait_dscnt 0x2
	s_delay_alu instid0(VALU_DEP_2)
	v_dual_max_num_f32 v40, v40, v40 :: v_dual_max_num_f32 v5, v5, v39
	ds_bpermute_b32 v20, v16, v3
	ds_bpermute_b32 v37, v16, v4
	v_max_num_f32_e32 v6, v6, v40
	ds_bpermute_b32 v38, v16, v5
	ds_bpermute_b32 v39, v16, v6
	s_wait_dscnt 0x4
	v_dual_max_num_f32 v19, v19, v19 :: v_dual_max_num_f32 v18, v18, v18
	ds_bpermute_b32 v17, v17, v7
	v_max_num_f32_e32 v1, v1, v19
	ds_bpermute_b32 v19, v16, v2
	v_max_num_f32_e32 v0, v0, v18
	ds_bpermute_b32 v18, v16, v1
	s_wait_dscnt 0x5
	v_dual_max_num_f32 v20, v20, v20 :: v_dual_max_num_f32 v37, v37, v37
	s_wait_dscnt 0x4
	s_delay_alu instid0(VALU_DEP_1) | instskip(SKIP_1) | instid1(VALU_DEP_2)
	v_dual_max_num_f32 v38, v38, v38 :: v_dual_max_num_f32 v3, v3, v20
	s_wait_dscnt 0x3
	v_dual_max_num_f32 v4, v4, v37 :: v_dual_max_num_f32 v39, v39, v39
	s_delay_alu instid0(VALU_DEP_1) | instskip(SKIP_3) | instid1(VALU_DEP_2)
	v_dual_max_num_f32 v5, v5, v38 :: v_dual_max_num_f32 v6, v6, v39
	s_wait_dscnt 0x2
	v_max_num_f32_e32 v17, v17, v17
	s_wait_dscnt 0x1
	v_dual_sub_f32 v26, v26, v5 :: v_dual_max_num_f32 v19, v19, v19
	v_sub_f32_e32 v27, v27, v6
	s_delay_alu instid0(VALU_DEP_3)
	v_max_num_f32_e32 v7, v7, v17
	ds_bpermute_b32 v17, v16, v0
	s_wait_dscnt 0x1
	v_max_num_f32_e32 v18, v18, v18
	v_max_num_f32_e32 v2, v2, v19
	v_mul_f32_e32 v42, 0x3fb8aa3b, v26
	v_mul_f32_e32 v44, 0x3fb8aa3b, v27
	v_cmp_ngt_f32_e64 s9, 0xc2ce8ed0, v26
	v_max_num_f32_e32 v1, v1, v18
	v_dual_sub_f32 v20, v23, v2 :: v_dual_sub_f32 v23, v32, v3
	v_fma_f32 v150, 0x3fb8aa3b, v26, -v42
	v_rndne_f32_e32 v151, v42
	s_delay_alu instid0(VALU_DEP_4)
	v_sub_f32_e32 v18, v22, v1
	v_dual_sub_f32 v19, v30, v1 :: v_dual_sub_f32 v22, v24, v3
	v_sub_f32_e32 v24, v25, v4
	v_sub_f32_e32 v25, v33, v4
	v_mul_f32_e32 v39, 0x3fb8aa3b, v23
	v_fma_f32 v154, 0x3fb8aa3b, v27, -v44
	v_mul_f32_e32 v38, 0x3fb8aa3b, v22
	s_wait_dscnt 0x0
	v_dual_mul_f32 v40, 0x3fb8aa3b, v24 :: v_dual_max_num_f32 v17, v17, v17
	ds_bpermute_b32 v16, v16, v7
	v_mul_f32_e32 v41, 0x3fb8aa3b, v25
	v_rndne_f32_e32 v145, v39
	v_rndne_f32_e32 v147, v40
	v_max_num_f32_e32 v0, v0, v17
	v_fma_f32 v146, 0x3fb8aa3b, v24, -v40
	v_fma_f32 v148, 0x3fb8aa3b, v25, -v41
	v_rndne_f32_e32 v149, v41
	v_fma_f32 v144, 0x3fb8aa3b, v23, -v39
	v_dual_sub_f32 v17, v29, v0 :: v_dual_sub_f32 v29, v34, v5
	v_dual_mul_f32 v34, 0x3fb8aa3b, v18 :: v_dual_sub_f32 v39, v39, v145
	s_delay_alu instid0(VALU_DEP_4) | instskip(NEXT) | instid1(VALU_DEP_3)
	v_sub_f32_e32 v41, v41, v149
	v_mul_f32_e32 v33, 0x3fb8aa3b, v17
	s_delay_alu instid0(VALU_DEP_4) | instskip(NEXT) | instid1(VALU_DEP_4)
	v_mul_f32_e32 v43, 0x3fb8aa3b, v29
	v_fma_f32 v52, 0x3fb8aa3b, v18, -v34
	v_rndne_f32_e32 v53, v34
	v_fma_f32 v142, 0x3fb8aa3b, v22, -v38
	v_fma_f32 v50, 0x3fb8aa3b, v17, -v33
	s_wait_dscnt 0x0
	v_max_num_f32_e32 v16, v16, v16
	v_rndne_f32_e32 v51, v33
	v_rndne_f32_e32 v143, v38
	v_fma_f32 v152, 0x3fb8aa3b, v29, -v43
	v_rndne_f32_e32 v153, v43
	v_max_num_f32_e32 v7, v7, v16
	v_dual_sub_f32 v16, v21, v0 :: v_dual_sub_f32 v21, v31, v2
	v_dual_sub_f32 v30, v35, v6 :: v_dual_mul_f32 v35, 0x3fb8aa3b, v19
	s_delay_alu instid0(VALU_DEP_2) | instskip(SKIP_1) | instid1(VALU_DEP_4)
	v_dual_sub_f32 v31, v36, v7 :: v_dual_mul_f32 v32, 0x3fb8aa3b, v16
	v_sub_f32_e32 v28, v28, v7
	v_dual_mul_f32 v36, 0x3fb8aa3b, v20 :: v_dual_mul_f32 v37, 0x3fb8aa3b, v21
	s_delay_alu instid0(VALU_DEP_4) | instskip(NEXT) | instid1(VALU_DEP_4)
	v_mul_f32_e32 v45, 0x3fb8aa3b, v30
	v_fma_f32 v48, 0x3fb8aa3b, v16, -v32
	s_delay_alu instid0(VALU_DEP_4)
	v_mul_f32_e32 v46, 0x3fb8aa3b, v28
	v_fma_f32 v54, 0x3fb8aa3b, v19, -v35
	v_rndne_f32_e32 v55, v35
	v_fma_f32 v138, 0x3fb8aa3b, v20, -v36
	v_rndne_f32_e32 v139, v36
	;; [unrolled: 2-line block ×3, first 2 shown]
	v_dual_fmac_f32 v48, 0x32a5705f, v16 :: v_dual_sub_f32 v33, v33, v51
	v_dual_fmac_f32 v50, 0x32a5705f, v17 :: v_dual_sub_f32 v35, v35, v55
	s_delay_alu instid0(VALU_DEP_3)
	v_dual_fmac_f32 v52, 0x32a5705f, v18 :: v_dual_sub_f32 v37, v37, v141
	v_dual_sub_f32 v34, v34, v53 :: v_dual_sub_f32 v36, v36, v139
	v_rndne_f32_e32 v159, v46
	v_fmac_f32_e32 v54, 0x32a5705f, v19
	v_fmac_f32_e32 v138, 0x32a5705f, v20
	v_dual_fmac_f32 v140, 0x32a5705f, v21 :: v_dual_add_f32 v33, v33, v50
	v_dual_sub_f32 v40, v40, v147 :: v_dual_add_f32 v34, v34, v52
	v_rndne_f32_e32 v49, v32
	v_mul_f32_e32 v47, 0x3fb8aa3b, v31
	v_fma_f32 v158, 0x3fb8aa3b, v28, -v46
	v_dual_fmac_f32 v146, 0x32a5705f, v24 :: v_dual_add_f32 v35, v35, v54
	v_dual_fmac_f32 v148, 0x32a5705f, v25 :: v_dual_add_f32 v37, v37, v140
	v_dual_sub_f32 v46, v46, v159 :: v_dual_add_f32 v36, v36, v138
	v_exp_f32_e32 v33, v33
	v_exp_f32_e32 v34, v34
	v_rndne_f32_e32 v155, v44
	v_fma_f32 v156, 0x3fb8aa3b, v30, -v45
	v_rndne_f32_e32 v157, v45
	v_sub_f32_e32 v32, v32, v49
	v_fma_f32 v160, 0x3fb8aa3b, v31, -v47
	v_rndne_f32_e32 v161, v47
	v_cvt_i32_f32_e32 v51, v51
	v_cvt_i32_f32_e32 v53, v53
	v_exp_f32_e32 v35, v35
	v_exp_f32_e32 v36, v36
	;; [unrolled: 1-line block ×3, first 2 shown]
	v_dual_fmac_f32 v142, 0x32a5705f, v22 :: v_dual_sub_f32 v43, v43, v153
	v_dual_sub_f32 v38, v38, v143 :: v_dual_sub_f32 v45, v45, v157
	v_dual_fmac_f32 v144, 0x32a5705f, v23 :: v_dual_sub_f32 v47, v47, v161
	v_fmac_f32_e32 v150, 0x32a5705f, v26
	v_dual_sub_f32 v42, v42, v151 :: v_dual_add_f32 v32, v32, v48
	v_dual_fmac_f32 v152, 0x32a5705f, v29 :: v_dual_add_f32 v41, v41, v148
	v_fmac_f32_e32 v154, 0x32a5705f, v27
	v_dual_sub_f32 v44, v44, v155 :: v_dual_add_f32 v38, v38, v142
	v_fmac_f32_e32 v160, 0x32a5705f, v31
	v_fmac_f32_e32 v156, 0x32a5705f, v30
	v_cvt_i32_f32_e32 v55, v55
	v_cvt_i32_f32_e32 v139, v139
	;; [unrolled: 1-line block ×3, first 2 shown]
	v_ldexp_f32 v33, v33, v51
	v_ldexp_f32 v34, v34, v53
	v_cmp_ngt_f32_e32 vcc_lo, 0xc2ce8ed0, v18
	v_fmac_f32_e32 v158, 0x32a5705f, v28
	v_cmp_ngt_f32_e64 s16, 0xc2ce8ed0, v17
	v_dual_add_f32 v39, v39, v144 :: v_dual_add_f32 v40, v40, v146
	v_add_f32_e32 v43, v43, v152
	v_add_f32_e32 v47, v47, v160
	;; [unrolled: 1-line block ×3, first 2 shown]
	v_ldexp_f32 v35, v35, v55
	v_ldexp_f32 v36, v36, v139
	v_ldexp_f32 v37, v37, v141
	v_cmp_ngt_f32_e64 s2, 0xc2ce8ed0, v19
	v_add_f32_e32 v42, v42, v150
	v_cmp_ngt_f32_e64 s3, 0xc2ce8ed0, v20
	v_add_f32_e32 v44, v44, v154
	v_cmp_ngt_f32_e64 s4, 0xc2ce8ed0, v21
	v_cndmask_b32_e64 v33, 0, v33, s16
	v_cmp_nlt_f32_e64 s16, 0x42b17218, v17
	v_cndmask_b32_e32 v17, 0, v34, vcc_lo
	v_add_f32_e32 v46, v46, v158
	v_exp_f32_e32 v32, v32
	v_exp_f32_e32 v38, v38
	;; [unrolled: 1-line block ×7, first 2 shown]
	v_cmp_nlt_f32_e32 vcc_lo, 0x42b17218, v18
	v_cndmask_b32_e64 v18, 0, v35, s2
	v_exp_f32_e32 v42, v42
	v_cmp_nlt_f32_e64 s2, 0x42b17218, v19
	v_cndmask_b32_e64 v19, 0, v36, s3
	v_exp_f32_e32 v44, v44
	v_cmp_nlt_f32_e64 s3, 0x42b17218, v20
	v_cndmask_b32_e64 v20, 0, v37, s4
	v_exp_f32_e32 v46, v46
	v_exp_f32_e32 v47, v47
	v_cvt_i32_f32_e32 v49, v49
	v_cvt_i32_f32_e32 v143, v143
	v_cvt_i32_f32_e32 v145, v145
	v_cvt_i32_f32_e32 v147, v147
	v_cvt_i32_f32_e32 v149, v149
	v_cvt_i32_f32_e32 v151, v151
	v_cvt_i32_f32_e32 v153, v153
	v_cvt_i32_f32_e32 v155, v155
	v_cvt_i32_f32_e32 v157, v157
	v_cvt_i32_f32_e32 v159, v159
	v_cvt_i32_f32_e32 v161, v161
	v_ldexp_f32 v32, v32, v49
	v_ldexp_f32 v38, v38, v143
	;; [unrolled: 1-line block ×10, first 2 shown]
	v_cmp_ngt_f32_e64 s5, 0xc2ce8ed0, v22
	v_cmp_ngt_f32_e64 s6, 0xc2ce8ed0, v23
	;; [unrolled: 1-line block ×9, first 2 shown]
	v_ldexp_f32 v47, v47, v161
	v_cmp_ngt_f32_e64 s14, 0xc2ce8ed0, v31
	v_cmp_nlt_f32_e64 s4, 0x42b17218, v21
	v_cndmask_b32_e64 v21, 0, v38, s5
	v_cmp_nlt_f32_e64 s5, 0x42b17218, v22
	v_cndmask_b32_e64 v22, 0, v39, s6
	;; [unrolled: 2-line block ×8, first 2 shown]
	v_cmp_nlt_f32_e64 s12, 0x42b17218, v30
	v_dual_cndmask_b32 v30, 0, v46, s13 :: v_dual_cndmask_b32 v32, 0, v32, s15
	v_cmp_nlt_f32_e64 s13, 0x42b17218, v28
	v_cmp_nlt_f32_e64 s15, 0x42b17218, v16
	v_cndmask_b32_e64 v28, 0, v47, s14
	v_cmp_nlt_f32_e64 s14, 0x42b17218, v31
	v_cndmask_b32_e32 v41, 0x7f800000, v17, vcc_lo
	v_cndmask_b32_e64 v44, 0x7f800000, v19, s3
	v_cndmask_b32_e64 v40, 0x7f800000, v32, s15
	;; [unrolled: 1-line block ×15, first 2 shown]
	v_cvt_pk_f16_f32 v19, v50, v51
	v_cvt_pk_f16_f32 v18, v48, v49
	;; [unrolled: 1-line block ×8, first 2 shown]
	ds_store_b128 v103, v[16:19]
	ds_store_b128 v103, v[20:23] offset:512
	s_wait_loadcnt 0x1
	ds_store_b128 v109, v[8:11]
	s_wait_loadcnt 0x0
	ds_store_b128 v110, v[12:15]
	s_wait_dscnt 0x0
	s_barrier_signal -1
	s_barrier_wait -1
	ds_load_b128 v[12:15], v99
	ds_load_b128 v[8:11], v99 offset:16
	ds_load_b128 v[20:23], v99 offset:32
	;; [unrolled: 1-line block ×11, first 2 shown]
	s_wait_dscnt 0xb
	v_lshrrev_b32_e32 v228, 16, v14
	v_pk_add_f32 v[40:41], v[40:41], v[42:43]
	v_pk_add_f32 v[42:43], v[44:45], v[46:47]
	;; [unrolled: 1-line block ×4, first 2 shown]
	v_lshrrev_b32_e32 v233, 16, v12
	s_wait_dscnt 0x5
	v_dual_lshrrev_b32 v191, 16, v36 :: v_dual_lshrrev_b32 v189, 16, v37
	s_wait_dscnt 0x4
	v_dual_lshrrev_b32 v183, 16, v32 :: v_dual_lshrrev_b32 v180, 16, v33
	v_and_b32_e32 v187, 0xffff, v32
	v_sub_f32_e32 v32, v137, v7
	v_and_b32_e32 v192, 0xffff, v37
	v_dual_lshrrev_b32 v231, 16, v13 :: v_dual_lshrrev_b32 v226, 16, v15
	v_and_b32_e32 v235, 0xffff, v12
	s_delay_alu instid0(VALU_DEP_4)
	v_mul_f32_e32 v37, 0x3fb8aa3b, v32
	v_and_b32_e32 v234, 0xffff, v13
	v_and_b32_e32 v232, 0xffff, v14
	;; [unrolled: 1-line block ×3, first 2 shown]
	v_dual_lshrrev_b32 v225, 16, v8 :: v_dual_lshrrev_b32 v222, 16, v9
	v_fma_f32 v48, 0x3fb8aa3b, v32, -v37
	v_rndne_f32_e32 v49, v37
	v_dual_lshrrev_b32 v221, 16, v10 :: v_dual_lshrrev_b32 v220, 16, v11
	v_and_b32_e32 v229, 0xffff, v8
	s_delay_alu instid0(VALU_DEP_3)
	v_dual_fmac_f32 v48, 0x32a5705f, v32 :: v_dual_sub_f32 v37, v37, v49
	v_cvt_i32_f32_e32 v49, v49
	v_and_b32_e32 v227, 0xffff, v9
	v_and_b32_e32 v224, 0xffff, v10
	;; [unrolled: 1-line block ×3, first 2 shown]
	v_dual_add_f32 v37, v37, v48 :: v_dual_sub_f32 v48, v136, v6
	v_cmp_ngt_f32_e32 vcc_lo, 0xc2ce8ed0, v32
	v_dual_lshrrev_b32 v217, 16, v20 :: v_dual_lshrrev_b32 v215, 16, v21
	v_and_b32_e32 v219, 0xffff, v20
	s_delay_alu instid0(VALU_DEP_4)
	v_mul_f32_e32 v50, 0x3fb8aa3b, v48
	v_exp_f32_e32 v37, v37
	v_cmp_ngt_f32_e64 s2, 0xc2ce8ed0, v48
	v_and_b32_e32 v218, 0xffff, v21
	v_dual_lshrrev_b32 v209, 16, v16 :: v_dual_lshrrev_b32 v206, 16, v17
	v_fma_f32 v51, 0x3fb8aa3b, v48, -v50
	v_rndne_f32_e32 v52, v50
	s_delay_alu instid0(TRANS32_DEP_1) | instskip(SKIP_1) | instid1(VALU_DEP_4)
	v_ldexp_f32 v37, v37, v49
	v_dual_lshrrev_b32 v205, 16, v18 :: v_dual_lshrrev_b32 v204, 16, v19
	v_fmac_f32_e32 v51, 0x32a5705f, v48
	s_delay_alu instid0(VALU_DEP_3) | instskip(SKIP_3) | instid1(VALU_DEP_4)
	v_dual_sub_f32 v50, v50, v52 :: v_dual_cndmask_b32 v37, 0, v37
	v_cvt_i32_f32_e32 v49, v52
	v_cmp_nlt_f32_e32 vcc_lo, 0x42b17218, v32
	v_and_b32_e32 v211, 0xffff, v17
	v_add_f32_e32 v50, v50, v51
	v_and_b32_e32 v208, 0xffff, v18
	v_and_b32_e32 v207, 0xffff, v19
	v_dual_lshrrev_b32 v186, 16, v38 :: v_dual_lshrrev_b32 v184, 16, v39
	s_delay_alu instid0(VALU_DEP_4)
	v_exp_f32_e32 v50, v50
	v_and_b32_e32 v188, 0xffff, v39
	s_wait_dscnt 0x3
	v_dual_lshrrev_b32 v164, 16, v140 :: v_dual_lshrrev_b32 v162, 16, v141
	v_and_b32_e32 v166, 0xffff, v141
	s_wait_dscnt 0x2
	v_dual_lshrrev_b32 v161, 16, v142 :: v_dual_lshrrev_b32 v158, 16, v143
	v_ldexp_f32 v49, v50, v49
	v_dual_lshrrev_b32 v157, 16, v144 :: v_dual_lshrrev_b32 v156, 16, v145
	v_and_b32_e32 v165, 0xffff, v142
	v_and_b32_e32 v160, 0xffff, v144
	s_delay_alu instid0(VALU_DEP_4)
	v_cndmask_b32_e64 v32, 0, v49, s2
	v_cmp_nlt_f32_e64 s2, 0x42b17218, v48
	v_cndmask_b32_e32 v49, 0x7f800000, v37, vcc_lo
	v_and_b32_e32 v159, 0xffff, v145
	s_wait_dscnt 0x1
	v_dual_lshrrev_b32 v146, 16, v148 :: v_dual_lshrrev_b32 v144, 16, v149
	v_cndmask_b32_e64 v48, 0x7f800000, v32, s2
	v_dual_sub_f32 v32, v135, v5 :: v_dual_lshrrev_b32 v141, 16, v150
	v_lshrrev_b32_e32 v39, 16, v151
	v_and_b32_e32 v147, 0xffff, v149
	s_delay_alu instid0(VALU_DEP_4) | instskip(NEXT) | instid1(VALU_DEP_4)
	v_pk_fma_f32 v[56:57], v[56:57], v[48:49], v[46:47]
	v_mul_f32_e32 v37, 0x3fb8aa3b, v32
	v_cmp_ngt_f32_e32 vcc_lo, 0xc2ce8ed0, v32
	v_and_b32_e32 v145, 0xffff, v150
	v_and_b32_e32 v142, 0xffff, v151
	s_wait_dscnt 0x0
	v_dual_lshrrev_b32 v151, 16, v236 :: v_dual_lshrrev_b32 v150, 16, v237
	v_fma_f32 v46, 0x3fb8aa3b, v32, -v37
	v_rndne_f32_e32 v47, v37
	v_dual_lshrrev_b32 v149, 16, v238 :: v_dual_lshrrev_b32 v17, 16, v239
	v_and_b32_e32 v155, 0xffff, v236
	s_delay_alu instid0(VALU_DEP_3)
	v_dual_fmac_f32 v46, 0x32a5705f, v32 :: v_dual_sub_f32 v37, v37, v47
	v_cvt_i32_f32_e32 v47, v47
	v_and_b32_e32 v153, 0xffff, v237
	v_and_b32_e32 v152, 0xffff, v238
	v_and_b32_e32 v154, 0xffff, v239
	v_dual_add_f32 v37, v37, v46 :: v_dual_sub_f32 v46, v134, v4
	ds_load_b128 v[8:11], v99 offset:192
	ds_load_b128 v[12:15], v99 offset:208
	;; [unrolled: 1-line block ×4, first 2 shown]
	v_and_b32_e32 v216, 0xffff, v22
	v_and_b32_e32 v214, 0xffff, v23
	v_mul_f32_e32 v50, 0x3fb8aa3b, v46
	v_cmp_ngt_f32_e64 s2, 0xc2ce8ed0, v46
	v_dual_lshrrev_b32 v212, 16, v22 :: v_dual_lshrrev_b32 v210, 16, v23
	v_and_b32_e32 v213, 0xffff, v16
	s_delay_alu instid0(VALU_DEP_4) | instskip(SKIP_3) | instid1(VALU_DEP_4)
	v_rndne_f32_e32 v52, v50
	v_fma_f32 v51, 0x3fb8aa3b, v46, -v50
	v_dual_lshrrev_b32 v201, 16, v28 :: v_dual_lshrrev_b32 v199, 16, v29
	v_dual_lshrrev_b32 v196, 16, v30 :: v_dual_lshrrev_b32 v194, 16, v31
	v_sub_f32_e32 v50, v50, v52
	v_exp_f32_e32 v37, v37
	v_fmac_f32_e32 v51, 0x32a5705f, v46
	v_and_b32_e32 v203, 0xffff, v28
	v_and_b32_e32 v202, 0xffff, v29
	;; [unrolled: 1-line block ×4, first 2 shown]
	v_mul_u32_u24_e32 v201, 0x10001, v201
	v_ldexp_f32 v37, v37, v47
	v_cvt_i32_f32_e32 v47, v52
	v_and_b32_e32 v197, 0xffff, v24
	v_mul_u32_u24_e32 v203, 0x10001, v203
	v_mul_u32_u24_e32 v199, 0x10001, v199
	v_cndmask_b32_e32 v37, 0, v37, vcc_lo
	v_cmp_nlt_f32_e32 vcc_lo, 0x42b17218, v32
	v_add_f32_e32 v50, v50, v51
	v_mul_u32_u24_e32 v200, 0x10001, v200
	v_mul_u32_u24_e32 v196, 0x10001, v196
	v_mul_u32_u24_e32 v198, 0x10001, v198
	v_mul_u32_u24_e32 v194, 0x10001, v194
	v_exp_f32_e32 v50, v50
	v_dual_lshrrev_b32 v178, 16, v24 :: v_dual_lshrrev_b32 v174, 16, v25
	v_dual_lshrrev_b32 v173, 16, v26 :: v_dual_lshrrev_b32 v172, 16, v27
	v_and_b32_e32 v195, 0xffff, v25
	v_and_b32_e32 v177, 0xffff, v26
	s_delay_alu instid0(TRANS32_DEP_1)
	v_ldexp_f32 v47, v50, v47
	v_and_b32_e32 v176, 0xffff, v27
	v_and_b32_e32 v193, 0xffff, v36
	;; [unrolled: 1-line block ×3, first 2 shown]
	v_mul_u32_u24_e32 v191, 0x10001, v191
	v_cndmask_b32_e64 v32, 0, v47, s2
	v_cmp_nlt_f32_e64 s2, 0x42b17218, v46
	v_cndmask_b32_e32 v47, 0x7f800000, v37, vcc_lo
	v_dual_lshrrev_b32 v179, 16, v34 :: v_dual_lshrrev_b32 v175, 16, v35
	v_and_b32_e32 v185, 0xffff, v33
	s_delay_alu instid0(VALU_DEP_4)
	v_cndmask_b32_e64 v46, 0x7f800000, v32, s2
	v_sub_f32_e32 v32, v133, v3
	v_and_b32_e32 v182, 0xffff, v34
	v_and_b32_e32 v181, 0xffff, v35
	v_mul_u32_u24_e32 v193, 0x10001, v193
	v_pk_fma_f32 v[58:59], v[58:59], v[46:47], v[44:45]
	v_mul_f32_e32 v37, 0x3fb8aa3b, v32
	v_cmp_ngt_f32_e32 vcc_lo, 0xc2ce8ed0, v32
	v_mul_u32_u24_e32 v192, 0x10001, v192
	v_mul_u32_u24_e32 v189, 0x10001, v189
	;; [unrolled: 1-line block ×3, first 2 shown]
	v_fma_f32 v44, 0x3fb8aa3b, v32, -v37
	v_rndne_f32_e32 v45, v37
	v_mul_u32_u24_e32 v186, 0x10001, v186
	v_mul_u32_u24_e32 v188, 0x10001, v188
	;; [unrolled: 1-line block ×3, first 2 shown]
	s_delay_alu instid0(VALU_DEP_4)
	v_dual_fmac_f32 v44, 0x32a5705f, v32 :: v_dual_sub_f32 v37, v37, v45
	v_cvt_i32_f32_e32 v45, v45
	v_mul_u32_u24_e32 v183, 0x10001, v183
	v_mul_u32_u24_e32 v187, 0x10001, v187
	v_mul_u32_u24_e32 v180, 0x10001, v180
	v_dual_add_f32 v37, v37, v44 :: v_dual_sub_f32 v44, v132, v2
	v_mul_u32_u24_e32 v182, 0x10001, v182
	v_mul_u32_u24_e32 v179, 0x10001, v179
	;; [unrolled: 1-line block ×4, first 2 shown]
	v_mul_f32_e32 v50, 0x3fb8aa3b, v44
	v_exp_f32_e32 v37, v37
	v_cmp_ngt_f32_e64 s2, 0xc2ce8ed0, v44
	v_dual_lshrrev_b32 v169, 16, v138 :: v_dual_lshrrev_b32 v167, 16, v139
	s_delay_alu instid0(VALU_DEP_3) | instskip(SKIP_2) | instid1(TRANS32_DEP_1)
	v_fma_f32 v51, 0x3fb8aa3b, v44, -v50
	v_rndne_f32_e32 v52, v50
	v_and_b32_e32 v171, 0xffff, v138
	v_ldexp_f32 v37, v37, v45
	v_and_b32_e32 v170, 0xffff, v139
	v_fmac_f32_e32 v51, 0x32a5705f, v44
	v_sub_f32_e32 v50, v50, v52
	v_cvt_i32_f32_e32 v45, v52
	v_cndmask_b32_e32 v37, 0, v37, vcc_lo
	v_cmp_nlt_f32_e32 vcc_lo, 0x42b17218, v32
	v_and_b32_e32 v168, 0xffff, v140
	v_add_f32_e32 v50, v50, v51
	v_mul_u32_u24_e32 v169, 0x10001, v169
	v_and_b32_e32 v163, 0xffff, v143
	v_mul_u32_u24_e32 v171, 0x10001, v171
	v_mul_u32_u24_e32 v170, 0x10001, v170
	v_exp_f32_e32 v50, v50
	v_mul_u32_u24_e32 v167, 0x10001, v167
	v_mul_u32_u24_e32 v168, 0x10001, v168
	;; [unrolled: 1-line block ×6, first 2 shown]
	v_ldexp_f32 v45, v50, v45
	v_mul_u32_u24_e32 v165, 0x10001, v165
	v_mul_u32_u24_e32 v158, 0x10001, v158
	;; [unrolled: 1-line block ×4, first 2 shown]
	v_cndmask_b32_e64 v32, 0, v45, s2
	v_cmp_nlt_f32_e64 s2, 0x42b17218, v44
	v_cndmask_b32_e32 v45, 0x7f800000, v37, vcc_lo
	v_mul_u32_u24_e32 v159, 0x10001, v159
	v_mul_u32_u24_e32 v156, 0x10001, v156
	v_and_b32_e32 v148, 0xffff, v148
	v_cndmask_b32_e64 v44, 0x7f800000, v32, s2
	v_sub_f32_e32 v32, v131, v1
	v_mul_u32_u24_e32 v146, 0x10001, v146
	v_mul_u32_u24_e32 v155, 0x10001, v155
	;; [unrolled: 1-line block ×3, first 2 shown]
	v_pk_fma_f32 v[60:61], v[60:61], v[44:45], v[42:43]
	v_mul_f32_e32 v37, 0x3fb8aa3b, v32
	v_cmp_ngt_f32_e32 vcc_lo, 0xc2ce8ed0, v32
	v_mul_u32_u24_e32 v147, 0x10001, v147
	v_mul_u32_u24_e32 v144, 0x10001, v144
	;; [unrolled: 1-line block ×3, first 2 shown]
	v_fma_f32 v42, 0x3fb8aa3b, v32, -v37
	v_rndne_f32_e32 v43, v37
	v_mul_u32_u24_e32 v141, 0x10001, v141
	v_mul_u32_u24_e32 v142, 0x10001, v142
	v_mul_u32_u24_e32 v39, 0x10001, v39
	s_delay_alu instid0(VALU_DEP_4)
	v_dual_fmac_f32 v42, 0x32a5705f, v32 :: v_dual_sub_f32 v37, v37, v43
	v_cvt_i32_f32_e32 v43, v43
	v_mul_u32_u24_e32 v17, 0x10001, v17
	s_wait_dscnt 0x3
	v_dual_lshrrev_b32 v31, 16, v8 :: v_dual_lshrrev_b32 v29, 16, v9
	v_dual_add_f32 v37, v37, v42 :: v_dual_sub_f32 v42, v130, v0
	v_dual_lshrrev_b32 v26, 16, v10 :: v_dual_lshrrev_b32 v22, 16, v11
	v_and_b32_e32 v34, 0xffff, v8
	s_delay_alu instid0(VALU_DEP_3) | instskip(NEXT) | instid1(VALU_DEP_3)
	v_exp_f32_e32 v37, v37
	v_mul_f32_e32 v50, 0x3fb8aa3b, v42
	v_cmp_ngt_f32_e64 s2, 0xc2ce8ed0, v42
	v_and_b32_e32 v33, 0xffff, v9
	v_and_b32_e32 v30, 0xffff, v10
	;; [unrolled: 1-line block ×3, first 2 shown]
	v_fma_f32 v51, 0x3fb8aa3b, v42, -v50
	v_rndne_f32_e32 v52, v50
	v_ldexp_f32 v37, v37, v43
	s_wait_dscnt 0x2
	v_and_b32_e32 v143, 0xffff, v12
	v_mul_u32_u24_e32 v34, 0x10001, v34
	v_dual_fmac_f32 v51, 0x32a5705f, v42 :: v_dual_sub_f32 v50, v50, v52
	v_cndmask_b32_e32 v37, 0, v37, vcc_lo
	v_cvt_i32_f32_e32 v43, v52
	v_cmp_nlt_f32_e32 vcc_lo, 0x42b17218, v32
	v_mul_u32_u24_e32 v31, 0x10001, v31
	v_add_f32_e32 v50, v50, v51
	v_mul_u32_u24_e32 v33, 0x10001, v33
	v_mul_u32_u24_e32 v29, 0x10001, v29
	v_mul_u32_u24_e32 v30, 0x10001, v30
	v_mul_u32_u24_e32 v26, 0x10001, v26
	v_exp_f32_e32 v50, v50
	v_mul_u32_u24_e32 v27, 0x10001, v27
	v_mul_u32_u24_e32 v22, 0x10001, v22
	v_dual_lshrrev_b32 v38, 16, v12 :: v_dual_lshrrev_b32 v36, 16, v13
	v_and_b32_e32 v139, 0xffff, v13
	v_dual_lshrrev_b32 v35, 16, v14 :: v_dual_lshrrev_b32 v9, 16, v15
	s_delay_alu instid0(TRANS32_DEP_1)
	v_ldexp_f32 v43, v50, v43
	v_and_b32_e32 v138, 0xffff, v14
	v_and_b32_e32 v140, 0xffff, v15
	s_wait_dscnt 0x1
	v_dual_lshrrev_b32 v15, 16, v18 :: v_dual_lshrrev_b32 v13, 16, v19
	v_cndmask_b32_e64 v32, 0, v43, s2
	v_cmp_nlt_f32_e64 s2, 0x42b17218, v42
	v_cndmask_b32_e32 v43, 0x7f800000, v37, vcc_lo
	v_mul_u32_u24_e32 v9, 0x10001, v9
	v_dual_lshrrev_b32 v11, 16, v20 :: v_dual_lshrrev_b32 v10, 16, v21
	s_delay_alu instid0(VALU_DEP_4) | instskip(NEXT) | instid1(VALU_DEP_4)
	v_cndmask_b32_e64 v42, 0x7f800000, v32, s2
	v_cvt_f16_f32_e32 v37, v43
	v_and_b32_e32 v18, 0xffff, v18
	v_and_b32_e32 v16, 0xffff, v19
	;; [unrolled: 1-line block ×3, first 2 shown]
	v_pk_fma_f32 v[62:63], v[62:63], v[42:43], v[40:41]
	v_cvt_f16_f32_e32 v40, v44
	v_cvt_f16_f32_e32 v41, v45
	;; [unrolled: 1-line block ×5, first 2 shown]
	v_and_b32_e32 v40, 0xffff, v40
	v_cvt_f16_f32_e32 v42, v46
	v_cvt_f16_f32_e32 v43, v47
	v_and_b32_e32 v37, 0xffff, v37
	v_and_b32_e32 v32, 0xffff, v32
	v_mul_u32_u24_e32 v40, 0x10001, v40
	v_and_b32_e32 v12, 0xffff, v21
	s_wait_dscnt 0x0
	v_and_b32_e32 v28, 0xffff, v236
	v_mul_u32_u24_e32 v37, 0x10001, v37
	v_mul_u32_u24_e32 v32, 0x10001, v32
	v_pk_mul_f16 v48, v124, v40
	v_pk_mul_f16 v49, v125, v40
	v_and_b32_e32 v40, 0xffff, v41
	v_pk_mul_f16 v47, v126, v37
	v_pk_mul_f16 v46, v128, v32
	;; [unrolled: 1-line block ×4, first 2 shown]
	v_mul_u32_u24_e32 v40, 0x10001, v40
	v_mul_u32_u24_e32 v15, 0x10001, v15
	;; [unrolled: 1-line block ×5, first 2 shown]
	v_pk_mul_f16 v50, v123, v40
	v_pk_mul_f16 v51, v122, v40
	v_and_b32_e32 v40, 0xffff, v42
	v_mul_u32_u24_e32 v11, 0x10001, v11
	v_mul_u32_u24_e32 v12, 0x10001, v12
	;; [unrolled: 1-line block ×3, first 2 shown]
	v_dual_lshrrev_b32 v21, 16, v236 :: v_dual_lshrrev_b32 v20, 16, v237
	v_mul_u32_u24_e32 v40, 0x10001, v40
	v_and_b32_e32 v24, 0xffff, v237
	v_dual_lshrrev_b32 v19, 16, v238 :: v_dual_lshrrev_b32 v8, 16, v239
	v_and_b32_e32 v23, 0xffff, v238
	s_delay_alu instid0(VALU_DEP_4)
	v_pk_mul_f16 v52, v121, v40
	v_pk_mul_f16 v53, v120, v40
	v_and_b32_e32 v40, 0xffff, v43
	v_and_b32_e32 v25, 0xffff, v239
	v_mul_u32_u24_e32 v8, 0x10001, v8
	s_or_b32 s2, s18, 32
	s_delay_alu instid0(VALU_DEP_3) | instskip(SKIP_1) | instid1(SALU_CYCLE_1)
	v_mul_u32_u24_e32 v40, 0x10001, v40
	s_ashr_i32 s3, s2, 31
	s_mul_u64 s[2:3], s[2:3], s[28:29]
	s_delay_alu instid0(VALU_DEP_1) | instskip(SKIP_3) | instid1(SALU_CYCLE_1)
	v_pk_mul_f16 v54, v118, v40
	v_pk_mul_f16 v55, v119, v40
	v_and_b32_e32 v40, 0xffff, v44
	s_lshl_b64 s[2:3], s[2:3], 2
	s_add_nc_u64 s[2:3], s[46:47], s[2:3]
	s_delay_alu instid0(VALU_DEP_1) | instskip(NEXT) | instid1(VALU_DEP_1)
	v_mul_u32_u24_e32 v40, 0x10001, v40
	v_pk_mul_f16 v44, v116, v40
	v_pk_mul_f16 v116, v117, v40
	v_and_b32_e32 v40, 0xffff, v45
	s_delay_alu instid0(VALU_DEP_1) | instskip(NEXT) | instid1(VALU_DEP_1)
	v_mul_u32_u24_e32 v40, 0x10001, v40
	v_pk_mul_f16 v45, v114, v40
	v_pk_mul_f16 v114, v115, v40
	ds_load_2addr_b64 v[40:43], v100 offset1:32
	v_mul_u32_u24_e32 v115, 0x10001, v235
	s_wait_dscnt 0x0
	s_delay_alu instid0(VALU_DEP_1) | instskip(SKIP_2) | instid1(VALU_DEP_1)
	v_pk_fma_f16 v46, v40, v115, v46
	v_pk_fma_f16 v32, v41, v115, v32
	v_mul_u32_u24_e32 v115, 0x10001, v233
	v_pk_fma_f16 v47, v40, v115, v47
	v_pk_fma_f16 v37, v41, v115, v37
	v_mul_u32_u24_e32 v115, 0x10001, v234
	s_delay_alu instid0(VALU_DEP_1) | instskip(SKIP_2) | instid1(VALU_DEP_1)
	v_pk_fma_f16 v48, v40, v115, v48
	v_pk_fma_f16 v49, v41, v115, v49
	v_mul_u32_u24_e32 v115, 0x10001, v231
	v_pk_fma_f16 v50, v40, v115, v50
	v_pk_fma_f16 v51, v41, v115, v51
	v_mul_u32_u24_e32 v115, 0x10001, v232
	;; [unrolled: 7-line block ×3, first 2 shown]
	s_delay_alu instid0(VALU_DEP_1) | instskip(SKIP_2) | instid1(VALU_DEP_1)
	v_pk_fma_f16 v44, v40, v115, v44
	v_pk_fma_f16 v115, v41, v115, v116
	v_mul_u32_u24_e32 v116, 0x10001, v226
	v_pk_fma_f16 v40, v40, v116, v45
	v_mul_u32_u24_e32 v45, 0x10001, v229
	v_pk_fma_f16 v41, v41, v116, v114
	ds_load_b128 v[116:119], v99 offset:272
	v_pk_fma_f16 v122, v43, v45, v32
	v_mul_u32_u24_e32 v32, 0x10001, v225
	v_pk_fma_f16 v114, v42, v45, v46
	v_mul_u32_u24_e32 v45, 0x10001, v221
	v_mul_u32_u24_e32 v46, 0x10001, v223
	s_delay_alu instid0(VALU_DEP_4)
	v_pk_fma_f16 v123, v42, v32, v47
	v_pk_fma_f16 v124, v43, v32, v37
	v_mul_u32_u24_e32 v32, 0x10001, v227
	v_mul_u32_u24_e32 v37, 0x10001, v224
	v_pk_fma_f16 v54, v42, v45, v54
	v_pk_fma_f16 v129, v42, v46, v44
	;; [unrolled: 1-line block ×5, first 2 shown]
	v_mul_u32_u24_e32 v32, 0x10001, v222
	v_pk_fma_f16 v128, v42, v37, v52
	v_pk_fma_f16 v131, v43, v37, v53
	s_wait_dscnt 0x0
	v_lshrrev_b32_e32 v37, 16, v118
	v_pk_fma_f16 v132, v43, v45, v55
	v_pk_fma_f16 v127, v42, v32, v50
	;; [unrolled: 1-line block ×3, first 2 shown]
	ds_load_b128 v[50:53], v99 offset:256
	v_mul_u32_u24_e32 v32, 0x10001, v220
	v_and_b32_e32 v55, 0xffff, v117
	s_delay_alu instid0(VALU_DEP_2)
	v_pk_fma_f16 v133, v42, v32, v40
	v_pk_fma_f16 v134, v43, v32, v41
	v_lshrrev_b32_e32 v32, 16, v119
	v_and_b32_e32 v42, 0xffff, v118
	v_and_b32_e32 v40, 0xffff, v119
	ds_load_2addr_b64 v[118:121], v100 offset0:64 offset1:96
	s_wait_dscnt 0x1
	v_dual_lshrrev_b32 v41, 16, v117 :: v_dual_lshrrev_b32 v46, 16, v51
	v_and_b32_e32 v49, 0xffff, v51
	v_mul_u32_u24_e32 v51, 0x10001, v219
	v_dual_lshrrev_b32 v44, 16, v52 :: v_dual_lshrrev_b32 v43, 16, v53
	v_and_b32_e32 v45, 0xffff, v53
	v_and_b32_e32 v47, 0xffff, v52
	v_dual_lshrrev_b32 v52, 16, v116 :: v_dual_lshrrev_b32 v48, 16, v50
	v_and_b32_e32 v50, 0xffff, v50
	v_and_b32_e32 v116, 0xffff, v116
	s_wait_dscnt 0x0
	v_pk_fma_f16 v53, v118, v51, v114
	v_mul_u32_u24_e32 v114, 0x10001, v217
	v_pk_fma_f16 v51, v119, v51, v122
	v_mul_u32_u24_e32 v122, 0x10001, v218
	s_delay_alu instid0(VALU_DEP_3) | instskip(SKIP_2) | instid1(VALU_DEP_4)
	v_pk_fma_f16 v117, v118, v114, v123
	v_pk_fma_f16 v114, v119, v114, v124
	v_mul_u32_u24_e32 v124, 0x10001, v215
	v_pk_fma_f16 v123, v118, v122, v125
	v_pk_fma_f16 v122, v119, v122, v126
	v_mul_u32_u24_e32 v126, 0x10001, v216
	s_delay_alu instid0(VALU_DEP_4) | instskip(SKIP_2) | instid1(VALU_DEP_4)
	v_pk_fma_f16 v125, v118, v124, v127
	v_pk_fma_f16 v124, v119, v124, v130
	v_mul_u32_u24_e32 v130, 0x10001, v214
	v_pk_fma_f16 v127, v118, v126, v128
	v_mul_u32_u24_e32 v128, 0x10001, v212
	v_pk_fma_f16 v126, v119, v126, v131
	s_delay_alu instid0(VALU_DEP_4) | instskip(SKIP_4) | instid1(VALU_DEP_3)
	v_pk_fma_f16 v129, v118, v130, v129
	v_pk_fma_f16 v115, v119, v130, v115
	v_mul_u32_u24_e32 v130, 0x10001, v210
	v_pk_fma_f16 v54, v118, v128, v54
	v_pk_fma_f16 v128, v119, v128, v132
	;; [unrolled: 1-line block ×4, first 2 shown]
	v_mul_u32_u24_e32 v130, 0x10001, v213
	s_delay_alu instid0(VALU_DEP_1) | instskip(SKIP_3) | instid1(VALU_DEP_3)
	v_pk_fma_f16 v133, v121, v130, v51
	v_mul_u32_u24_e32 v51, 0x10001, v209
	v_pk_fma_f16 v132, v120, v130, v53
	v_mul_u32_u24_e32 v53, 0x10001, v208
	v_pk_fma_f16 v134, v120, v51, v117
	v_pk_fma_f16 v135, v121, v51, v114
	v_mul_u32_u24_e32 v51, 0x10001, v211
	v_mul_u32_u24_e32 v114, 0x10001, v205
	;; [unrolled: 1-line block ×3, first 2 shown]
	v_pk_fma_f16 v210, v121, v53, v126
	s_delay_alu instid0(VALU_DEP_4)
	v_pk_fma_f16 v136, v120, v51, v123
	v_pk_fma_f16 v137, v121, v51, v122
	v_mul_u32_u24_e32 v51, 0x10001, v206
	v_pk_fma_f16 v206, v120, v53, v127
	v_pk_fma_f16 v208, v120, v117, v129
	;; [unrolled: 1-line block ×3, first 2 shown]
	ds_load_b128 v[126:129], v99 offset:304
	v_pk_fma_f16 v205, v120, v51, v125
	v_pk_fma_f16 v209, v121, v51, v124
	ds_load_b128 v[122:125], v99 offset:288
	v_mul_u32_u24_e32 v51, 0x10001, v204
	v_pk_fma_f16 v207, v120, v114, v54
	v_pk_fma_f16 v212, v121, v117, v115
	s_delay_alu instid0(VALU_DEP_3)
	v_pk_fma_f16 v204, v120, v51, v118
	v_pk_fma_f16 v213, v121, v51, v119
	s_wait_dscnt 0x1
	v_dual_lshrrev_b32 v121, 16, v128 :: v_dual_lshrrev_b32 v120, 16, v129
	s_wait_dscnt 0x0
	v_dual_lshrrev_b32 v53, 16, v124 :: v_dual_lshrrev_b32 v51, 16, v125
	v_and_b32_e32 v115, 0xffff, v124
	v_and_b32_e32 v114, 0xffff, v125
	;; [unrolled: 1-line block ×4, first 2 shown]
	ds_load_2addr_b64 v[128:131], v100 offset0:128 offset1:160
	v_and_b32_e32 v118, 0xffff, v123
	v_dual_lshrrev_b32 v117, 16, v122 :: v_dual_lshrrev_b32 v54, 16, v123
	v_and_b32_e32 v119, 0xffff, v122
	v_dual_lshrrev_b32 v123, 16, v126 :: v_dual_lshrrev_b32 v122, 16, v127
	v_and_b32_e32 v126, 0xffff, v126
	v_and_b32_e32 v127, 0xffff, v127
	s_wait_dscnt 0x0
	v_pk_fma_f16 v134, v128, v201, v134
	v_pk_fma_f16 v135, v129, v201, v135
	v_mul_u32_u24_e32 v201, 0x10001, v202
	v_pk_fma_f16 v132, v128, v203, v132
	v_pk_fma_f16 v133, v129, v203, v133
	;; [unrolled: 1-line block ×14, first 2 shown]
	v_mul_u32_u24_e32 v194, 0x10001, v197
	s_delay_alu instid0(VALU_DEP_1) | instskip(SKIP_3) | instid1(VALU_DEP_3)
	v_pk_fma_f16 v204, v130, v194, v132
	v_mul_u32_u24_e32 v132, 0x10001, v178
	v_pk_fma_f16 v206, v131, v194, v133
	v_mul_u32_u24_e32 v133, 0x10001, v177
	;; [unrolled: 2-line block ×4, first 2 shown]
	v_mul_u32_u24_e32 v135, 0x10001, v176
	v_pk_fma_f16 v202, v130, v133, v202
	v_pk_fma_f16 v214, v131, v134, v196
	ds_load_b128 v[194:197], v99 offset:320
	v_pk_fma_f16 v209, v130, v132, v136
	v_pk_fma_f16 v210, v131, v132, v137
	v_mul_u32_u24_e32 v132, 0x10001, v174
	v_pk_fma_f16 v203, v130, v134, v203
	v_pk_fma_f16 v205, v130, v135, v205
	;; [unrolled: 1-line block ×6, first 2 shown]
	v_mul_u32_u24_e32 v132, 0x10001, v172
	ds_load_b128 v[198:201], v99 offset:336
	v_pk_fma_f16 v216, v130, v132, v128
	v_pk_fma_f16 v217, v131, v132, v129
	s_wait_dscnt 0x1
	v_dual_lshrrev_b32 v176, 16, v194 :: v_dual_lshrrev_b32 v135, 16, v195
	v_dual_lshrrev_b32 v129, 16, v196 :: v_dual_lshrrev_b32 v128, 16, v197
	v_and_b32_e32 v178, 0xffff, v194
	v_and_b32_e32 v177, 0xffff, v195
	;; [unrolled: 1-line block ×4, first 2 shown]
	ds_load_2addr_b64 v[194:197], v100 offset0:192 offset1:224
	s_wait_dscnt 0x1
	v_dual_lshrrev_b32 v131, 16, v198 :: v_dual_lshrrev_b32 v134, 16, v199
	v_and_b32_e32 v137, 0xffff, v199
	v_dual_lshrrev_b32 v133, 16, v200 :: v_dual_lshrrev_b32 v132, 16, v201
	v_and_b32_e32 v136, 0xffff, v198
	v_and_b32_e32 v173, 0xffff, v200
	;; [unrolled: 1-line block ×3, first 2 shown]
	s_delay_alu instid0(VALU_DEP_4)
	v_mul_u32_u24_e32 v132, 0x10001, v132
	s_wait_dscnt 0x0
	v_pk_fma_f16 v199, v194, v191, v207
	v_pk_fma_f16 v191, v195, v191, v208
	;; [unrolled: 1-line block ×18, first 2 shown]
	v_mul_u32_u24_e32 v183, 0x10001, v185
	v_pk_fma_f16 v198, v196, v187, v198
	v_pk_fma_f16 v205, v197, v187, v193
	;; [unrolled: 1-line block ×14, first 2 shown]
	ds_load_2addr_b64 v[194:197], v104 offset1:32
	ds_load_b128 v[186:189], v99 offset:352
	ds_load_b128 v[190:193], v99 offset:368
	s_wait_dscnt 0x2
	v_pk_fma_f16 v199, v194, v169, v199
	v_pk_fma_f16 v169, v195, v169, v206
	v_pk_fma_f16 v198, v194, v171, v198
	v_pk_fma_f16 v171, v195, v171, v205
	v_pk_fma_f16 v200, v194, v170, v200
	v_pk_fma_f16 v170, v195, v170, v207
	v_pk_fma_f16 v201, v194, v167, v201
	v_pk_fma_f16 v167, v195, v167, v208
	v_pk_fma_f16 v202, v194, v168, v202
	v_pk_fma_f16 v168, v195, v168, v209
	v_pk_fma_f16 v203, v194, v164, v203
	v_pk_fma_f16 v164, v195, v164, v210
	v_pk_fma_f16 v204, v194, v166, v204
	v_pk_fma_f16 v166, v195, v166, v211
	v_pk_fma_f16 v194, v194, v162, v212
	v_pk_fma_f16 v162, v195, v162, v213
	v_pk_fma_f16 v199, v196, v161, v199
	v_pk_fma_f16 v206, v197, v161, v169
	v_mul_u32_u24_e32 v161, 0x10001, v163
	v_pk_fma_f16 v198, v196, v165, v198
	v_pk_fma_f16 v205, v197, v165, v171
	;; [unrolled: 1-line block ×14, first 2 shown]
	ds_load_2addr_b64 v[194:197], v104 offset0:64 offset1:96
	ds_load_b128 v[164:167], v99 offset:384
	ds_load_b128 v[168:171], v99 offset:400
	s_wait_dscnt 0x4
	v_dual_lshrrev_b32 v181, 16, v186 :: v_dual_lshrrev_b32 v180, 16, v187
	v_dual_lshrrev_b32 v179, 16, v188 :: v_dual_lshrrev_b32 v175, 16, v189
	v_and_b32_e32 v185, 0xffff, v186
	v_and_b32_e32 v184, 0xffff, v187
	;; [unrolled: 1-line block ×4, first 2 shown]
	s_wait_dscnt 0x3
	v_dual_lshrrev_b32 v186, 16, v190 :: v_dual_lshrrev_b32 v189, 16, v191
	v_dual_lshrrev_b32 v188, 16, v192 :: v_dual_lshrrev_b32 v187, 16, v193
	v_and_b32_e32 v190, 0xffff, v190
	v_and_b32_e32 v191, 0xffff, v191
	;; [unrolled: 1-line block ×4, first 2 shown]
	v_mul_u32_u24_e32 v175, 0x10001, v175
	s_wait_dscnt 0x2
	v_pk_fma_f16 v198, v194, v148, v198
	v_pk_fma_f16 v148, v195, v148, v205
	;; [unrolled: 1-line block ×7, first 2 shown]
	v_mul_u32_u24_e32 v148, 0x10001, v151
	v_pk_fma_f16 v201, v194, v144, v201
	v_pk_fma_f16 v144, v195, v144, v208
	;; [unrolled: 1-line block ×5, first 2 shown]
	v_mul_u32_u24_e32 v146, 0x10001, v153
	v_pk_fma_f16 v203, v194, v141, v203
	v_pk_fma_f16 v141, v195, v141, v210
	;; [unrolled: 1-line block ×9, first 2 shown]
	v_mul_u32_u24_e32 v146, 0x10001, v150
	v_mul_u32_u24_e32 v147, 0x10001, v152
	;; [unrolled: 1-line block ×4, first 2 shown]
	v_pk_fma_f16 v205, v196, v155, v198
	v_pk_fma_f16 v201, v196, v146, v201
	;; [unrolled: 1-line block ×9, first 2 shown]
	ds_load_b128 v[148:151], v99 offset:416
	v_pk_fma_f16 v214, v196, v17, v194
	v_pk_fma_f16 v17, v197, v17, v39
	ds_load_b128 v[194:197], v99 offset:432
	s_wait_dscnt 0x3
	v_dual_lshrrev_b32 v159, 16, v164 :: v_dual_lshrrev_b32 v158, 16, v165
	v_dual_lshrrev_b32 v157, 16, v166 :: v_dual_lshrrev_b32 v156, 16, v167
	v_and_b32_e32 v163, 0xffff, v164
	v_and_b32_e32 v162, 0xffff, v165
	;; [unrolled: 1-line block ×4, first 2 shown]
	s_wait_dscnt 0x2
	v_dual_lshrrev_b32 v164, 16, v168 :: v_dual_lshrrev_b32 v167, 16, v169
	v_dual_lshrrev_b32 v166, 16, v170 :: v_dual_lshrrev_b32 v165, 16, v171
	v_and_b32_e32 v168, 0xffff, v168
	v_and_b32_e32 v169, 0xffff, v169
	;; [unrolled: 1-line block ×4, first 2 shown]
	s_wait_dscnt 0x1
	v_dual_lshrrev_b32 v144, 16, v148 :: v_dual_lshrrev_b32 v142, 16, v149
	v_dual_lshrrev_b32 v141, 16, v150 :: v_dual_lshrrev_b32 v39, 16, v151
	v_and_b32_e32 v147, 0xffff, v149
	v_and_b32_e32 v146, 0xffff, v150
	;; [unrolled: 1-line block ×3, first 2 shown]
	s_wait_dscnt 0x0
	v_dual_lshrrev_b32 v149, 16, v194 :: v_dual_lshrrev_b32 v152, 16, v195
	v_dual_lshrrev_b32 v151, 16, v196 :: v_dual_lshrrev_b32 v150, 16, v197
	v_and_b32_e32 v153, 0xffff, v194
	v_and_b32_e32 v155, 0xffff, v196
	;; [unrolled: 1-line block ×3, first 2 shown]
	ds_load_2addr_b64 v[196:199], v104 offset0:128 offset1:160
	v_and_b32_e32 v154, 0xffff, v195
	v_mul_u32_u24_e32 v163, 0x10001, v163
	v_mul_u32_u24_e32 v159, 0x10001, v159
	;; [unrolled: 1-line block ×8, first 2 shown]
	v_and_b32_e32 v148, 0xffff, v148
	v_mul_u32_u24_e32 v168, 0x10001, v168
	v_mul_u32_u24_e32 v164, 0x10001, v164
	;; [unrolled: 1-line block ×9, first 2 shown]
	s_wait_dscnt 0x0
	v_pk_fma_f16 v195, v196, v34, v205
	v_pk_fma_f16 v34, v197, v34, v206
	;; [unrolled: 1-line block ×10, first 2 shown]
	v_mul_u32_u24_e32 v22, 0x10001, v143
	v_pk_fma_f16 v31, v197, v31, v208
	v_pk_fma_f16 v33, v197, v33, v209
	;; [unrolled: 1-line block ×6, first 2 shown]
	v_mul_u32_u24_e32 v34, 0x10001, v38
	v_pk_fma_f16 v26, v197, v26, v212
	v_pk_fma_f16 v27, v197, v27, v213
	;; [unrolled: 1-line block ×5, first 2 shown]
	v_mul_u32_u24_e32 v31, 0x10001, v139
	v_pk_fma_f16 v205, v198, v34, v205
	v_mul_u32_u24_e32 v34, 0x10001, v35
	v_mul_u32_u24_e32 v35, 0x10001, v140
	v_mul_u32_u24_e32 v17, 0x10001, v18
	v_pk_fma_f16 v208, v198, v31, v200
	v_pk_fma_f16 v209, v199, v31, v33
	v_mul_u32_u24_e32 v31, 0x10001, v36
	v_mul_u32_u24_e32 v33, 0x10001, v138
	v_pk_fma_f16 v212, v198, v34, v203
	v_pk_fma_f16 v204, v198, v35, v204
	;; [unrolled: 1-line block ×8, first 2 shown]
	ds_load_b128 v[200:203], v99 offset:448
	ds_load_b128 v[196:199], v99 offset:464
	v_mul_u32_u24_e32 v144, 0x10001, v144
	v_mul_u32_u24_e32 v147, 0x10001, v147
	;; [unrolled: 1-line block ×14, first 2 shown]
	s_wait_dscnt 0x1
	v_dual_lshrrev_b32 v30, 16, v200 :: v_dual_lshrrev_b32 v29, 16, v201
	v_and_b32_e32 v35, 0xffff, v200
	v_and_b32_e32 v34, 0xffff, v201
	s_wait_dscnt 0x0
	v_dual_lshrrev_b32 v36, 16, v196 :: v_dual_lshrrev_b32 v139, 16, v197
	v_dual_lshrrev_b32 v138, 16, v198 :: v_dual_lshrrev_b32 v38, 16, v199
	v_and_b32_e32 v140, 0xffff, v196
	v_and_b32_e32 v195, 0xffff, v198
	;; [unrolled: 1-line block ×3, first 2 shown]
	ds_load_2addr_b64 v[198:201], v104 offset0:192 offset1:224
	v_dual_lshrrev_b32 v27, 16, v202 :: v_dual_lshrrev_b32 v26, 16, v203
	v_and_b32_e32 v33, 0xffff, v202
	v_and_b32_e32 v31, 0xffff, v203
	;; [unrolled: 1-line block ×3, first 2 shown]
	v_mul_u32_u24_e32 v35, 0x10001, v35
	v_mul_u32_u24_e32 v30, 0x10001, v30
	;; [unrolled: 1-line block ×14, first 2 shown]
	s_wait_dscnt 0x0
	v_pk_fma_f16 v18, v198, v17, v206
	v_pk_fma_f16 v17, v199, v17, v22
	;; [unrolled: 1-line block ×10, first 2 shown]
	v_mul_u32_u24_e32 v10, 0x10001, v28
	v_pk_fma_f16 v15, v199, v15, v207
	v_pk_fma_f16 v16, v199, v16, v209
	;; [unrolled: 1-line block ×6, first 2 shown]
	v_mul_u32_u24_e32 v10, 0x10001, v21
	v_pk_fma_f16 v12, v199, v12, v216
	v_mul_u32_u24_e32 v17, 0x10001, v25
	v_pk_fma_f16 v14, v199, v14, v214
	v_pk_fma_f16 v198, v200, v8, v198
	;; [unrolled: 1-line block ×4, first 2 shown]
	v_mul_u32_u24_e32 v10, 0x10001, v24
	v_mul_u32_u24_e32 v15, 0x10001, v23
	v_pk_fma_f16 v25, v200, v17, v204
	v_pk_fma_f16 v204, v201, v17, v12
	s_delay_alu instid0(VALU_DEP_4) | instskip(SKIP_4) | instid1(VALU_DEP_3)
	v_pk_fma_f16 v24, v200, v10, v197
	v_pk_fma_f16 v197, v201, v10, v16
	v_mul_u32_u24_e32 v10, 0x10001, v20
	v_mul_u32_u24_e32 v16, 0x10001, v19
	v_pk_fma_f16 v20, v200, v15, v203
	v_pk_fma_f16 v19, v200, v10, v202
	;; [unrolled: 1-line block ×3, first 2 shown]
	s_delay_alu instid0(VALU_DEP_4)
	v_pk_fma_f16 v203, v201, v16, v11
	ds_load_b128 v[10:13], v99 offset:480
	v_pk_fma_f16 v23, v200, v16, v205
	v_pk_fma_f16 v202, v201, v15, v14
	ds_load_b128 v[14:17], v99 offset:496
	v_pk_fma_f16 v200, v201, v8, v9
	s_wait_dscnt 0x1
	v_dual_lshrrev_b32 v201, 16, v10 :: v_dual_lshrrev_b32 v205, 16, v11
	v_and_b32_e32 v208, 0xffff, v10
	v_and_b32_e32 v209, 0xffff, v11
	ds_load_2addr_b64 v[8:11], v105 offset1:32
	v_dual_lshrrev_b32 v206, 16, v12 :: v_dual_lshrrev_b32 v207, 16, v13
	v_and_b32_e32 v210, 0xffff, v12
	s_wait_dscnt 0x1
	v_dual_lshrrev_b32 v212, 16, v14 :: v_dual_lshrrev_b32 v213, 16, v15
	v_dual_lshrrev_b32 v214, 16, v16 :: v_dual_lshrrev_b32 v215, 16, v17
	v_and_b32_e32 v216, 0xffff, v14
	v_and_b32_e32 v218, 0xffff, v16
	v_mul_u32_u24_e32 v12, 0x10001, v50
	v_mul_u32_u24_e32 v14, 0x10001, v48
	;; [unrolled: 1-line block ×3, first 2 shown]
	v_and_b32_e32 v211, 0xffff, v13
	v_and_b32_e32 v217, 0xffff, v15
	;; [unrolled: 1-line block ×3, first 2 shown]
	s_wait_dscnt 0x0
	v_pk_fma_f16 v13, v8, v12, v18
	v_pk_fma_f16 v12, v9, v12, v28
	;; [unrolled: 1-line block ×5, first 2 shown]
	v_mul_u32_u24_e32 v18, 0x10001, v46
	v_mul_u32_u24_e32 v21, 0x10001, v47
	;; [unrolled: 1-line block ×5, first 2 shown]
	v_pk_fma_f16 v19, v8, v18, v19
	v_pk_fma_f16 v20, v8, v21, v20
	;; [unrolled: 1-line block ×5, first 2 shown]
	v_mul_u32_u24_e32 v8, 0x10001, v116
	v_pk_fma_f16 v16, v9, v16, v197
	v_pk_fma_f16 v18, v9, v18, v199
	;; [unrolled: 1-line block ×6, first 2 shown]
	v_mul_u32_u24_e32 v8, 0x10001, v52
	v_pk_fma_f16 v24, v9, v24, v204
	v_pk_fma_f16 v28, v9, v28, v200
	v_mul_u32_u24_e32 v9, 0x10001, v42
	v_mul_u32_u24_e32 v12, 0x10001, v37
	v_pk_fma_f16 v15, v10, v8, v15
	v_pk_fma_f16 v14, v11, v8, v14
	v_mul_u32_u24_e32 v8, 0x10001, v55
	v_pk_fma_f16 v20, v10, v9, v20
	v_pk_fma_f16 v21, v11, v9, v21
	;; [unrolled: 3-line block ×3, first 2 shown]
	v_pk_fma_f16 v47, v11, v8, v16
	v_mul_u32_u24_e32 v8, 0x10001, v41
	v_pk_fma_f16 v37, v10, v13, v25
	v_pk_fma_f16 v22, v11, v12, v22
	;; [unrolled: 1-line block ×3, first 2 shown]
	v_add_nc_u64_e32 v[12:13], s[2:3], v[74:75]
	v_pk_fma_f16 v19, v10, v8, v19
	v_pk_fma_f16 v18, v11, v8, v18
	v_add_nc_u64_e32 v[8:9], s[2:3], v[72:73]
	v_mul_u32_u24_e32 v40, 0x10001, v118
	v_mul_u32_u24_e32 v197, 0x10001, v217
	v_mul_u32_u24_e32 v198, 0x10001, v213
	v_add_nc_u64_e32 v[24:25], v[12:13], v[66:67]
	v_mul_u32_u24_e32 v199, 0x10001, v218
	v_mul_u32_u24_e32 v200, 0x10001, v214
	v_add_nc_u64_e32 v[16:17], v[8:9], v[66:67]
	v_mul_u32_u24_e32 v8, 0x10001, v32
	v_mul_u32_u24_e32 v32, 0x10001, v117
	;; [unrolled: 1-line block ×3, first 2 shown]
	s_delay_alu instid0(VALU_DEP_3)
	v_pk_fma_f16 v12, v10, v8, v43
	v_pk_fma_f16 v13, v11, v8, v28
	ds_load_2addr_b64 v[8:11], v105 offset0:64 offset1:96
	v_mul_u32_u24_e32 v28, 0x10001, v119
	s_wait_dscnt 0x0
	v_pk_fma_f16 v50, v9, v40, v47
	v_mul_u32_u24_e32 v47, 0x10001, v114
	s_delay_alu instid0(VALU_DEP_3)
	v_pk_fma_f16 v49, v8, v28, v44
	v_pk_fma_f16 v28, v9, v28, v45
	;; [unrolled: 1-line block ×5, first 2 shown]
	ds_load_2addr_b64 v[40:43], v105 offset0:128 offset1:160
	v_mul_u32_u24_e32 v44, 0x10001, v54
	v_mul_u32_u24_e32 v45, 0x10001, v115
	v_mul_u32_u24_e32 v46, 0x10001, v53
	v_pk_fma_f16 v52, v9, v47, v48
	v_mul_u32_u24_e32 v48, 0x10001, v51
	v_pk_fma_f16 v19, v8, v44, v19
	v_pk_fma_f16 v18, v9, v44, v18
	;; [unrolled: 1-line block ×5, first 2 shown]
	v_mul_u32_u24_e32 v53, 0x10001, v123
	v_pk_fma_f16 v8, v8, v48, v12
	v_mul_u32_u24_e32 v12, 0x10001, v122
	v_pk_fma_f16 v21, v9, v45, v21
	v_pk_fma_f16 v22, v9, v46, v22
	v_mul_u32_u24_e32 v51, 0x10001, v126
	v_mul_u32_u24_e32 v54, 0x10001, v127
	v_pk_fma_f16 v9, v9, v48, v13
	v_pk_fma_f16 v114, v10, v53, v15
	;; [unrolled: 1-line block ×3, first 2 shown]
	v_mul_u32_u24_e32 v13, 0x10001, v124
	v_mul_u32_u24_e32 v14, 0x10001, v121
	v_mul_u32_u24_e32 v15, 0x10001, v125
	v_pk_fma_f16 v19, v10, v12, v19
	v_pk_fma_f16 v18, v11, v12, v18
	v_mul_u32_u24_e32 v12, 0x10001, v120
	v_pk_fma_f16 v55, v10, v51, v49
	v_pk_fma_f16 v32, v10, v54, v32
	;; [unrolled: 1-line block ×8, first 2 shown]
	v_mul_u32_u24_e32 v9, 0x10001, v176
	v_mul_u32_u24_e32 v10, 0x10001, v177
	v_pk_fma_f16 v117, v11, v13, v21
	v_pk_fma_f16 v28, v11, v51, v28
	v_mul_u32_u24_e32 v8, 0x10001, v178
	s_wait_dscnt 0x0
	v_pk_fma_f16 v122, v41, v9, v53
	v_pk_fma_f16 v123, v41, v10, v54
	v_mul_u32_u24_e32 v53, 0x10001, v135
	v_mul_u32_u24_e32 v54, 0x10001, v172
	v_pk_fma_f16 v118, v11, v14, v22
	v_pk_fma_f16 v52, v11, v15, v52
	ds_load_2addr_b64 v[44:47], v105 offset0:192 offset1:224
	v_pk_fma_f16 v124, v40, v53, v19
	v_pk_fma_f16 v125, v41, v53, v18
	;; [unrolled: 1-line block ×4, first 2 shown]
	v_mul_u32_u24_e32 v53, 0x10001, v129
	v_mul_u32_u24_e32 v54, 0x10001, v130
	ds_load_2addr_b64 v[48:51], v106 offset1:32
	ds_load_2addr_b64 v[20:23], v106 offset0:64 offset1:96
	ds_load_2addr_b64 v[12:15], v106 offset0:128 offset1:160
	v_pk_fma_f16 v121, v40, v8, v55
	v_pk_fma_f16 v28, v41, v8, v28
	;; [unrolled: 1-line block ×4, first 2 shown]
	ds_load_2addr_b64 v[8:11], v106 offset0:192 offset1:224
	s_wait_dscnt 0x0
	s_barrier_signal -1
	s_barrier_wait -1
	global_load_b128 v[16:19], v[16:17], off
	v_pk_fma_f16 v116, v40, v53, v116
	v_pk_fma_f16 v118, v41, v53, v118
	;; [unrolled: 1-line block ×4, first 2 shown]
	global_load_b128 v[52:55], v[24:25], off
	s_wait_xcnt 0x0
	v_mul_u32_u24_e32 v24, 0x10001, v128
	v_mul_u32_u24_e32 v25, 0x10001, v136
	;; [unrolled: 1-line block ×8, first 2 shown]
	v_pk_fma_f16 v40, v40, v24, v119
	v_pk_fma_f16 v24, v41, v24, v120
	v_mul_u32_u24_e32 v134, 0x10001, v185
	v_mul_u32_u24_e32 v135, 0x10001, v181
	;; [unrolled: 1-line block ×7, first 2 shown]
	v_pk_fma_f16 v41, v42, v25, v121
	v_pk_fma_f16 v25, v43, v25, v28
	;; [unrolled: 1-line block ×16, first 2 shown]
	v_mul_u32_u24_e32 v176, 0x10001, v190
	v_mul_u32_u24_e32 v177, 0x10001, v186
	v_mul_u32_u24_e32 v178, 0x10001, v191
	v_mul_u32_u24_e32 v179, 0x10001, v189
	v_mul_u32_u24_e32 v180, 0x10001, v192
	v_mul_u32_u24_e32 v181, 0x10001, v188
	v_mul_u32_u24_e32 v182, 0x10001, v193
	v_mul_u32_u24_e32 v183, 0x10001, v187
	v_pk_fma_f16 v41, v44, v134, v41
	v_pk_fma_f16 v25, v45, v134, v25
	;; [unrolled: 1-line block ×64, first 2 shown]
	v_mul_u32_u24_e32 v184, 0x10001, v194
	v_pk_fma_f16 v41, v20, v148, v41
	v_pk_fma_f16 v25, v21, v148, v25
	;; [unrolled: 1-line block ×32, first 2 shown]
	v_mul_u32_u24_e32 v185, 0x10001, v195
	v_mul_u32_u24_e32 v186, 0x10001, v196
	v_pk_fma_f16 v22, v12, v35, v24
	v_pk_fma_f16 v23, v13, v35, v25
	;; [unrolled: 1-line block ×16, first 2 shown]
	v_mul_u32_u24_e32 v187, 0x10001, v208
	v_mul_u32_u24_e32 v188, 0x10001, v201
	;; [unrolled: 1-line block ×8, first 2 shown]
	v_pk_fma_f16 v20, v14, v140, v22
	v_pk_fma_f16 v21, v15, v140, v23
	v_pk_fma_f16 v22, v14, v36, v24
	v_pk_fma_f16 v23, v15, v36, v25
	v_pk_fma_f16 v24, v14, v143, v28
	v_pk_fma_f16 v25, v15, v143, v30
	v_pk_fma_f16 v26, v14, v139, v32
	v_pk_fma_f16 v28, v14, v185, v34
	v_pk_fma_f16 v29, v15, v139, v29
	v_pk_fma_f16 v30, v15, v185, v33
	v_pk_fma_f16 v32, v14, v138, v35
	v_pk_fma_f16 v33, v14, v186, v37
	v_pk_fma_f16 v27, v15, v138, v27
	v_pk_fma_f16 v31, v15, v186, v31
	v_pk_fma_f16 v12, v14, v38, v12
	v_pk_fma_f16 v13, v15, v38, v13
	v_mul_u32_u24_e32 v195, 0x10001, v216
	v_mul_u32_u24_e32 v196, 0x10001, v212
	;; [unrolled: 1-line block ×3, first 2 shown]
	v_pk_fma_f16 v14, v8, v187, v20
	v_pk_fma_f16 v15, v9, v187, v21
	;; [unrolled: 1-line block ×32, first 2 shown]
	s_wait_loadcnt 0x1
	ds_store_b128 v109, v[16:19]
	s_wait_loadcnt 0x0
	ds_store_b128 v110, v[52:55]
	s_wait_dscnt 0x0
	s_barrier_signal -1
	s_barrier_wait -1
	ds_load_b128 v[16:19], v99 offset:512
	ds_load_b128 v[12:15], v99 offset:528
	;; [unrolled: 1-line block ×15, first 2 shown]
	s_wait_dscnt 0xe
	v_dual_lshrrev_b32 v208, 16, v16 :: v_dual_lshrrev_b32 v209, 16, v17
	v_and_b32_e32 v16, 0xffff, v16
	v_dual_lshrrev_b32 v210, 16, v18 :: v_dual_lshrrev_b32 v211, 16, v19
	v_and_b32_e32 v212, 0xffff, v17
	s_wait_dscnt 0x8
	v_dual_lshrrev_b32 v176, 16, v36 :: v_dual_lshrrev_b32 v174, 16, v37
	v_and_b32_e32 v178, 0xffff, v36
	v_and_b32_e32 v177, 0xffff, v37
	s_wait_dscnt 0x7
	v_dual_lshrrev_b32 v163, 16, v34 :: v_dual_lshrrev_b32 v162, 16, v35
	v_and_b32_e32 v166, 0xffff, v34
	;; [unrolled: 4-line block ×3, first 2 shown]
	s_wait_dscnt 0x4
	v_dual_lshrrev_b32 v159, 16, v52 :: v_dual_lshrrev_b32 v157, 16, v53
	v_dual_lshrrev_b32 v154, 16, v54 :: v_dual_lshrrev_b32 v152, 16, v55
	v_and_b32_e32 v161, 0xffff, v52
	v_and_b32_e32 v160, 0xffff, v53
	;; [unrolled: 1-line block ×3, first 2 shown]
	s_wait_dscnt 0x3
	v_dual_lshrrev_b32 v151, 16, v48 :: v_dual_lshrrev_b32 v148, 16, v49
	v_dual_lshrrev_b32 v147, 16, v50 :: v_dual_lshrrev_b32 v138, 16, v51
	v_and_b32_e32 v153, 0xffff, v49
	v_and_b32_e32 v149, 0xffff, v51
	s_wait_dscnt 0x2
	v_dual_lshrrev_b32 v55, 16, v196 :: v_dual_lshrrev_b32 v52, 16, v197
	v_dual_lshrrev_b32 v49, 16, v198 :: v_dual_lshrrev_b32 v46, 16, v199
	v_and_b32_e32 v119, 0xffff, v196
	v_and_b32_e32 v116, 0xffff, v197
	;; [unrolled: 1-line block ×4, first 2 shown]
	ds_load_b128 v[34:37], v99 offset:752
	ds_load_2addr_b64 v[196:199], v100 offset1:32
	v_and_b32_e32 v213, 0xffff, v19
	v_dual_lshrrev_b32 v214, 16, v12 :: v_dual_lshrrev_b32 v215, 16, v13
	v_and_b32_e32 v12, 0xffff, v12
	v_dual_lshrrev_b32 v222, 16, v10 :: v_dual_lshrrev_b32 v223, 16, v11
	v_and_b32_e32 v226, 0xffff, v10
	v_mul_u32_u24_e32 v10, 0x10001, v16
	v_and_b32_e32 v18, 0xffff, v18
	v_dual_lshrrev_b32 v220, 16, v8 :: v_dual_lshrrev_b32 v221, 16, v9
	v_and_b32_e32 v224, 0xffff, v8
	v_dual_lshrrev_b32 v228, 16, v20 :: v_dual_lshrrev_b32 v229, 16, v21
	;; [unrolled: 2-line block ×3, first 2 shown]
	v_dual_lshrrev_b32 v141, 16, v26 :: v_dual_lshrrev_b32 v139, 16, v27
	v_and_b32_e32 v195, 0xffff, v24
	v_and_b32_e32 v145, 0xffff, v26
	;; [unrolled: 1-line block ×3, first 2 shown]
	v_dual_lshrrev_b32 v137, 16, v28 :: v_dual_lshrrev_b32 v134, 16, v29
	v_dual_lshrrev_b32 v133, 16, v30 :: v_dual_lshrrev_b32 v132, 16, v31
	v_and_b32_e32 v142, 0xffff, v28
	v_and_b32_e32 v136, 0xffff, v30
	v_dual_lshrrev_b32 v171, 16, v38 :: v_dual_lshrrev_b32 v168, 16, v39
	v_and_b32_e32 v175, 0xffff, v38
	v_and_b32_e32 v155, 0xffff, v48
	s_wait_dscnt 0x1
	v_dual_lshrrev_b32 v30, 16, v34 :: v_dual_lshrrev_b32 v28, 16, v35
	v_dual_lshrrev_b32 v26, 16, v36 :: v_dual_lshrrev_b32 v8, 16, v37
	v_and_b32_e32 v38, 0xffff, v34
	v_and_b32_e32 v34, 0xffff, v35
	;; [unrolled: 1-line block ×3, first 2 shown]
	s_wait_dscnt 0x0
	v_pk_fma_f16 v16, v196, v10, v127
	v_pk_fma_f16 v10, v197, v10, v131
	v_mul_u32_u24_e32 v20, 0x10001, v208
	v_mul_u32_u24_e32 v24, 0x10001, v212
	;; [unrolled: 1-line block ×6, first 2 shown]
	v_and_b32_e32 v218, 0xffff, v13
	v_dual_lshrrev_b32 v230, 16, v22 :: v_dual_lshrrev_b32 v231, 16, v23
	v_and_b32_e32 v234, 0xffff, v22
	v_and_b32_e32 v194, 0xffff, v25
	;; [unrolled: 1-line block ×4, first 2 shown]
	v_dual_lshrrev_b32 v167, 16, v32 :: v_dual_lshrrev_b32 v164, 16, v33
	v_and_b32_e32 v169, 0xffff, v33
	v_and_b32_e32 v158, 0xffff, v54
	v_pk_fma_f16 v22, v196, v20, v125
	v_pk_fma_f16 v20, v197, v20, v130
	;; [unrolled: 1-line block ×4, first 2 shown]
	v_mul_u32_u24_e32 v18, 0x10001, v18
	v_mul_u32_u24_e32 v33, 0x10001, v210
	v_pk_fma_f16 v39, v196, v37, v115
	v_pk_fma_f16 v37, v197, v37, v122
	;; [unrolled: 1-line block ×5, first 2 shown]
	v_mul_u32_u24_e32 v10, 0x10001, v214
	ds_load_b128 v[120:123], v99 offset:768
	v_and_b32_e32 v135, 0xffff, v31
	v_and_b32_e32 v172, 0xffff, v32
	;; [unrolled: 1-line block ×3, first 2 shown]
	v_pk_fma_f16 v24, v197, v24, v129
	v_pk_fma_f16 v31, v196, v18, v118
	;; [unrolled: 1-line block ×5, first 2 shown]
	v_mul_u32_u24_e32 v10, 0x10001, v218
	v_dual_lshrrev_b32 v216, 16, v14 :: v_dual_lshrrev_b32 v217, 16, v15
	v_and_b32_e32 v14, 0xffff, v14
	v_and_b32_e32 v219, 0xffff, v15
	v_pk_fma_f16 v27, v197, v27, v128
	v_pk_fma_f16 v128, v198, v10, v25
	;; [unrolled: 1-line block ×3, first 2 shown]
	v_mul_u32_u24_e32 v10, 0x10001, v215
	v_dual_lshrrev_b32 v191, 16, v44 :: v_dual_lshrrev_b32 v189, 16, v45
	v_and_b32_e32 v192, 0xffff, v45
	v_and_b32_e32 v150, 0xffff, v50
	v_lshrrev_b32_e32 v45, 16, v200
	v_and_b32_e32 v50, 0xffff, v200
	v_pk_fma_f16 v18, v197, v18, v126
	v_pk_fma_f16 v33, v197, v33, v124
	;; [unrolled: 1-line block ×3, first 2 shown]
	v_mul_u32_u24_e32 v12, 0x10001, v14
	v_mul_u32_u24_e32 v14, 0x10001, v216
	;; [unrolled: 1-line block ×3, first 2 shown]
	v_pk_fma_f16 v130, v198, v10, v29
	v_pk_fma_f16 v200, v199, v10, v27
	v_mul_u32_u24_e32 v10, 0x10001, v217
	ds_load_b128 v[124:127], v99 offset:784
	v_and_b32_e32 v193, 0xffff, v44
	v_and_b32_e32 v188, 0xffff, v47
	v_dual_lshrrev_b32 v183, 16, v40 :: v_dual_lshrrev_b32 v180, 16, v41
	v_dual_lshrrev_b32 v179, 16, v42 :: v_dual_lshrrev_b32 v170, 16, v43
	v_and_b32_e32 v187, 0xffff, v40
	v_and_b32_e32 v185, 0xffff, v41
	;; [unrolled: 1-line block ×4, first 2 shown]
	v_dual_lshrrev_b32 v42, 16, v201 :: v_dual_lshrrev_b32 v41, 16, v202
	v_lshrrev_b32_e32 v40, 16, v203
	v_and_b32_e32 v47, 0xffff, v201
	v_and_b32_e32 v44, 0xffff, v202
	;; [unrolled: 1-line block ×3, first 2 shown]
	v_pk_fma_f16 v131, v198, v12, v31
	v_pk_fma_f16 v196, v198, v14, v36
	;; [unrolled: 1-line block ×8, first 2 shown]
	s_wait_dscnt 0x1
	v_dual_lshrrev_b32 v20, 16, v120 :: v_dual_lshrrev_b32 v16, 16, v121
	v_dual_lshrrev_b32 v12, 16, v122 :: v_dual_lshrrev_b32 v10, 16, v123
	v_and_b32_e32 v24, 0xffff, v120
	v_and_b32_e32 v22, 0xffff, v121
	;; [unrolled: 1-line block ×4, first 2 shown]
	ds_load_2addr_b64 v[120:123], v100 offset0:64 offset1:96
	s_wait_dscnt 0x1
	v_dual_lshrrev_b32 v31, 16, v124 :: v_dual_lshrrev_b32 v29, 16, v125
	v_and_b32_e32 v39, 0xffff, v124
	v_mul_u32_u24_e32 v124, 0x10001, v224
	v_and_b32_e32 v225, 0xffff, v9
	v_dual_lshrrev_b32 v27, 16, v126 :: v_dual_lshrrev_b32 v25, 16, v127
	v_and_b32_e32 v33, 0xffff, v126
	v_mul_u32_u24_e32 v126, 0x10001, v221
	v_and_b32_e32 v227, 0xffff, v11
	v_and_b32_e32 v36, 0xffff, v125
	;; [unrolled: 1-line block ×3, first 2 shown]
	v_mul_u32_u24_e32 v198, 0x10001, v223
	v_and_b32_e32 v233, 0xffff, v21
	v_and_b32_e32 v235, 0xffff, v23
	v_dual_lshrrev_b32 v19, 16, v204 :: v_dual_lshrrev_b32 v15, 16, v205
	v_and_b32_e32 v23, 0xffff, v204
	v_and_b32_e32 v21, 0xffff, v205
	s_wait_dscnt 0x0
	v_pk_fma_f16 v114, v120, v124, v114
	v_pk_fma_f16 v115, v121, v124, v115
	v_mul_u32_u24_e32 v124, 0x10001, v220
	v_pk_fma_f16 v127, v120, v126, v130
	v_mul_u32_u24_e32 v130, 0x10001, v222
	v_pk_fma_f16 v54, v120, v198, v54
	v_pk_fma_f16 v126, v121, v126, v200
	;; [unrolled: 1-line block ×4, first 2 shown]
	v_mul_u32_u24_e32 v124, 0x10001, v225
	v_dual_lshrrev_b32 v11, 16, v206 :: v_dual_lshrrev_b32 v9, 16, v207
	v_and_b32_e32 v17, 0xffff, v206
	v_and_b32_e32 v13, 0xffff, v207
	s_delay_alu instid0(VALU_DEP_4)
	v_pk_fma_f16 v125, v120, v124, v128
	v_mul_u32_u24_e32 v128, 0x10001, v226
	v_pk_fma_f16 v124, v121, v124, v129
	v_pk_fma_f16 v48, v121, v198, v48
	v_mul_u32_u24_e32 v146, 0x10001, v146
	v_mul_u32_u24_e32 v144, 0x10001, v144
	v_pk_fma_f16 v129, v120, v128, v131
	v_pk_fma_f16 v131, v120, v130, v196
	v_mul_u32_u24_e32 v196, 0x10001, v227
	v_pk_fma_f16 v130, v121, v130, v202
	v_pk_fma_f16 v128, v121, v128, v201
	v_mul_u32_u24_e32 v142, 0x10001, v142
	v_mul_u32_u24_e32 v194, 0x10001, v194
	v_pk_fma_f16 v197, v120, v196, v197
	v_mul_u32_u24_e32 v120, 0x10001, v232
	v_pk_fma_f16 v196, v121, v196, v203
	v_mul_u32_u24_e32 v145, 0x10001, v145
	v_mul_u32_u24_e32 v141, 0x10001, v141
	;; [unrolled: 1-line block ×3, first 2 shown]
	v_pk_fma_f16 v200, v122, v120, v114
	v_mul_u32_u24_e32 v114, 0x10001, v228
	v_pk_fma_f16 v201, v123, v120, v115
	v_mul_u32_u24_e32 v115, 0x10001, v234
	v_mul_u32_u24_e32 v139, 0x10001, v139
	;; [unrolled: 1-line block ×3, first 2 shown]
	v_pk_fma_f16 v202, v122, v114, v117
	v_pk_fma_f16 v203, v123, v114, v118
	v_mul_u32_u24_e32 v114, 0x10001, v233
	v_mul_u32_u24_e32 v117, 0x10001, v230
	;; [unrolled: 1-line block ×3, first 2 shown]
	v_pk_fma_f16 v207, v122, v115, v129
	v_pk_fma_f16 v211, v123, v115, v128
	;; [unrolled: 1-line block ×4, first 2 shown]
	v_mul_u32_u24_e32 v114, 0x10001, v229
	v_pk_fma_f16 v208, v122, v117, v131
	v_pk_fma_f16 v212, v123, v117, v130
	ds_load_b128 v[128:131], v99 offset:816
	v_pk_fma_f16 v209, v122, v118, v197
	v_pk_fma_f16 v206, v122, v114, v127
	;; [unrolled: 1-line block ×3, first 2 shown]
	ds_load_b128 v[124:127], v99 offset:800
	v_pk_fma_f16 v213, v123, v118, v196
	ds_load_2addr_b64 v[196:199], v100 offset0:128 offset1:160
	v_mul_u32_u24_e32 v114, 0x10001, v231
	v_mul_u32_u24_e32 v178, 0x10001, v178
	;; [unrolled: 1-line block ×5, first 2 shown]
	v_pk_fma_f16 v214, v122, v114, v54
	v_pk_fma_f16 v215, v123, v114, v48
	v_mul_u32_u24_e32 v175, 0x10001, v175
	v_mul_u32_u24_e32 v171, 0x10001, v171
	v_mul_u32_u24_e32 v173, 0x10001, v173
	v_mul_u32_u24_e32 v168, 0x10001, v168
	v_mul_u32_u24_e32 v172, 0x10001, v172
	v_mul_u32_u24_e32 v167, 0x10001, v167
	s_wait_dscnt 0x2
	v_dual_lshrrev_b32 v123, 16, v130 :: v_dual_lshrrev_b32 v115, 16, v131
	v_mul_u32_u24_e32 v164, 0x10001, v164
	v_mul_u32_u24_e32 v166, 0x10001, v166
	s_wait_dscnt 0x1
	v_dual_lshrrev_b32 v54, 16, v126 :: v_dual_lshrrev_b32 v48, 16, v127
	v_and_b32_e32 v118, 0xffff, v126
	v_and_b32_e32 v126, 0xffff, v130
	v_mul_u32_u24_e32 v130, 0x10001, v195
	v_and_b32_e32 v117, 0xffff, v127
	v_and_b32_e32 v127, 0xffff, v131
	s_wait_dscnt 0x0
	v_pk_fma_f16 v195, v196, v146, v202
	v_pk_fma_f16 v146, v197, v146, v203
	v_pk_fma_f16 v131, v196, v130, v200
	v_pk_fma_f16 v130, v197, v130, v201
	v_pk_fma_f16 v201, v196, v144, v206
	v_pk_fma_f16 v200, v196, v194, v204
	v_pk_fma_f16 v194, v197, v194, v205
	v_pk_fma_f16 v202, v196, v145, v207
	v_pk_fma_f16 v206, v199, v142, v130
	v_mul_u32_u24_e32 v130, 0x10001, v137
	v_pk_fma_f16 v203, v196, v141, v208
	v_pk_fma_f16 v144, v197, v144, v210
	;; [unrolled: 1-line block ×6, first 2 shown]
	v_mul_u32_u24_e32 v130, 0x10001, v140
	v_pk_fma_f16 v143, v197, v143, v213
	v_pk_fma_f16 v196, v196, v139, v214
	;; [unrolled: 1-line block ×3, first 2 shown]
	v_mul_u32_u24_e32 v131, 0x10001, v136
	v_pk_fma_f16 v200, v198, v130, v200
	v_pk_fma_f16 v209, v199, v130, v194
	v_mul_u32_u24_e32 v130, 0x10001, v134
	v_mul_u32_u24_e32 v134, 0x10001, v135
	v_pk_fma_f16 v145, v197, v145, v211
	v_pk_fma_f16 v139, v197, v139, v215
	;; [unrolled: 1-line block ×5, first 2 shown]
	v_mul_u32_u24_e32 v130, 0x10001, v132
	v_pk_fma_f16 v203, v198, v133, v203
	v_pk_fma_f16 v204, v198, v134, v204
	;; [unrolled: 1-line block ×4, first 2 shown]
	ds_load_b128 v[140:143], v99 offset:832
	v_pk_fma_f16 v198, v198, v130, v196
	ds_load_b128 v[194:197], v99 offset:848
	v_pk_fma_f16 v211, v199, v131, v145
	v_pk_fma_f16 v199, v199, v130, v139
	v_mul_u32_u24_e32 v163, 0x10001, v163
	v_mul_u32_u24_e32 v165, 0x10001, v165
	;; [unrolled: 1-line block ×15, first 2 shown]
	s_wait_dscnt 0x1
	v_dual_lshrrev_b32 v133, 16, v140 :: v_dual_lshrrev_b32 v132, 16, v141
	v_dual_lshrrev_b32 v131, 16, v142 :: v_dual_lshrrev_b32 v130, 16, v143
	v_and_b32_e32 v137, 0xffff, v140
	v_and_b32_e32 v136, 0xffff, v141
	;; [unrolled: 1-line block ×4, first 2 shown]
	s_wait_dscnt 0x0
	v_dual_lshrrev_b32 v139, 16, v194 :: v_dual_lshrrev_b32 v142, 16, v195
	v_dual_lshrrev_b32 v141, 16, v196 :: v_dual_lshrrev_b32 v140, 16, v197
	v_and_b32_e32 v143, 0xffff, v194
	v_and_b32_e32 v144, 0xffff, v195
	;; [unrolled: 1-line block ×4, first 2 shown]
	ds_load_2addr_b64 v[194:197], v100 offset0:192 offset1:224
	v_mul_u32_u24_e32 v179, 0x10001, v179
	v_mul_u32_u24_e32 v181, 0x10001, v181
	;; [unrolled: 1-line block ×19, first 2 shown]
	s_wait_dscnt 0x0
	v_pk_fma_f16 v205, v194, v178, v205
	v_pk_fma_f16 v178, v195, v178, v206
	;; [unrolled: 1-line block ×19, first 2 shown]
	v_mul_u32_u24_e32 v167, 0x10001, v169
	v_pk_fma_f16 v199, v197, v172, v178
	v_pk_fma_f16 v201, v196, v164, v201
	;; [unrolled: 1-line block ×11, first 2 shown]
	ds_load_b128 v[172:175], v99 offset:864
	v_pk_fma_f16 v212, v196, v162, v194
	v_pk_fma_f16 v213, v197, v162, v168
	ds_load_b128 v[194:197], v99 offset:880
	v_mul_u32_u24_e32 v55, 0x10001, v55
	v_mul_u32_u24_e32 v116, 0x10001, v116
	;; [unrolled: 1-line block ×16, first 2 shown]
	s_wait_dscnt 0x1
	v_dual_lshrrev_b32 v165, 16, v172 :: v_dual_lshrrev_b32 v164, 16, v173
	v_dual_lshrrev_b32 v163, 16, v174 :: v_dual_lshrrev_b32 v162, 16, v175
	v_and_b32_e32 v169, 0xffff, v172
	v_and_b32_e32 v168, 0xffff, v173
	;; [unrolled: 1-line block ×4, first 2 shown]
	s_wait_dscnt 0x0
	v_dual_lshrrev_b32 v171, 16, v194 :: v_dual_lshrrev_b32 v174, 16, v195
	v_dual_lshrrev_b32 v173, 16, v196 :: v_dual_lshrrev_b32 v172, 16, v197
	v_and_b32_e32 v175, 0xffff, v194
	v_and_b32_e32 v176, 0xffff, v195
	;; [unrolled: 1-line block ×4, first 2 shown]
	ds_load_2addr_b64 v[194:197], v104 offset1:32
	v_mul_u32_u24_e32 v21, 0x10001, v21
	v_mul_u32_u24_e32 v15, 0x10001, v15
	;; [unrolled: 1-line block ×15, first 2 shown]
	v_and_b32_e32 v121, 0xffff, v125
	v_dual_lshrrev_b32 v120, 16, v124 :: v_dual_lshrrev_b32 v114, 16, v125
	v_and_b32_e32 v122, 0xffff, v124
	s_wait_dscnt 0x0
	v_pk_fma_f16 v198, v194, v193, v198
	v_pk_fma_f16 v193, v195, v193, v199
	;; [unrolled: 1-line block ×18, first 2 shown]
	v_mul_u32_u24_e32 v183, 0x10001, v185
	v_pk_fma_f16 v198, v196, v187, v198
	v_pk_fma_f16 v205, v197, v187, v193
	;; [unrolled: 1-line block ×14, first 2 shown]
	ds_load_2addr_b64 v[194:197], v104 offset0:64 offset1:96
	v_dual_lshrrev_b32 v125, 16, v128 :: v_dual_lshrrev_b32 v124, 16, v129
	v_and_b32_e32 v129, 0xffff, v129
	v_mul_u32_u24_e32 v25, 0x10001, v25
	v_and_b32_e32 v128, 0xffff, v128
	ds_load_b128 v[186:189], v99 offset:896
	ds_load_b128 v[190:193], v99 offset:912
	s_wait_dscnt 0x2
	v_pk_fma_f16 v199, v194, v159, v199
	v_pk_fma_f16 v159, v195, v159, v206
	;; [unrolled: 1-line block ×18, first 2 shown]
	v_mul_u32_u24_e32 v151, 0x10001, v153
	v_pk_fma_f16 v198, v196, v155, v198
	v_pk_fma_f16 v205, v197, v155, v161
	;; [unrolled: 1-line block ×14, first 2 shown]
	ds_load_2addr_b64 v[194:197], v104 offset0:128 offset1:160
	ds_load_b128 v[154:157], v99 offset:928
	ds_load_b128 v[158:161], v99 offset:944
	s_wait_dscnt 0x4
	v_dual_lshrrev_b32 v181, 16, v186 :: v_dual_lshrrev_b32 v180, 16, v187
	v_dual_lshrrev_b32 v179, 16, v188 :: v_dual_lshrrev_b32 v170, 16, v189
	v_and_b32_e32 v185, 0xffff, v186
	v_and_b32_e32 v184, 0xffff, v187
	;; [unrolled: 1-line block ×4, first 2 shown]
	s_wait_dscnt 0x3
	v_dual_lshrrev_b32 v186, 16, v190 :: v_dual_lshrrev_b32 v189, 16, v191
	v_dual_lshrrev_b32 v188, 16, v192 :: v_dual_lshrrev_b32 v187, 16, v193
	v_and_b32_e32 v190, 0xffff, v190
	v_and_b32_e32 v191, 0xffff, v191
	;; [unrolled: 1-line block ×4, first 2 shown]
	v_mul_u32_u24_e32 v170, 0x10001, v170
	s_wait_dscnt 0x2
	v_pk_fma_f16 v198, v194, v119, v198
	v_pk_fma_f16 v199, v194, v55, v199
	;; [unrolled: 1-line block ×19, first 2 shown]
	v_mul_u32_u24_e32 v45, 0x10001, v47
	v_pk_fma_f16 v199, v196, v42, v201
	v_pk_fma_f16 v201, v196, v41, v203
	v_pk_fma_f16 v203, v197, v42, v52
	v_pk_fma_f16 v205, v197, v43, v51
	v_pk_fma_f16 v47, v196, v45, v200
	v_pk_fma_f16 v116, v197, v45, v116
	v_pk_fma_f16 v200, v196, v44, v202
	v_pk_fma_f16 v202, v196, v43, v204
	v_pk_fma_f16 v204, v197, v44, v53
	ds_load_b128 v[42:45], v99 offset:960
	v_pk_fma_f16 v119, v197, v50, v119
	v_pk_fma_f16 v49, v197, v41, v49
	;; [unrolled: 1-line block ×4, first 2 shown]
	ds_load_b128 v[50:53], v99 offset:976
	s_wait_dscnt 0x3
	v_dual_lshrrev_b32 v149, 16, v154 :: v_dual_lshrrev_b32 v148, 16, v155
	v_dual_lshrrev_b32 v147, 16, v156 :: v_dual_lshrrev_b32 v138, 16, v157
	v_and_b32_e32 v153, 0xffff, v154
	v_and_b32_e32 v152, 0xffff, v155
	v_and_b32_e32 v151, 0xffff, v156
	v_and_b32_e32 v150, 0xffff, v157
	s_wait_dscnt 0x2
	v_dual_lshrrev_b32 v154, 16, v158 :: v_dual_lshrrev_b32 v157, 16, v159
	v_dual_lshrrev_b32 v156, 16, v160 :: v_dual_lshrrev_b32 v155, 16, v161
	v_and_b32_e32 v158, 0xffff, v158
	v_and_b32_e32 v159, 0xffff, v159
	s_wait_dscnt 0x1
	v_dual_lshrrev_b32 v196, 16, v42 :: v_dual_lshrrev_b32 v197, 16, v43
	v_and_b32_e32 v208, 0xffff, v42
	v_and_b32_e32 v209, 0xffff, v43
	ds_load_2addr_b64 v[40:43], v104 offset0:192 offset1:224
	v_dual_lshrrev_b32 v206, 16, v44 :: v_dual_lshrrev_b32 v207, 16, v45
	v_and_b32_e32 v210, 0xffff, v44
	v_and_b32_e32 v211, 0xffff, v45
	;; [unrolled: 1-line block ×4, first 2 shown]
	v_mul_u32_u24_e32 v153, 0x10001, v153
	v_mul_u32_u24_e32 v149, 0x10001, v149
	;; [unrolled: 1-line block ×13, first 2 shown]
	s_wait_dscnt 0x0
	v_pk_fma_f16 v44, v40, v23, v195
	v_pk_fma_f16 v23, v41, v23, v119
	;; [unrolled: 1-line block ×16, first 2 shown]
	v_mul_u32_u24_e32 v30, 0x10001, v34
	v_pk_fma_f16 v15, v41, v15, v203
	v_pk_fma_f16 v17, v41, v17, v204
	;; [unrolled: 1-line block ×6, first 2 shown]
	v_mul_u32_u24_e32 v30, 0x10001, v32
	v_mul_u32_u24_e32 v32, 0x10001, v35
	v_pk_fma_f16 v35, v42, v28, v55
	v_pk_fma_f16 v15, v43, v28, v15
	;; [unrolled: 1-line block ×8, first 2 shown]
	ds_load_b128 v[44:47], v99 offset:992
	v_pk_fma_f16 v26, v42, v8, v40
	v_pk_fma_f16 v8, v43, v8, v9
	ds_load_b128 v[40:43], v99 offset:1008
	v_mul_u32_u24_e32 v9, 0x10001, v24
	v_mul_u32_u24_e32 v156, 0x10001, v156
	;; [unrolled: 1-line block ×4, first 2 shown]
	v_dual_lshrrev_b32 v212, 16, v50 :: v_dual_lshrrev_b32 v213, 16, v51
	v_dual_lshrrev_b32 v214, 16, v52 :: v_dual_lshrrev_b32 v215, 16, v53
	v_and_b32_e32 v50, 0xffff, v50
	v_and_b32_e32 v51, 0xffff, v51
	v_and_b32_e32 v52, 0xffff, v52
	v_and_b32_e32 v53, 0xffff, v53
	s_delay_alu instid0(VALU_DEP_4) | instskip(NEXT) | instid1(VALU_DEP_4)
	v_mul_u32_u24_e32 v50, 0x10001, v50
	v_mul_u32_u24_e32 v51, 0x10001, v51
	s_delay_alu instid0(VALU_DEP_4)
	v_mul_u32_u24_e32 v52, 0x10001, v52
	s_wait_dscnt 0x1
	v_dual_lshrrev_b32 v32, 16, v44 :: v_dual_lshrrev_b32 v119, 16, v45
	v_dual_lshrrev_b32 v195, 16, v46 :: v_dual_lshrrev_b32 v198, 16, v47
	s_wait_dscnt 0x0
	v_dual_lshrrev_b32 v199, 16, v40 :: v_dual_lshrrev_b32 v200, 16, v41
	v_dual_lshrrev_b32 v201, 16, v42 :: v_dual_lshrrev_b32 v202, 16, v43
	v_and_b32_e32 v203, 0xffff, v40
	v_and_b32_e32 v204, 0xffff, v41
	;; [unrolled: 1-line block ×4, first 2 shown]
	ds_load_2addr_b64 v[40:43], v105 offset1:32
	v_and_b32_e32 v44, 0xffff, v44
	v_and_b32_e32 v45, 0xffff, v45
	;; [unrolled: 1-line block ×4, first 2 shown]
	v_mul_u32_u24_e32 v53, 0x10001, v53
	v_mul_u32_u24_e32 v44, 0x10001, v44
	;; [unrolled: 1-line block ×7, first 2 shown]
	s_wait_dscnt 0x0
	v_pk_fma_f16 v24, v40, v9, v194
	v_pk_fma_f16 v9, v41, v9, v23
	;; [unrolled: 1-line block ×4, first 2 shown]
	v_mul_u32_u24_e32 v20, 0x10001, v22
	v_pk_fma_f16 v15, v41, v16, v15
	v_pk_fma_f16 v11, v41, v12, v11
	;; [unrolled: 1-line block ×3, first 2 shown]
	v_mul_u32_u24_e32 v38, 0x10001, v118
	v_pk_fma_f16 v22, v40, v20, v34
	v_pk_fma_f16 v20, v41, v20, v21
	;; [unrolled: 1-line block ×3, first 2 shown]
	v_mul_u32_u24_e32 v16, 0x10001, v18
	v_mul_u32_u24_e32 v35, 0x10001, v121
	v_pk_fma_f16 v8, v43, v25, v8
	v_mul_u32_u24_e32 v118, 0x10001, v132
	v_mul_u32_u24_e32 v121, 0x10001, v131
	v_pk_fma_f16 v18, v40, v16, v55
	v_pk_fma_f16 v16, v41, v16, v17
	;; [unrolled: 1-line block ×3, first 2 shown]
	v_mul_u32_u24_e32 v12, 0x10001, v14
	v_mul_u32_u24_e32 v116, 0x10001, v133
	;; [unrolled: 1-line block ×5, first 2 shown]
	v_pk_fma_f16 v14, v40, v12, v49
	v_pk_fma_f16 v12, v41, v12, v13
	;; [unrolled: 1-line block ×3, first 2 shown]
	v_mul_u32_u24_e32 v10, 0x10001, v39
	v_mul_u32_u24_e32 v39, 0x10001, v54
	;; [unrolled: 1-line block ×4, first 2 shown]
	v_pk_fma_f16 v13, v42, v25, v13
	v_pk_fma_f16 v24, v42, v10, v24
	;; [unrolled: 1-line block ×3, first 2 shown]
	v_mul_u32_u24_e32 v10, 0x10001, v31
	v_mul_u32_u24_e32 v25, 0x10001, v122
	;; [unrolled: 1-line block ×5, first 2 shown]
	v_pk_fma_f16 v26, v42, v10, v23
	v_pk_fma_f16 v10, v43, v10, v19
	v_mul_u32_u24_e32 v19, 0x10001, v36
	v_mul_u32_u24_e32 v23, 0x10001, v27
	;; [unrolled: 1-line block ×5, first 2 shown]
	v_pk_fma_f16 v34, v42, v19, v22
	v_pk_fma_f16 v19, v43, v19, v20
	v_mul_u32_u24_e32 v20, 0x10001, v29
	v_mul_u32_u24_e32 v22, 0x10001, v33
	v_pk_fma_f16 v17, v42, v23, v17
	v_pk_fma_f16 v11, v43, v23, v11
	;; [unrolled: 1-line block ×7, first 2 shown]
	ds_load_2addr_b64 v[20:23], v105 offset0:64 offset1:96
	v_pk_fma_f16 v12, v43, v27, v12
	ds_load_2addr_b64 v[28:31], v105 offset0:128 offset1:160
	v_mul_u32_u24_e32 v27, 0x10001, v120
	v_mul_u32_u24_e32 v120, 0x10001, v135
	;; [unrolled: 1-line block ×17, first 2 shown]
	s_wait_dscnt 0x1
	v_pk_fma_f16 v34, v20, v35, v34
	v_pk_fma_f16 v35, v21, v35, v19
	v_mul_u32_u24_e32 v19, 0x10001, v114
	v_pk_fma_f16 v43, v20, v39, v17
	v_pk_fma_f16 v11, v21, v39, v11
	;; [unrolled: 1-line block ×4, first 2 shown]
	v_mul_u32_u24_e32 v12, 0x10001, v48
	v_mul_u32_u24_e32 v48, 0x10001, v129
	v_pk_fma_f16 v9, v21, v25, v9
	v_pk_fma_f16 v10, v21, v27, v10
	;; [unrolled: 1-line block ×3, first 2 shown]
	v_mul_u32_u24_e32 v14, 0x10001, v128
	v_mul_u32_u24_e32 v15, 0x10001, v125
	v_pk_fma_f16 v34, v22, v48, v34
	v_pk_fma_f16 v35, v23, v48, v35
	v_mul_u32_u24_e32 v48, 0x10001, v127
	v_pk_fma_f16 v36, v20, v25, v24
	v_pk_fma_f16 v37, v20, v27, v26
	ds_load_2addr_b64 v[24:27], v105 offset0:192 offset1:224
	v_pk_fma_f16 v33, v20, v19, v33
	v_pk_fma_f16 v42, v20, v38, v18
	;; [unrolled: 1-line block ×7, first 2 shown]
	v_mul_u32_u24_e32 v8, 0x10001, v124
	v_mul_u32_u24_e32 v9, 0x10001, v126
	;; [unrolled: 1-line block ×3, first 2 shown]
	v_pk_fma_f16 v39, v22, v48, v39
	v_pk_fma_f16 v40, v23, v48, v40
	v_mul_u32_u24_e32 v48, 0x10001, v115
	v_pk_fma_f16 v36, v22, v14, v36
	v_pk_fma_f16 v37, v22, v15, v37
	;; [unrolled: 1-line block ×10, first 2 shown]
	v_mul_u32_u24_e32 v115, 0x10001, v137
	v_mul_u32_u24_e32 v123, 0x10001, v130
	ds_load_2addr_b64 v[16:19], v106 offset1:32
	v_mul_u32_u24_e32 v124, 0x10001, v143
	v_mul_u32_u24_e32 v125, 0x10001, v139
	;; [unrolled: 1-line block ×7, first 2 shown]
	s_wait_dscnt 0x2
	v_pk_fma_f16 v36, v28, v115, v36
	v_pk_fma_f16 v49, v29, v115, v49
	;; [unrolled: 1-line block ×16, first 2 shown]
	v_mul_u32_u24_e32 v137, 0x10001, v163
	v_mul_u32_u24_e32 v139, 0x10001, v166
	v_pk_fma_f16 v36, v30, v124, v36
	v_pk_fma_f16 v48, v31, v124, v49
	v_pk_fma_f16 v37, v30, v125, v37
	v_pk_fma_f16 v49, v31, v125, v54
	v_pk_fma_f16 v34, v30, v126, v34
	v_pk_fma_f16 v35, v31, v126, v35
	v_pk_fma_f16 v33, v30, v127, v33
	v_pk_fma_f16 v42, v30, v128, v42
	v_pk_fma_f16 v43, v30, v129, v43
	v_pk_fma_f16 v39, v30, v130, v39
	v_pk_fma_f16 v41, v31, v127, v41
	v_pk_fma_f16 v38, v31, v128, v38
	v_pk_fma_f16 v54, v31, v129, v55
	v_pk_fma_f16 v40, v31, v130, v40
	v_pk_fma_f16 v28, v30, v131, v28
	v_pk_fma_f16 v29, v31, v131, v29
	ds_load_2addr_b64 v[12:15], v106 offset0:64 offset1:96
	v_mul_u32_u24_e32 v141, 0x10001, v175
	v_mul_u32_u24_e32 v142, 0x10001, v171
	;; [unrolled: 1-line block ×7, first 2 shown]
	s_wait_dscnt 0x2
	v_pk_fma_f16 v30, v24, v132, v36
	v_pk_fma_f16 v31, v25, v132, v48
	;; [unrolled: 1-line block ×16, first 2 shown]
	v_mul_u32_u24_e32 v166, 0x10001, v184
	v_mul_u32_u24_e32 v171, 0x10001, v182
	v_pk_fma_f16 v28, v26, v141, v30
	v_pk_fma_f16 v29, v27, v141, v31
	;; [unrolled: 1-line block ×16, first 2 shown]
	ds_load_2addr_b64 v[8:11], v106 offset0:128 offset1:160
	v_mul_u32_u24_e32 v172, 0x10001, v190
	v_mul_u32_u24_e32 v173, 0x10001, v186
	v_mul_u32_u24_e32 v174, 0x10001, v191
	v_mul_u32_u24_e32 v175, 0x10001, v189
	v_mul_u32_u24_e32 v176, 0x10001, v192
	v_mul_u32_u24_e32 v177, 0x10001, v188
	s_wait_dscnt 0x2
	v_pk_fma_f16 v26, v16, v164, v28
	v_pk_fma_f16 v27, v17, v164, v29
	;; [unrolled: 1-line block ×32, first 2 shown]
	ds_load_2addr_b64 v[20:23], v106 offset0:192 offset1:224
	s_wait_dscnt 0x2
	v_pk_fma_f16 v18, v12, v153, v24
	v_pk_fma_f16 v19, v13, v153, v25
	;; [unrolled: 1-line block ×16, first 2 shown]
	s_wait_dscnt 0x0
	s_barrier_signal -1
	s_barrier_wait -1
	s_load_b32 s2, s[22:23], 0x4
	v_mul_u32_u24_e32 v182, 0x10001, v209
	v_mul_u32_u24_e32 v184, 0x10001, v210
	v_mul_u32_u24_e32 v186, 0x10001, v211
	v_pk_fma_f16 v16, v14, v158, v18
	v_pk_fma_f16 v17, v15, v158, v19
	;; [unrolled: 1-line block ×16, first 2 shown]
	v_mul_u32_u24_e32 v188, 0x10001, v212
	v_mul_u32_u24_e32 v189, 0x10001, v213
	;; [unrolled: 1-line block ×4, first 2 shown]
	v_pk_fma_f16 v14, v8, v180, v16
	v_pk_fma_f16 v15, v9, v180, v17
	;; [unrolled: 1-line block ×16, first 2 shown]
	v_mul_u32_u24_e32 v192, 0x10001, v195
	v_pk_fma_f16 v12, v10, v50, v14
	v_pk_fma_f16 v13, v11, v50, v15
	;; [unrolled: 1-line block ×16, first 2 shown]
	v_mul_u32_u24_e32 v195, 0x10001, v199
	v_mul_u32_u24_e32 v196, 0x10001, v204
	;; [unrolled: 1-line block ×7, first 2 shown]
	v_pk_fma_f16 v10, v20, v44, v12
	v_pk_fma_f16 v11, v20, v32, v14
	;; [unrolled: 1-line block ×16, first 2 shown]
	s_wait_kmcnt 0x0
	s_lshl_b32 s2, s2, 6
	v_pk_fma_f16 v128, v22, v194, v10
	v_pk_fma_f16 v126, v22, v195, v11
	;; [unrolled: 1-line block ×16, first 2 shown]
	s_add_co_i32 s18, s2, s18
	s_delay_alu instid0(SALU_CYCLE_1)
	s_cmp_ge_i32 s18, s38
	s_cbranch_scc0 .LBB33_9
; %bb.10:
	v_dual_mov_b32 v9, 32 :: v_dual_mov_b32 v11, v97
.LBB33_11:
	s_delay_alu instid0(VALU_DEP_1)
	v_cmp_lt_i32_e32 vcc_lo, v98, v9
	s_cmp_lg_u64 s[20:21], 0
	s_cselect_b32 s2, -1, 0
	s_cmp_eq_u32 s33, 0
	v_cndmask_b32_e32 v8, v11, v98, vcc_lo
	v_cmp_lt_i32_e32 vcc_lo, v96, v9
	s_cselect_b32 s3, -1, 0
	s_delay_alu instid0(SALU_CYCLE_1) | instskip(NEXT) | instid1(VALU_DEP_2)
	s_and_b32 s2, s3, s2
	v_lshlrev_b32_e32 v8, 2, v8
	ds_bpermute_b32 v12, v8, v62
	ds_bpermute_b32 v13, v8, v63
	;; [unrolled: 1-line block ×8, first 2 shown]
	v_cndmask_b32_e32 v8, v11, v96, vcc_lo
	v_cmp_lt_i32_e32 vcc_lo, v95, v9
	s_delay_alu instid0(VALU_DEP_2)
	v_lshlrev_b32_e32 v8, 2, v8
	s_wait_dscnt 0x6
	v_pk_add_f32 v[12:13], v[62:63], v[12:13]
	s_wait_dscnt 0x4
	v_pk_add_f32 v[14:15], v[60:61], v[14:15]
	s_wait_dscnt 0x2
	v_pk_add_f32 v[16:17], v[58:59], v[16:17]
	ds_bpermute_b32 v20, v8, v12
	s_wait_dscnt 0x1
	v_pk_add_f32 v[18:19], v[56:57], v[18:19]
	ds_bpermute_b32 v21, v8, v13
	ds_bpermute_b32 v22, v8, v14
	ds_bpermute_b32 v23, v8, v15
	ds_bpermute_b32 v24, v8, v16
	ds_bpermute_b32 v25, v8, v17
	ds_bpermute_b32 v26, v8, v18
	ds_bpermute_b32 v27, v8, v19
	v_cndmask_b32_e32 v8, v11, v95, vcc_lo
	v_cmp_lt_i32_e32 vcc_lo, v94, v9
	s_delay_alu instid0(VALU_DEP_2)
	v_lshlrev_b32_e32 v8, 2, v8
	s_wait_dscnt 0x6
	v_pk_add_f32 v[12:13], v[12:13], v[20:21]
	s_wait_dscnt 0x4
	v_pk_add_f32 v[14:15], v[14:15], v[22:23]
	s_wait_dscnt 0x2
	v_pk_add_f32 v[16:17], v[16:17], v[24:25]
	ds_bpermute_b32 v20, v8, v12
	s_wait_dscnt 0x1
	v_pk_add_f32 v[18:19], v[18:19], v[26:27]
	ds_bpermute_b32 v21, v8, v13
	ds_bpermute_b32 v22, v8, v14
	ds_bpermute_b32 v23, v8, v15
	ds_bpermute_b32 v24, v8, v16
	ds_bpermute_b32 v25, v8, v17
	ds_bpermute_b32 v26, v8, v18
	ds_bpermute_b32 v27, v8, v19
	;; [unrolled: 20-line block ×3, first 2 shown]
	v_cndmask_b32_e32 v8, v11, v93, vcc_lo
	s_and_b32 vcc_lo, exec_lo, s2
	s_delay_alu instid0(VALU_DEP_1)
	v_lshlrev_b32_e32 v28, 2, v8
	s_wait_dscnt 0x6
	v_pk_add_f32 v[8:9], v[12:13], v[20:21]
	s_wait_dscnt 0x4
	v_pk_add_f32 v[10:11], v[14:15], v[22:23]
	;; [unrolled: 2-line block ×3, first 2 shown]
	ds_bpermute_b32 v12, v28, v8
	s_wait_dscnt 0x1
	v_pk_add_f32 v[18:19], v[18:19], v[26:27]
	ds_bpermute_b32 v13, v28, v9
	ds_bpermute_b32 v20, v28, v10
	;; [unrolled: 1-line block ×7, first 2 shown]
	s_wait_dscnt 0x6
	v_pk_add_f32 v[14:15], v[8:9], v[12:13]
	s_wait_dscnt 0x4
	v_pk_add_f32 v[12:13], v[10:11], v[20:21]
	;; [unrolled: 2-line block ×4, first 2 shown]
	s_cbranch_vccz .LBB33_13
; %bb.12:
	s_ashr_i32 s35, s34, 31
	v_dual_mov_b32 v16, 0 :: v_dual_max_num_f32 v17, v1, v1
	s_lshl_b64 s[2:3], s[34:35], 2
	v_dual_max_num_f32 v19, v3, v3 :: v_dual_max_num_f32 v20, v4, v4
	s_add_nc_u64 s[2:3], s[20:21], s[2:3]
	v_max_num_f32_e32 v18, v2, v2
	global_load_b64 v[24:25], v16, s[2:3]
	s_wait_xcnt 0x0
	v_dual_max_num_f32 v16, v0, v0 :: v_dual_max_num_f32 v21, v5, v5
	s_wait_loadcnt 0x0
	v_dual_max_num_f32 v26, v6, v6 :: v_dual_max_num_f32 v22, v24, v24
	v_dual_max_num_f32 v23, v25, v25 :: v_dual_max_num_f32 v27, v7, v7
	s_delay_alu instid0(VALU_DEP_1) | instskip(SKIP_2) | instid1(VALU_DEP_4)
	v_dual_max_num_f32 v16, v16, v22 :: v_dual_max_num_f32 v17, v17, v23
	v_dual_max_num_f32 v18, v18, v22 :: v_dual_max_num_f32 v19, v19, v23
	;; [unrolled: 1-line block ×4, first 2 shown]
	s_delay_alu instid0(VALU_DEP_4) | instskip(SKIP_3) | instid1(VALU_DEP_4)
	v_sub_f32_e32 v0, v0, v16
	v_dual_sub_f32 v26, v24, v16 :: v_dual_sub_f32 v1, v1, v17
	v_dual_sub_f32 v27, v25, v17 :: v_dual_sub_f32 v28, v2, v18
	v_dual_sub_f32 v29, v24, v18 :: v_dual_sub_f32 v30, v3, v19
	v_dual_sub_f32 v39, v25, v23 :: v_dual_mul_f32 v2, 0x3fb8aa3b, v0
	v_dual_sub_f32 v33, v24, v20 :: v_dual_sub_f32 v34, v5, v21
	v_dual_sub_f32 v37, v24, v22 :: v_dual_sub_f32 v38, v7, v23
	v_mul_f32_e32 v3, 0x3fb8aa3b, v26
	v_dual_mul_f32 v7, 0x3fb8aa3b, v29 :: v_dual_mul_f32 v24, 0x3fb8aa3b, v30
	v_fma_f32 v48, 0x3fb8aa3b, v0, -v2
	v_rndne_f32_e32 v49, v2
	v_dual_sub_f32 v31, v25, v19 :: v_dual_sub_f32 v32, v4, v20
	v_dual_mul_f32 v4, 0x3fb8aa3b, v1 :: v_dual_mul_f32 v5, 0x3fb8aa3b, v27
	s_delay_alu instid0(VALU_DEP_3)
	v_dual_mul_f32 v47, 0x3fb8aa3b, v39 :: v_dual_sub_f32 v2, v2, v49
	v_fma_f32 v50, 0x3fb8aa3b, v26, -v3
	v_rndne_f32_e32 v51, v3
	v_rndne_f32_e32 v61, v24
	v_dual_fmac_f32 v48, 0x32a5705f, v0 :: v_dual_sub_f32 v35, v25, v21
	v_sub_f32_e32 v36, v6, v22
	v_dual_mul_f32 v6, 0x3fb8aa3b, v28 :: v_dual_mul_f32 v25, 0x3fb8aa3b, v31
	v_dual_mul_f32 v40, 0x3fb8aa3b, v32 :: v_dual_mul_f32 v41, 0x3fb8aa3b, v33
	v_mul_f32_e32 v42, 0x3fb8aa3b, v34
	v_fma_f32 v52, 0x3fb8aa3b, v1, -v4
	v_rndne_f32_e32 v53, v4
	v_fma_f32 v54, 0x3fb8aa3b, v27, -v5
	v_rndne_f32_e32 v55, v5
	v_fma_f32 v60, 0x3fb8aa3b, v30, -v24
	v_dual_fmac_f32 v50, 0x32a5705f, v26 :: v_dual_sub_f32 v3, v3, v51
	v_dual_sub_f32 v24, v24, v61 :: v_dual_add_f32 v2, v2, v48
	v_dual_mul_f32 v43, 0x3fb8aa3b, v35 :: v_dual_mul_f32 v44, 0x3fb8aa3b, v36
	v_dual_mul_f32 v45, 0x3fb8aa3b, v37 :: v_dual_mul_f32 v46, 0x3fb8aa3b, v38
	v_rndne_f32_e32 v59, v7
	v_fma_f32 v62, 0x3fb8aa3b, v31, -v25
	v_rndne_f32_e32 v63, v25
	v_rndne_f32_e32 v69, v42
	v_fmac_f32_e32 v52, 0x32a5705f, v1
	v_dual_sub_f32 v4, v4, v53 :: v_dual_sub_f32 v5, v5, v55
	v_dual_fmac_f32 v54, 0x32a5705f, v27 :: v_dual_add_f32 v3, v3, v50
	v_exp_f32_e32 v2, v2
	v_fma_f32 v56, 0x3fb8aa3b, v28, -v6
	v_rndne_f32_e32 v57, v6
	v_fma_f32 v58, 0x3fb8aa3b, v29, -v7
	v_fma_f32 v64, 0x3fb8aa3b, v32, -v40
	v_rndne_f32_e32 v65, v40
	v_rndne_f32_e32 v67, v41
	;; [unrolled: 1-line block ×4, first 2 shown]
	v_cvt_i32_f32_e32 v49, v49
	v_fma_f32 v66, 0x3fb8aa3b, v33, -v41
	v_fma_f32 v68, 0x3fb8aa3b, v34, -v42
	v_sub_f32_e32 v7, v7, v59
	v_dual_fmac_f32 v62, 0x32a5705f, v31 :: v_dual_add_f32 v5, v5, v54
	v_dual_sub_f32 v25, v25, v63 :: v_dual_sub_f32 v42, v42, v69
	v_add_f32_e32 v4, v4, v52
	v_exp_f32_e32 v3, v3
	v_fma_f32 v70, 0x3fb8aa3b, v35, -v43
	v_fma_f32 v74, 0x3fb8aa3b, v37, -v45
	v_cvt_i32_f32_e32 v51, v51
	v_dual_fmac_f32 v56, 0x32a5705f, v28 :: v_dual_sub_f32 v41, v41, v67
	v_dual_sub_f32 v6, v6, v57 :: v_dual_sub_f32 v43, v43, v71
	v_dual_fmac_f32 v58, 0x32a5705f, v29 :: v_dual_sub_f32 v45, v45, v75
	v_fmac_f32_e32 v64, 0x32a5705f, v32
	s_delay_alu instid0(VALU_DEP_3)
	v_dual_sub_f32 v40, v40, v65 :: v_dual_add_f32 v6, v6, v56
	v_ldexp_f32 v2, v2, v49
	v_cmp_ngt_f32_e32 vcc_lo, 0xc2ce8ed0, v0
	v_dual_fmac_f32 v66, 0x32a5705f, v33 :: v_dual_add_f32 v25, v25, v62
	v_exp_f32_e32 v4, v4
	v_cvt_i32_f32_e32 v53, v53
	v_dual_add_f32 v7, v7, v58 :: v_dual_add_f32 v40, v40, v64
	v_cndmask_b32_e32 v2, 0, v2, vcc_lo
	v_ldexp_f32 v3, v3, v51
	v_cmp_ngt_f32_e32 vcc_lo, 0xc2ce8ed0, v26
	v_exp_f32_e32 v5, v5
	v_exp_f32_e32 v25, v25
	v_cvt_i32_f32_e32 v55, v55
	v_cvt_i32_f32_e32 v63, v63
	v_dual_fmac_f32 v68, 0x32a5705f, v34 :: v_dual_cndmask_b32 v3, 0, v3
	v_ldexp_f32 v4, v4, v53
	v_cmp_ngt_f32_e32 vcc_lo, 0xc2ce8ed0, v1
	v_rndne_f32_e32 v93, v46
	v_rndne_f32_e32 v95, v47
	v_fmac_f32_e32 v60, 0x32a5705f, v30
	v_exp_f32_e32 v6, v6
	v_fma_f32 v72, 0x3fb8aa3b, v36, -v44
	v_rndne_f32_e32 v73, v44
	v_fma_f32 v92, 0x3fb8aa3b, v38, -v46
	v_cvt_i32_f32_e32 v57, v57
	v_ldexp_f32 v5, v5, v55
	v_ldexp_f32 v25, v25, v63
	v_cndmask_b32_e32 v4, 0, v4, vcc_lo
	v_cmp_ngt_f32_e32 vcc_lo, 0xc2ce8ed0, v27
	v_fma_f32 v94, 0x3fb8aa3b, v39, -v47
	v_dual_sub_f32 v47, v47, v95 :: v_dual_sub_f32 v46, v46, v93
	v_add_f32_e32 v24, v24, v60
	v_exp_f32_e32 v7, v7
	v_cvt_i32_f32_e32 v59, v59
	v_dual_fmac_f32 v70, 0x32a5705f, v35 :: v_dual_add_f32 v41, v41, v66
	v_fmac_f32_e32 v72, 0x32a5705f, v36
	v_dual_sub_f32 v44, v44, v73 :: v_dual_add_f32 v42, v42, v68
	v_dual_fmac_f32 v92, 0x32a5705f, v38 :: v_dual_cndmask_b32 v5, 0, v5
	v_ldexp_f32 v6, v6, v57
	v_cmp_ngt_f32_e32 vcc_lo, 0xc2ce8ed0, v28
	v_exp_f32_e32 v24, v24
	v_cvt_i32_f32_e32 v61, v61
	v_dual_add_f32 v43, v43, v70 :: v_dual_add_f32 v44, v44, v72
	v_cndmask_b32_e32 v6, 0, v6, vcc_lo
	v_ldexp_f32 v7, v7, v59
	v_cmp_ngt_f32_e32 vcc_lo, 0xc2ce8ed0, v29
	v_exp_f32_e32 v41, v41
	v_cvt_i32_f32_e32 v67, v67
	v_add_f32_e32 v46, v46, v92
	v_ldexp_f32 v24, v24, v61
	v_cndmask_b32_e32 v7, 0, v7, vcc_lo
	v_cmp_ngt_f32_e32 vcc_lo, 0xc2ce8ed0, v30
	v_exp_f32_e32 v40, v40
	v_cvt_i32_f32_e32 v65, v65
	v_ldexp_f32 v41, v41, v67
	v_exp_f32_e32 v42, v42
	v_cndmask_b32_e32 v24, 0, v24, vcc_lo
	v_cmp_ngt_f32_e32 vcc_lo, 0xc2ce8ed0, v31
	v_cvt_i32_f32_e32 v69, v69
	v_ldexp_f32 v40, v40, v65
	v_fmac_f32_e32 v94, 0x32a5705f, v39
	v_fmac_f32_e32 v74, 0x32a5705f, v37
	v_cndmask_b32_e32 v25, 0, v25, vcc_lo
	v_cmp_ngt_f32_e32 vcc_lo, 0xc2ce8ed0, v32
	v_ldexp_f32 v42, v42, v69
	v_exp_f32_e32 v43, v43
	v_cvt_i32_f32_e32 v71, v71
	v_dual_add_f32 v47, v47, v94 :: v_dual_cndmask_b32 v40, 0, v40
	v_cmp_ngt_f32_e32 vcc_lo, 0xc2ce8ed0, v33
	v_add_f32_e32 v45, v45, v74
	v_exp_f32_e32 v44, v44
	v_cvt_i32_f32_e32 v73, v73
	v_ldexp_f32 v43, v43, v71
	v_cndmask_b32_e32 v41, 0, v41, vcc_lo
	v_cmp_ngt_f32_e32 vcc_lo, 0xc2ce8ed0, v34
	v_exp_f32_e32 v45, v45
	v_cvt_i32_f32_e32 v75, v75
	v_ldexp_f32 v44, v44, v73
	v_exp_f32_e32 v46, v46
	v_cndmask_b32_e32 v42, 0, v42, vcc_lo
	v_cmp_ngt_f32_e32 vcc_lo, 0xc2ce8ed0, v35
	v_cvt_i32_f32_e32 v93, v93
	v_ldexp_f32 v45, v45, v75
	v_exp_f32_e32 v47, v47
	v_cvt_i32_f32_e32 v95, v95
	v_cndmask_b32_e32 v43, 0, v43, vcc_lo
	v_cmp_ngt_f32_e32 vcc_lo, 0xc2ce8ed0, v36
	v_ldexp_f32 v46, v46, v93
	s_delay_alu instid0(TRANS32_DEP_1) | instid1(VALU_DEP_4)
	v_ldexp_f32 v47, v47, v95
	v_cndmask_b32_e32 v44, 0, v44, vcc_lo
	v_cmp_ngt_f32_e32 vcc_lo, 0xc2ce8ed0, v37
	v_cndmask_b32_e32 v45, 0, v45, vcc_lo
	v_cmp_ngt_f32_e32 vcc_lo, 0xc2ce8ed0, v38
	;; [unrolled: 2-line block ×3, first 2 shown]
	v_cndmask_b32_e32 v47, 0, v47, vcc_lo
	v_cmp_nlt_f32_e32 vcc_lo, 0x42b17218, v0
	v_cndmask_b32_e32 v0, 0x7f800000, v2, vcc_lo
	v_cmp_nlt_f32_e32 vcc_lo, 0x42b17218, v26
	;; [unrolled: 2-line block ×5, first 2 shown]
	s_delay_alu instid0(VALU_DEP_2)
	v_pk_fma_f32 v[14:15], v[14:15], v[0:1], v[2:3]
	v_cndmask_b32_e32 v4, 0x7f800000, v6, vcc_lo
	v_cmp_nlt_f32_e32 vcc_lo, 0x42b17218, v29
	v_cndmask_b32_e32 v6, 0x7f800000, v7, vcc_lo
	v_cmp_nlt_f32_e32 vcc_lo, 0x42b17218, v30
	;; [unrolled: 2-line block ×4, first 2 shown]
	v_cvt_f16_f32_e32 v32, v0
	s_delay_alu instid0(VALU_DEP_3)
	v_pk_fma_f32 v[12:13], v[12:13], v[4:5], v[6:7]
	v_cndmask_b32_e32 v24, 0x7f800000, v40, vcc_lo
	v_cmp_nlt_f32_e32 vcc_lo, 0x42b17218, v33
	v_cvt_f16_f32_e32 v33, v1
	v_and_b32_e32 v0, 0xffff, v32
	v_cndmask_b32_e32 v26, 0x7f800000, v41, vcc_lo
	v_cmp_nlt_f32_e32 vcc_lo, 0x42b17218, v34
	v_cvt_f16_f32_e32 v34, v4
	v_and_b32_e32 v1, 0xffff, v33
	v_mul_u32_u24_e32 v0, 0x10001, v0
	v_cndmask_b32_e32 v25, 0x7f800000, v42, vcc_lo
	v_cmp_nlt_f32_e32 vcc_lo, 0x42b17218, v35
	v_cvt_f16_f32_e32 v35, v5
	v_and_b32_e32 v2, 0xffff, v34
	v_mul_u32_u24_e32 v1, 0x10001, v1
	v_pk_mul_f16 v128, v128, v0
	v_cndmask_b32_e32 v27, 0x7f800000, v43, vcc_lo
	v_cmp_nlt_f32_e32 vcc_lo, 0x42b17218, v36
	v_cvt_f16_f32_e32 v36, v24
	v_and_b32_e32 v3, 0xffff, v35
	v_mul_u32_u24_e32 v2, 0x10001, v2
	v_pk_mul_f16 v129, v129, v0
	;; [unrolled: 6-line block ×4, first 2 shown]
	v_cndmask_b32_e32 v29, 0x7f800000, v46, vcc_lo
	v_cmp_nlt_f32_e32 vcc_lo, 0x42b17218, v39
	v_and_b32_e32 v6, 0xffff, v38
	v_mul_u32_u24_e32 v5, 0x10001, v5
	v_pk_mul_f16 v124, v124, v2
	v_cvt_f16_f32_e32 v39, v29
	v_cndmask_b32_e32 v31, 0x7f800000, v47, vcc_lo
	v_mul_u32_u24_e32 v6, 0x10001, v6
	v_pk_mul_f16 v125, v125, v2
	v_pk_mul_f16 v123, v123, v3
	v_and_b32_e32 v7, 0xffff, v39
	v_pk_mul_f16 v122, v122, v3
	v_pk_mul_f16 v121, v121, v4
	;; [unrolled: 1-line block ×4, first 2 shown]
	v_mul_u32_u24_e32 v7, 0x10001, v7
	v_pk_mul_f16 v119, v119, v5
	v_pk_mul_f16 v116, v116, v6
	;; [unrolled: 1-line block ×3, first 2 shown]
	v_pk_fma_f32 v[10:11], v[10:11], v[24:25], v[26:27]
	v_pk_mul_f16 v114, v114, v7
	v_pk_mul_f16 v115, v115, v7
	v_mov_b64_e32 v[0:1], v[16:17]
	v_mov_b64_e32 v[2:3], v[18:19]
	;; [unrolled: 1-line block ×4, first 2 shown]
	v_pk_fma_f32 v[8:9], v[8:9], v[28:29], v[30:31]
.LBB33_13:
	s_mov_b32 s2, exec_lo
	v_cmpx_gt_i32_e64 s30, v91
	s_cbranch_execz .LBB33_52
; %bb.14:
	s_load_b32 s0, s[0:1], 0xd4
	v_mov_b32_e32 v16, 1.0
	s_wait_kmcnt 0x0
	s_cmp_lg_u32 s0, 1
	s_cselect_b32 s2, -1, 0
	s_cmp_eq_u32 s0, 1
	s_cselect_b32 s3, -1, 0
	s_and_b32 vcc_lo, exec_lo, s2
	s_cbranch_vccnz .LBB33_16
; %bb.15:
	v_div_scale_f32 v16, null, v14, v14, 1.0
	s_delay_alu instid0(VALU_DEP_1) | instskip(SKIP_1) | instid1(TRANS32_DEP_1)
	v_rcp_f32_e32 v17, v16
	v_nop
	v_fma_f32 v18, -v16, v17, 1.0
	s_delay_alu instid0(VALU_DEP_1) | instskip(SKIP_1) | instid1(VALU_DEP_1)
	v_fmac_f32_e32 v17, v18, v17
	v_div_scale_f32 v18, vcc_lo, 1.0, v14, 1.0
	v_mul_f32_e32 v19, v18, v17
	s_delay_alu instid0(VALU_DEP_1) | instskip(NEXT) | instid1(VALU_DEP_1)
	v_fma_f32 v20, -v16, v19, v18
	v_fmac_f32_e32 v19, v20, v17
	s_delay_alu instid0(VALU_DEP_1) | instskip(NEXT) | instid1(VALU_DEP_1)
	v_fma_f32 v16, -v16, v19, v18
	v_div_fmas_f32 v16, v16, v17, v19
	s_delay_alu instid0(VALU_DEP_1)
	v_div_fixup_f32 v16, v16, v14, 1.0
.LBB33_16:
	s_mul_i32 s1, s36, s30
	v_lshrrev_b32_e32 v25, 16, v129
	s_add_co_i32 s1, s1, s39
	v_cvt_f32_f16_e64 v20, v128
	v_dual_add_nc_u32 v17, s1, v89 :: v_dual_lshrrev_b32 v19, 16, v128
	v_cvt_f32_f16_e64 v24, v129
	v_cvt_f32_f16_e32 v25, v25
	v_cmp_eq_u32_e32 vcc_lo, 0, v90
	s_delay_alu instid0(VALU_DEP_4) | instskip(SKIP_3) | instid1(VALU_DEP_3)
	v_mul_lo_u32 v17, v17, s31
	v_cvt_f32_f16_e32 v21, v19
	v_mov_b32_e32 v23, 0
	s_and_b32 s2, vcc_lo, s2
	v_add_nc_u32_e32 v18, s34, v17
	s_delay_alu instid0(VALU_DEP_3) | instskip(NEXT) | instid1(VALU_DEP_2)
	v_pk_mul_f32 v[20:21], v[16:17], v[20:21] op_sel_hi:[0,1]
	v_mad_u32 v18, s0, v18, s33
	s_delay_alu instid0(VALU_DEP_1) | instskip(NEXT) | instid1(VALU_DEP_1)
	v_lshl_add_u32 v22, v18, 7, v87
	v_lshl_add_u64 v[26:27], v[22:23], 2, s[24:25]
	v_pk_mul_f32 v[22:23], v[16:17], v[24:25] op_sel_hi:[0,1]
	global_store_b128 v[26:27], v[20:23], off
	s_wait_xcnt 0x0
	s_and_saveexec_b32 s4, s2
	s_cbranch_execz .LBB33_18
; %bb.17:
	v_dual_mov_b32 v20, v0 :: v_dual_mov_b32 v21, v14
	global_store_b64 v18, v[20:21], s[26:27] scale_offset
.LBB33_18:
	s_wait_xcnt 0x0
	s_or_b32 exec_lo, exec_lo, s4
	v_cndmask_b32_e64 v16, 0, 1, s3
	v_mov_b32_e32 v0, 1.0
	s_and_not1_b32 vcc_lo, exec_lo, s3
	s_cbranch_vccnz .LBB33_20
; %bb.19:
	v_div_scale_f32 v0, null, v15, v15, 1.0
	s_delay_alu instid0(VALU_DEP_1) | instskip(SKIP_1) | instid1(TRANS32_DEP_1)
	v_rcp_f32_e32 v14, v0
	v_nop
	v_fma_f32 v18, -v0, v14, 1.0
	s_delay_alu instid0(VALU_DEP_1) | instskip(SKIP_1) | instid1(VALU_DEP_1)
	v_fmac_f32_e32 v14, v18, v14
	v_div_scale_f32 v18, vcc_lo, 1.0, v15, 1.0
	v_mul_f32_e32 v19, v18, v14
	s_delay_alu instid0(VALU_DEP_1) | instskip(NEXT) | instid1(VALU_DEP_1)
	v_fma_f32 v20, -v0, v19, v18
	v_fmac_f32_e32 v19, v20, v14
	s_delay_alu instid0(VALU_DEP_1) | instskip(NEXT) | instid1(VALU_DEP_1)
	v_fma_f32 v0, -v0, v19, v18
	v_div_fmas_f32 v0, v0, v14, v19
	s_delay_alu instid0(VALU_DEP_1)
	v_div_fixup_f32 v0, v0, v15, 1.0
.LBB33_20:
	s_add_co_i32 s3, s34, 1
	v_cvt_f32_f16_e32 v18, v126
	v_dual_mov_b32 v21, 0 :: v_dual_add_nc_u32 v14, s3, v17
	v_cvt_f32_f16_e32 v22, v127
	v_lshrrev_b32_e32 v23, 16, v127
	s_delay_alu instid0(VALU_DEP_3) | instskip(SKIP_1) | instid1(VALU_DEP_3)
	v_mad_u32 v17, s0, v14, s33
	v_lshrrev_b32_e32 v14, 16, v126
	v_cvt_f32_f16_e32 v23, v23
	s_delay_alu instid0(VALU_DEP_2) | instskip(NEXT) | instid1(VALU_DEP_1)
	v_cvt_f32_f16_e32 v19, v14
	v_pk_mul_f32 v[18:19], v[0:1], v[18:19] op_sel_hi:[0,1]
	v_lshl_add_u32 v20, v17, 7, v87
	s_delay_alu instid0(VALU_DEP_1)
	v_lshl_add_u64 v[24:25], v[20:21], 2, s[24:25]
	v_pk_mul_f32 v[20:21], v[0:1], v[22:23] op_sel_hi:[0,1]
	global_store_b128 v[24:25], v[18:21], off
	s_wait_xcnt 0x0
	s_and_saveexec_b32 s4, s2
	s_cbranch_execz .LBB33_22
; %bb.21:
	v_mov_b32_e32 v14, v1
	global_store_b64 v17, v[14:15], s[26:27] scale_offset
.LBB33_22:
	s_wait_xcnt 0x0
	s_or_b32 exec_lo, exec_lo, s4
	v_cmp_gt_i32_e32 vcc_lo, s30, v88
	s_and_b32 exec_lo, exec_lo, vcc_lo
	s_cbranch_execz .LBB33_52
; %bb.23:
	v_cmp_ne_u32_e32 vcc_lo, 1, v16
	v_mov_b32_e32 v0, 1.0
	s_cbranch_vccnz .LBB33_25
; %bb.24:
	v_div_scale_f32 v0, null, v12, v12, 1.0
	s_delay_alu instid0(VALU_DEP_1) | instskip(SKIP_1) | instid1(TRANS32_DEP_1)
	v_rcp_f32_e32 v1, v0
	v_nop
	v_fma_f32 v14, -v0, v1, 1.0
	s_delay_alu instid0(VALU_DEP_1) | instskip(SKIP_1) | instid1(VALU_DEP_1)
	v_fmac_f32_e32 v1, v14, v1
	v_div_scale_f32 v14, vcc_lo, 1.0, v12, 1.0
	v_mul_f32_e32 v15, v14, v1
	s_delay_alu instid0(VALU_DEP_1) | instskip(NEXT) | instid1(VALU_DEP_1)
	v_fma_f32 v17, -v0, v15, v14
	v_fmac_f32_e32 v15, v17, v1
	s_delay_alu instid0(VALU_DEP_1) | instskip(NEXT) | instid1(VALU_DEP_1)
	v_fma_f32 v0, -v0, v15, v14
	v_div_fmas_f32 v0, v0, v1, v15
	s_delay_alu instid0(VALU_DEP_1)
	v_div_fixup_f32 v0, v0, v12, 1.0
.LBB33_25:
	v_dual_add_nc_u32 v1, s1, v86 :: v_dual_lshrrev_b32 v14, 16, v124
	v_dual_mov_b32 v15, 0 :: v_dual_lshrrev_b32 v17, 16, v125
	v_cvt_f32_f16_e32 v18, v124
	s_delay_alu instid0(VALU_DEP_3) | instskip(SKIP_3) | instid1(VALU_DEP_4)
	v_mad_u32 v1, v1, s31, s34
	v_cvt_f32_f16_e32 v20, v125
	v_cvt_f32_f16_e32 v19, v14
	;; [unrolled: 1-line block ×3, first 2 shown]
	v_mad_u32 v1, s0, v1, s33
	s_delay_alu instid0(VALU_DEP_1) | instskip(NEXT) | instid1(VALU_DEP_4)
	v_lshl_add_u32 v14, v1, 7, v87
	v_pk_mul_f32 v[18:19], v[0:1], v[18:19] op_sel_hi:[0,1]
	s_delay_alu instid0(VALU_DEP_4) | instskip(NEXT) | instid1(VALU_DEP_3)
	v_pk_mul_f32 v[20:21], v[0:1], v[20:21] op_sel_hi:[0,1]
	v_lshl_add_u64 v[14:15], v[14:15], 2, s[24:25]
	global_store_b128 v[14:15], v[18:21], off
	s_wait_xcnt 0x0
	s_and_saveexec_b32 s4, s2
	s_cbranch_execz .LBB33_27
; %bb.26:
	v_dual_mov_b32 v14, v2 :: v_dual_mov_b32 v15, v12
	global_store_b64 v1, v[14:15], s[26:27] scale_offset
.LBB33_27:
	s_wait_xcnt 0x0
	s_or_b32 exec_lo, exec_lo, s4
	v_cmp_gt_i32_e32 vcc_lo, s30, v85
	s_and_b32 exec_lo, exec_lo, vcc_lo
	s_cbranch_execz .LBB33_52
; %bb.28:
	v_cmp_ne_u32_e32 vcc_lo, 1, v16
	v_mov_b32_e32 v0, 1.0
	s_cbranch_vccnz .LBB33_30
; %bb.29:
	v_div_scale_f32 v0, null, v13, v13, 1.0
	s_delay_alu instid0(VALU_DEP_1) | instskip(SKIP_1) | instid1(TRANS32_DEP_1)
	v_rcp_f32_e32 v1, v0
	v_nop
	v_fma_f32 v2, -v0, v1, 1.0
	s_delay_alu instid0(VALU_DEP_1) | instskip(SKIP_1) | instid1(VALU_DEP_1)
	v_fmac_f32_e32 v1, v2, v1
	v_div_scale_f32 v2, vcc_lo, 1.0, v13, 1.0
	v_mul_f32_e32 v12, v2, v1
	s_delay_alu instid0(VALU_DEP_1) | instskip(NEXT) | instid1(VALU_DEP_1)
	v_fma_f32 v14, -v0, v12, v2
	v_fmac_f32_e32 v12, v14, v1
	s_delay_alu instid0(VALU_DEP_1) | instskip(NEXT) | instid1(VALU_DEP_1)
	v_fma_f32 v0, -v0, v12, v2
	v_div_fmas_f32 v0, v0, v1, v12
	s_delay_alu instid0(VALU_DEP_1)
	v_div_fixup_f32 v0, v0, v13, 1.0
.LBB33_30:
	v_dual_add_nc_u32 v1, s1, v84 :: v_dual_lshrrev_b32 v2, 16, v123
	v_dual_mov_b32 v15, 0 :: v_dual_lshrrev_b32 v12, 16, v122
	v_cvt_f32_f16_e32 v18, v123
	s_delay_alu instid0(VALU_DEP_3) | instskip(SKIP_3) | instid1(VALU_DEP_4)
	v_mad_u32 v1, v1, s31, s3
	v_cvt_f32_f16_e32 v20, v122
	v_cvt_f32_f16_e32 v19, v2
	;; [unrolled: 1-line block ×3, first 2 shown]
	v_mad_u32 v1, s0, v1, s33
	s_delay_alu instid0(VALU_DEP_1) | instskip(NEXT) | instid1(VALU_DEP_4)
	v_lshl_add_u32 v14, v1, 7, v87
	v_pk_mul_f32 v[18:19], v[0:1], v[18:19] op_sel_hi:[0,1]
	s_delay_alu instid0(VALU_DEP_4) | instskip(NEXT) | instid1(VALU_DEP_3)
	v_pk_mul_f32 v[20:21], v[0:1], v[20:21] op_sel_hi:[0,1]
	v_lshl_add_u64 v[14:15], v[14:15], 2, s[24:25]
	global_store_b128 v[14:15], v[18:21], off
	s_wait_xcnt 0x0
	s_and_saveexec_b32 s4, s2
	s_cbranch_execz .LBB33_32
; %bb.31:
	v_mov_b32_e32 v12, v3
	global_store_b64 v1, v[12:13], s[26:27] scale_offset
.LBB33_32:
	s_wait_xcnt 0x0
	s_or_b32 exec_lo, exec_lo, s4
	v_cmp_gt_i32_e32 vcc_lo, s30, v83
	s_and_b32 exec_lo, exec_lo, vcc_lo
	s_cbranch_execz .LBB33_52
; %bb.33:
	v_cmp_ne_u32_e32 vcc_lo, 1, v16
	v_mov_b32_e32 v0, 1.0
	s_cbranch_vccnz .LBB33_35
; %bb.34:
	v_div_scale_f32 v0, null, v10, v10, 1.0
	s_delay_alu instid0(VALU_DEP_1) | instskip(SKIP_1) | instid1(TRANS32_DEP_1)
	v_rcp_f32_e32 v1, v0
	v_nop
	v_fma_f32 v2, -v0, v1, 1.0
	s_delay_alu instid0(VALU_DEP_1) | instskip(SKIP_1) | instid1(VALU_DEP_1)
	v_fmac_f32_e32 v1, v2, v1
	v_div_scale_f32 v2, vcc_lo, 1.0, v10, 1.0
	v_mul_f32_e32 v3, v2, v1
	s_delay_alu instid0(VALU_DEP_1) | instskip(NEXT) | instid1(VALU_DEP_1)
	v_fma_f32 v12, -v0, v3, v2
	v_fmac_f32_e32 v3, v12, v1
	s_delay_alu instid0(VALU_DEP_1) | instskip(NEXT) | instid1(VALU_DEP_1)
	v_fma_f32 v0, -v0, v3, v2
	v_div_fmas_f32 v0, v0, v1, v3
	s_delay_alu instid0(VALU_DEP_1)
	v_div_fixup_f32 v0, v0, v10, 1.0
.LBB33_35:
	v_dual_add_nc_u32 v1, s1, v82 :: v_dual_lshrrev_b32 v2, 16, v121
	v_dual_mov_b32 v3, 0 :: v_dual_lshrrev_b32 v15, 16, v120
	v_cvt_f32_f16_e32 v12, v121
	s_delay_alu instid0(VALU_DEP_3) | instskip(SKIP_3) | instid1(VALU_DEP_4)
	v_mad_u32 v1, v1, s31, s34
	v_cvt_f32_f16_e32 v14, v120
	v_cvt_f32_f16_e32 v13, v2
	;; [unrolled: 1-line block ×3, first 2 shown]
	v_mad_u32 v1, s0, v1, s33
	s_delay_alu instid0(VALU_DEP_1) | instskip(NEXT) | instid1(VALU_DEP_4)
	v_lshl_add_u32 v2, v1, 7, v87
	v_pk_mul_f32 v[12:13], v[0:1], v[12:13] op_sel_hi:[0,1]
	s_delay_alu instid0(VALU_DEP_4) | instskip(NEXT) | instid1(VALU_DEP_3)
	v_pk_mul_f32 v[14:15], v[0:1], v[14:15] op_sel_hi:[0,1]
	v_lshl_add_u64 v[2:3], v[2:3], 2, s[24:25]
	global_store_b128 v[2:3], v[12:15], off
	s_wait_xcnt 0x0
	s_and_saveexec_b32 s4, s2
	s_cbranch_execz .LBB33_37
; %bb.36:
	v_dual_mov_b32 v2, v4 :: v_dual_mov_b32 v3, v10
	global_store_b64 v1, v[2:3], s[26:27] scale_offset
.LBB33_37:
	s_wait_xcnt 0x0
	s_or_b32 exec_lo, exec_lo, s4
	v_cmp_gt_i32_e32 vcc_lo, s30, v81
	s_and_b32 exec_lo, exec_lo, vcc_lo
	s_cbranch_execz .LBB33_52
; %bb.38:
	v_cmp_ne_u32_e32 vcc_lo, 1, v16
	v_mov_b32_e32 v0, 1.0
	s_cbranch_vccnz .LBB33_40
; %bb.39:
	v_div_scale_f32 v0, null, v11, v11, 1.0
	s_delay_alu instid0(VALU_DEP_1) | instskip(SKIP_1) | instid1(TRANS32_DEP_1)
	v_rcp_f32_e32 v1, v0
	v_nop
	v_fma_f32 v2, -v0, v1, 1.0
	s_delay_alu instid0(VALU_DEP_1) | instskip(SKIP_1) | instid1(VALU_DEP_1)
	v_fmac_f32_e32 v1, v2, v1
	v_div_scale_f32 v2, vcc_lo, 1.0, v11, 1.0
	v_mul_f32_e32 v3, v2, v1
	s_delay_alu instid0(VALU_DEP_1) | instskip(NEXT) | instid1(VALU_DEP_1)
	v_fma_f32 v4, -v0, v3, v2
	v_fmac_f32_e32 v3, v4, v1
	s_delay_alu instid0(VALU_DEP_1) | instskip(NEXT) | instid1(VALU_DEP_1)
	v_fma_f32 v0, -v0, v3, v2
	v_div_fmas_f32 v0, v0, v1, v3
	s_delay_alu instid0(VALU_DEP_1)
	v_div_fixup_f32 v0, v0, v11, 1.0
.LBB33_40:
	v_dual_add_nc_u32 v1, s1, v80 :: v_dual_lshrrev_b32 v2, 16, v118
	v_dual_mov_b32 v3, 0 :: v_dual_lshrrev_b32 v4, 16, v119
	v_cvt_f32_f16_e32 v12, v118
	s_delay_alu instid0(VALU_DEP_3) | instskip(SKIP_3) | instid1(VALU_DEP_4)
	v_mad_u32 v1, v1, s31, s3
	v_cvt_f32_f16_e32 v14, v119
	v_cvt_f32_f16_e32 v13, v2
	;; [unrolled: 1-line block ×3, first 2 shown]
	v_mad_u32 v1, s0, v1, s33
	s_delay_alu instid0(VALU_DEP_1) | instskip(NEXT) | instid1(VALU_DEP_4)
	v_lshl_add_u32 v2, v1, 7, v87
	v_pk_mul_f32 v[12:13], v[0:1], v[12:13] op_sel_hi:[0,1]
	s_delay_alu instid0(VALU_DEP_4) | instskip(NEXT) | instid1(VALU_DEP_3)
	v_pk_mul_f32 v[14:15], v[0:1], v[14:15] op_sel_hi:[0,1]
	v_lshl_add_u64 v[2:3], v[2:3], 2, s[24:25]
	global_store_b128 v[2:3], v[12:15], off
	s_wait_xcnt 0x0
	s_and_saveexec_b32 s4, s2
	s_cbranch_execz .LBB33_42
; %bb.41:
	v_mov_b32_e32 v10, v5
	global_store_b64 v1, v[10:11], s[26:27] scale_offset
.LBB33_42:
	s_wait_xcnt 0x0
	s_or_b32 exec_lo, exec_lo, s4
	v_cmp_gt_i32_e32 vcc_lo, s30, v79
	s_and_b32 exec_lo, exec_lo, vcc_lo
	s_cbranch_execz .LBB33_52
; %bb.43:
	v_cmp_ne_u32_e32 vcc_lo, 1, v16
	v_mov_b32_e32 v0, 1.0
	s_cbranch_vccnz .LBB33_45
; %bb.44:
	v_div_scale_f32 v0, null, v8, v8, 1.0
	s_delay_alu instid0(VALU_DEP_1) | instskip(SKIP_1) | instid1(TRANS32_DEP_1)
	v_rcp_f32_e32 v1, v0
	v_nop
	v_fma_f32 v2, -v0, v1, 1.0
	s_delay_alu instid0(VALU_DEP_1) | instskip(SKIP_1) | instid1(VALU_DEP_1)
	v_fmac_f32_e32 v1, v2, v1
	v_div_scale_f32 v2, vcc_lo, 1.0, v8, 1.0
	v_mul_f32_e32 v3, v2, v1
	s_delay_alu instid0(VALU_DEP_1) | instskip(NEXT) | instid1(VALU_DEP_1)
	v_fma_f32 v4, -v0, v3, v2
	v_fmac_f32_e32 v3, v4, v1
	s_delay_alu instid0(VALU_DEP_1) | instskip(NEXT) | instid1(VALU_DEP_1)
	v_fma_f32 v0, -v0, v3, v2
	v_div_fmas_f32 v0, v0, v1, v3
	s_delay_alu instid0(VALU_DEP_1)
	v_div_fixup_f32 v0, v0, v8, 1.0
.LBB33_45:
	v_dual_add_nc_u32 v1, s1, v78 :: v_dual_lshrrev_b32 v3, 16, v116
	v_dual_mov_b32 v5, 0 :: v_dual_lshrrev_b32 v11, 16, v117
	v_cvt_f32_f16_e32 v2, v116
	s_delay_alu instid0(VALU_DEP_3) | instskip(SKIP_3) | instid1(VALU_DEP_4)
	v_mad_u32 v1, v1, s31, s34
	v_cvt_f32_f16_e32 v10, v117
	v_cvt_f32_f16_e32 v3, v3
	;; [unrolled: 1-line block ×3, first 2 shown]
	v_mad_u32 v1, s0, v1, s33
	s_delay_alu instid0(VALU_DEP_1) | instskip(NEXT) | instid1(VALU_DEP_4)
	v_lshl_add_u32 v4, v1, 7, v87
	v_pk_mul_f32 v[2:3], v[0:1], v[2:3] op_sel_hi:[0,1]
	s_delay_alu instid0(VALU_DEP_2)
	v_lshl_add_u64 v[12:13], v[4:5], 2, s[24:25]
	v_pk_mul_f32 v[4:5], v[0:1], v[10:11] op_sel_hi:[0,1]
	global_store_b128 v[12:13], v[2:5], off
	s_wait_xcnt 0x0
	s_and_saveexec_b32 s4, s2
	s_cbranch_execz .LBB33_47
; %bb.46:
	v_dual_mov_b32 v2, v6 :: v_dual_mov_b32 v3, v8
	global_store_b64 v1, v[2:3], s[26:27] scale_offset
.LBB33_47:
	s_wait_xcnt 0x0
	s_or_b32 exec_lo, exec_lo, s4
	v_cmp_gt_i32_e32 vcc_lo, s30, v77
	s_and_b32 exec_lo, exec_lo, vcc_lo
	s_cbranch_execz .LBB33_52
; %bb.48:
	v_cmp_ne_u32_e32 vcc_lo, 1, v16
	v_mov_b32_e32 v0, 1.0
	s_cbranch_vccnz .LBB33_50
; %bb.49:
	v_div_scale_f32 v0, null, v9, v9, 1.0
	s_delay_alu instid0(VALU_DEP_1) | instskip(SKIP_1) | instid1(TRANS32_DEP_1)
	v_rcp_f32_e32 v1, v0
	v_nop
	v_fma_f32 v2, -v0, v1, 1.0
	s_delay_alu instid0(VALU_DEP_1) | instskip(SKIP_1) | instid1(VALU_DEP_1)
	v_fmac_f32_e32 v1, v2, v1
	v_div_scale_f32 v2, vcc_lo, 1.0, v9, 1.0
	v_mul_f32_e32 v3, v2, v1
	s_delay_alu instid0(VALU_DEP_1) | instskip(NEXT) | instid1(VALU_DEP_1)
	v_fma_f32 v4, -v0, v3, v2
	v_fmac_f32_e32 v3, v4, v1
	s_delay_alu instid0(VALU_DEP_1) | instskip(NEXT) | instid1(VALU_DEP_1)
	v_fma_f32 v0, -v0, v3, v2
	v_div_fmas_f32 v0, v0, v1, v3
	s_delay_alu instid0(VALU_DEP_1)
	v_div_fixup_f32 v0, v0, v9, 1.0
.LBB33_50:
	v_dual_add_nc_u32 v1, s1, v76 :: v_dual_lshrrev_b32 v3, 16, v114
	v_dual_mov_b32 v5, 0 :: v_dual_lshrrev_b32 v6, 16, v115
	v_cvt_f32_f16_e32 v2, v114
	s_delay_alu instid0(VALU_DEP_3) | instskip(SKIP_3) | instid1(VALU_DEP_4)
	v_mad_u32 v1, v1, s31, s3
	v_cvt_f32_f16_e32 v10, v115
	v_cvt_f32_f16_e32 v3, v3
	;; [unrolled: 1-line block ×3, first 2 shown]
	v_mad_u32 v1, s0, v1, s33
	s_delay_alu instid0(VALU_DEP_1) | instskip(NEXT) | instid1(VALU_DEP_4)
	v_lshl_add_u32 v4, v1, 7, v87
	v_pk_mul_f32 v[2:3], v[0:1], v[2:3] op_sel_hi:[0,1]
	s_delay_alu instid0(VALU_DEP_2)
	v_lshl_add_u64 v[12:13], v[4:5], 2, s[24:25]
	v_pk_mul_f32 v[4:5], v[0:1], v[10:11] op_sel_hi:[0,1]
	global_store_b128 v[12:13], v[2:5], off
	s_wait_xcnt 0x0
	s_and_b32 exec_lo, exec_lo, s2
	s_cbranch_execz .LBB33_52
; %bb.51:
	v_mov_b32_e32 v8, v7
	global_store_b64 v1, v[8:9], s[26:27] scale_offset
.LBB33_52:
	s_sendmsg sendmsg(MSG_DEALLOC_VGPRS)
	s_endpgm
	.section	.rodata,"a",@progbits
	.p2align	6, 0x0
	.amdhsa_kernel _ZL15flash_attn_tileILi128ELi128ELi32ELi2ELb0EEvPKcS1_S1_S1_S1_PKiPfP15HIP_vector_typeIfLj2EEffffjfiS5_IjLj3EEiiiiiiiiiiiliiliiiiil
		.amdhsa_group_segment_fixed_size 33792
		.amdhsa_private_segment_fixed_size 0
		.amdhsa_kernarg_size 464
		.amdhsa_user_sgpr_count 2
		.amdhsa_user_sgpr_dispatch_ptr 0
		.amdhsa_user_sgpr_queue_ptr 0
		.amdhsa_user_sgpr_kernarg_segment_ptr 1
		.amdhsa_user_sgpr_dispatch_id 0
		.amdhsa_user_sgpr_kernarg_preload_length 0
		.amdhsa_user_sgpr_kernarg_preload_offset 0
		.amdhsa_user_sgpr_private_segment_size 0
		.amdhsa_wavefront_size32 1
		.amdhsa_uses_dynamic_stack 0
		.amdhsa_enable_private_segment 0
		.amdhsa_system_sgpr_workgroup_id_x 1
		.amdhsa_system_sgpr_workgroup_id_y 1
		.amdhsa_system_sgpr_workgroup_id_z 1
		.amdhsa_system_sgpr_workgroup_info 0
		.amdhsa_system_vgpr_workitem_id 1
		.amdhsa_next_free_vgpr 240
		.amdhsa_next_free_sgpr 48
		.amdhsa_named_barrier_count 0
		.amdhsa_reserve_vcc 1
		.amdhsa_float_round_mode_32 0
		.amdhsa_float_round_mode_16_64 0
		.amdhsa_float_denorm_mode_32 3
		.amdhsa_float_denorm_mode_16_64 3
		.amdhsa_fp16_overflow 0
		.amdhsa_memory_ordered 1
		.amdhsa_forward_progress 1
		.amdhsa_inst_pref_size 248
		.amdhsa_round_robin_scheduling 0
		.amdhsa_exception_fp_ieee_invalid_op 0
		.amdhsa_exception_fp_denorm_src 0
		.amdhsa_exception_fp_ieee_div_zero 0
		.amdhsa_exception_fp_ieee_overflow 0
		.amdhsa_exception_fp_ieee_underflow 0
		.amdhsa_exception_fp_ieee_inexact 0
		.amdhsa_exception_int_div_zero 0
	.end_amdhsa_kernel
	.section	.text._ZL15flash_attn_tileILi128ELi128ELi32ELi2ELb0EEvPKcS1_S1_S1_S1_PKiPfP15HIP_vector_typeIfLj2EEffffjfiS5_IjLj3EEiiiiiiiiiiiliiliiiiil,"axG",@progbits,_ZL15flash_attn_tileILi128ELi128ELi32ELi2ELb0EEvPKcS1_S1_S1_S1_PKiPfP15HIP_vector_typeIfLj2EEffffjfiS5_IjLj3EEiiiiiiiiiiiliiliiiiil,comdat
.Lfunc_end33:
	.size	_ZL15flash_attn_tileILi128ELi128ELi32ELi2ELb0EEvPKcS1_S1_S1_S1_PKiPfP15HIP_vector_typeIfLj2EEffffjfiS5_IjLj3EEiiiiiiiiiiiliiliiiiil, .Lfunc_end33-_ZL15flash_attn_tileILi128ELi128ELi32ELi2ELb0EEvPKcS1_S1_S1_S1_PKiPfP15HIP_vector_typeIfLj2EEffffjfiS5_IjLj3EEiiiiiiiiiiiliiliiiiil
                                        ; -- End function
	.set _ZL15flash_attn_tileILi128ELi128ELi32ELi2ELb0EEvPKcS1_S1_S1_S1_PKiPfP15HIP_vector_typeIfLj2EEffffjfiS5_IjLj3EEiiiiiiiiiiiliiliiiiil.num_vgpr, 240
	.set _ZL15flash_attn_tileILi128ELi128ELi32ELi2ELb0EEvPKcS1_S1_S1_S1_PKiPfP15HIP_vector_typeIfLj2EEffffjfiS5_IjLj3EEiiiiiiiiiiiliiliiiiil.num_agpr, 0
	.set _ZL15flash_attn_tileILi128ELi128ELi32ELi2ELb0EEvPKcS1_S1_S1_S1_PKiPfP15HIP_vector_typeIfLj2EEffffjfiS5_IjLj3EEiiiiiiiiiiiliiliiiiil.numbered_sgpr, 48
	.set _ZL15flash_attn_tileILi128ELi128ELi32ELi2ELb0EEvPKcS1_S1_S1_S1_PKiPfP15HIP_vector_typeIfLj2EEffffjfiS5_IjLj3EEiiiiiiiiiiiliiliiiiil.num_named_barrier, 0
	.set _ZL15flash_attn_tileILi128ELi128ELi32ELi2ELb0EEvPKcS1_S1_S1_S1_PKiPfP15HIP_vector_typeIfLj2EEffffjfiS5_IjLj3EEiiiiiiiiiiiliiliiiiil.private_seg_size, 0
	.set _ZL15flash_attn_tileILi128ELi128ELi32ELi2ELb0EEvPKcS1_S1_S1_S1_PKiPfP15HIP_vector_typeIfLj2EEffffjfiS5_IjLj3EEiiiiiiiiiiiliiliiiiil.uses_vcc, 1
	.set _ZL15flash_attn_tileILi128ELi128ELi32ELi2ELb0EEvPKcS1_S1_S1_S1_PKiPfP15HIP_vector_typeIfLj2EEffffjfiS5_IjLj3EEiiiiiiiiiiiliiliiiiil.uses_flat_scratch, 0
	.set _ZL15flash_attn_tileILi128ELi128ELi32ELi2ELb0EEvPKcS1_S1_S1_S1_PKiPfP15HIP_vector_typeIfLj2EEffffjfiS5_IjLj3EEiiiiiiiiiiiliiliiiiil.has_dyn_sized_stack, 0
	.set _ZL15flash_attn_tileILi128ELi128ELi32ELi2ELb0EEvPKcS1_S1_S1_S1_PKiPfP15HIP_vector_typeIfLj2EEffffjfiS5_IjLj3EEiiiiiiiiiiiliiliiiiil.has_recursion, 0
	.set _ZL15flash_attn_tileILi128ELi128ELi32ELi2ELb0EEvPKcS1_S1_S1_S1_PKiPfP15HIP_vector_typeIfLj2EEffffjfiS5_IjLj3EEiiiiiiiiiiiliiliiiiil.has_indirect_call, 0
	.section	.AMDGPU.csdata,"",@progbits
; Kernel info:
; codeLenInByte = 31656
; TotalNumSgprs: 50
; NumVgprs: 240
; ScratchSize: 0
; MemoryBound: 0
; FloatMode: 240
; IeeeMode: 1
; LDSByteSize: 33792 bytes/workgroup (compile time only)
; SGPRBlocks: 0
; VGPRBlocks: 14
; NumSGPRsForWavesPerEU: 50
; NumVGPRsForWavesPerEU: 240
; NamedBarCnt: 0
; Occupancy: 4
; WaveLimiterHint : 1
; COMPUTE_PGM_RSRC2:SCRATCH_EN: 0
; COMPUTE_PGM_RSRC2:USER_SGPR: 2
; COMPUTE_PGM_RSRC2:TRAP_HANDLER: 0
; COMPUTE_PGM_RSRC2:TGID_X_EN: 1
; COMPUTE_PGM_RSRC2:TGID_Y_EN: 1
; COMPUTE_PGM_RSRC2:TGID_Z_EN: 1
; COMPUTE_PGM_RSRC2:TIDIG_COMP_CNT: 1
	.section	.text._ZL25flash_attn_mask_to_KV_maxILi32EEvPK7__half2Piiii,"axG",@progbits,_ZL25flash_attn_mask_to_KV_maxILi32EEvPK7__half2Piiii,comdat
	.globl	_ZL25flash_attn_mask_to_KV_maxILi32EEvPK7__half2Piiii ; -- Begin function _ZL25flash_attn_mask_to_KV_maxILi32EEvPK7__half2Piiii
	.p2align	8
	.type	_ZL25flash_attn_mask_to_KV_maxILi32EEvPK7__half2Piiii,@function
_ZL25flash_attn_mask_to_KV_maxILi32EEvPK7__half2Piiii: ; @_ZL25flash_attn_mask_to_KV_maxILi32EEvPK7__half2Piiii
; %bb.0:
	s_load_b128 s[4:7], s[0:1], 0x0
	s_mov_b32 s2, exec_lo
	v_cmpx_gt_u32_e32 32, v0
; %bb.1:
	v_dual_mov_b32 v2, 1 :: v_dual_lshlrev_b32 v1, 2, v0
	ds_store_b32 v1, v2
; %bb.2:
	s_or_b32 exec_lo, exec_lo, s2
	s_clause 0x1
	s_load_b96 s[8:10], s[0:1], 0x10
	s_load_b32 s11, s[0:1], 0x20
	s_wait_xcnt 0x0
	s_bfe_u32 s1, ttmp6, 0x4000c
	s_bfe_u32 s2, ttmp6, 0x40010
	s_add_co_i32 s1, s1, 1
	s_add_co_i32 s2, s2, 1
	s_and_b32 s0, ttmp6, 15
	s_bfe_u32 s3, ttmp6, 0x40004
	s_mul_i32 s1, ttmp9, s1
	s_mul_i32 s2, ttmp7, s2
	s_getreg_b32 s12, hwreg(HW_REG_IB_STS2, 6, 4)
	s_add_co_i32 s0, s0, s1
	s_add_co_i32 s3, s3, s2
	s_cmp_eq_u32 s12, 0
	v_dual_lshrrev_b32 v1, 3, v0 :: v_dual_bitop2_b32 v2, 31, v0 bitop3:0x40
	s_cselect_b32 s1, ttmp9, s0
	s_cselect_b32 s12, ttmp7, s3
	s_wait_dscnt 0x0
	s_barrier_signal -1
	s_wait_kmcnt 0x0
	s_mul_i32 s0, s1, s9
	s_mul_i32 s2, s10, s12
	s_lshl_b32 s0, s0, 5
	s_barrier_wait -1
	s_add_co_i32 s2, s2, s0
	v_cmp_eq_u32_e64 s0, 0, v2
	s_ashr_i32 s3, s2, 31
	v_lshlrev_b32_e32 v2, 2, v2
	s_lshl_b64 s[2:3], s[2:3], 2
	s_delay_alu instid0(SALU_CYCLE_1)
	s_add_nc_u64 s[2:3], s[4:5], s[2:3]
	s_lshl_b32 s5, s8, 8
	s_branch .LBB34_4
.LBB34_3:                               ;   in Loop: Header=BB34_4 Depth=1
	s_or_b32 exec_lo, exec_lo, s8
	s_wait_dscnt 0x0
	s_barrier_signal -1
	s_barrier_wait -1
	ds_load_b32 v3, v2
	s_wait_dscnt 0x0
	s_barrier_signal -1
	s_barrier_wait -1
	v_cmp_ne_u32_e32 vcc_lo, 0, v3
	s_cmp_lg_u32 vcc_lo, exec_lo
	s_cselect_b32 s8, -1, 0
	s_delay_alu instid0(SALU_CYCLE_1)
	s_and_b32 vcc_lo, exec_lo, s8
	s_cbranch_vccnz .LBB34_132
.LBB34_4:                               ; =>This Inner Loop Header: Depth=1
	s_mov_b32 s4, s5
	s_addk_co_i32 s5, 0xff00
	s_delay_alu instid0(SALU_CYCLE_1)
	s_cmp_lt_i32 s5, 0
	s_cbranch_scc1 .LBB34_131
; %bb.5:                                ;   in Loop: Header=BB34_4 Depth=1
	s_lshr_b32 s8, s5, 1
	s_delay_alu instid0(SALU_CYCLE_1) | instskip(SKIP_4) | instid1(VALU_DEP_2)
	v_add_nc_u32_e32 v3, s8, v0
	global_load_b32 v4, v3, s[2:3] scale_offset
	s_wait_loadcnt 0x0
	v_lshrrev_b32_e32 v5, 16, v4
	v_cmp_class_f16_e64 s8, v4, 0x204
	v_cmp_class_f16_e64 s10, v5, 0x204
	s_and_b32 s13, s8, s10
	s_mov_b32 s10, 0
	s_and_saveexec_b32 s8, s13
	s_cbranch_execz .LBB34_129
; %bb.6:                                ;   in Loop: Header=BB34_4 Depth=1
	v_add_nc_u32_e32 v3, s9, v3
	s_mov_b32 s13, 0
	global_load_b32 v4, v3, s[2:3] scale_offset
	s_wait_loadcnt 0x0
	v_cmp_class_f16_e64 s14, v4, 0x204
	s_and_saveexec_b32 s10, s14
	s_cbranch_execz .LBB34_128
; %bb.7:                                ;   in Loop: Header=BB34_4 Depth=1
	v_lshrrev_b32_e32 v4, 16, v4
	s_mov_b32 s14, 0
	s_delay_alu instid0(VALU_DEP_1)
	v_cmp_class_f16_e64 s15, v4, 0x204
	s_and_saveexec_b32 s13, s15
	s_cbranch_execz .LBB34_127
; %bb.8:                                ;   in Loop: Header=BB34_4 Depth=1
	v_add_nc_u32_e32 v3, s9, v3
	s_mov_b32 s15, 0
	global_load_b32 v4, v3, s[2:3] scale_offset
	s_wait_loadcnt 0x0
	v_cmp_class_f16_e64 s16, v4, 0x204
	s_and_saveexec_b32 s14, s16
	s_cbranch_execz .LBB34_126
; %bb.9:                                ;   in Loop: Header=BB34_4 Depth=1
	v_lshrrev_b32_e32 v4, 16, v4
	s_mov_b32 s16, 0
	s_delay_alu instid0(VALU_DEP_1)
	v_cmp_class_f16_e64 s17, v4, 0x204
	s_and_saveexec_b32 s15, s17
	s_cbranch_execz .LBB34_125
; %bb.10:                               ;   in Loop: Header=BB34_4 Depth=1
	v_add_nc_u32_e32 v3, s9, v3
	s_mov_b32 s17, 0
	global_load_b32 v4, v3, s[2:3] scale_offset
	s_wait_loadcnt 0x0
	v_cmp_class_f16_e64 s18, v4, 0x204
	s_and_saveexec_b32 s16, s18
	s_cbranch_execz .LBB34_124
; %bb.11:                               ;   in Loop: Header=BB34_4 Depth=1
	v_lshrrev_b32_e32 v4, 16, v4
	s_mov_b32 s18, 0
	s_delay_alu instid0(VALU_DEP_1)
	v_cmp_class_f16_e64 s19, v4, 0x204
	s_and_saveexec_b32 s17, s19
	s_cbranch_execz .LBB34_123
; %bb.12:                               ;   in Loop: Header=BB34_4 Depth=1
	v_add_nc_u32_e32 v3, s9, v3
	s_mov_b32 s19, 0
	global_load_b32 v4, v3, s[2:3] scale_offset
	s_wait_loadcnt 0x0
	v_cmp_class_f16_e64 s20, v4, 0x204
	s_and_saveexec_b32 s18, s20
	s_cbranch_execz .LBB34_122
; %bb.13:                               ;   in Loop: Header=BB34_4 Depth=1
	;; [unrolled: 15-line block ×28, first 2 shown]
	v_lshrrev_b32_e32 v4, 16, v4
	s_mov_b32 s73, 0
	s_delay_alu instid0(VALU_DEP_1)
	v_cmp_class_f16_e64 s74, v4, 0x204
	s_and_saveexec_b32 s72, s74
	s_cbranch_execz .LBB34_69
; %bb.66:                               ;   in Loop: Header=BB34_4 Depth=1
	v_add_nc_u32_e32 v3, s9, v3
	global_load_b32 v3, v3, s[2:3] scale_offset
	s_wait_loadcnt 0x0
	v_cmp_class_f16_e64 s75, v3, 0x204
	s_and_saveexec_b32 s74, s75
; %bb.67:                               ;   in Loop: Header=BB34_4 Depth=1
	v_lshrrev_b32_e32 v3, 16, v3
	s_delay_alu instid0(VALU_DEP_1)
	v_cmp_class_f16_e64 s73, v3, 0x204
	s_and_b32 s73, s73, exec_lo
; %bb.68:                               ;   in Loop: Header=BB34_4 Depth=1
	s_or_b32 exec_lo, exec_lo, s74
	s_delay_alu instid0(SALU_CYCLE_1)
	s_and_b32 s73, s73, exec_lo
.LBB34_69:                              ;   in Loop: Header=BB34_4 Depth=1
	s_or_b32 exec_lo, exec_lo, s72
	s_delay_alu instid0(SALU_CYCLE_1)
	s_and_b32 s72, s73, exec_lo
.LBB34_70:                              ;   in Loop: Header=BB34_4 Depth=1
	s_or_b32 exec_lo, exec_lo, s71
	s_delay_alu instid0(SALU_CYCLE_1)
	s_and_b32 s71, s72, exec_lo
.LBB34_71:                              ;   in Loop: Header=BB34_4 Depth=1
	s_or_b32 exec_lo, exec_lo, s70
	s_delay_alu instid0(SALU_CYCLE_1)
	s_and_b32 s70, s71, exec_lo
.LBB34_72:                              ;   in Loop: Header=BB34_4 Depth=1
	s_or_b32 exec_lo, exec_lo, s69
	s_delay_alu instid0(SALU_CYCLE_1)
	s_and_b32 s69, s70, exec_lo
.LBB34_73:                              ;   in Loop: Header=BB34_4 Depth=1
	s_or_b32 exec_lo, exec_lo, s68
	s_delay_alu instid0(SALU_CYCLE_1)
	s_and_b32 s68, s69, exec_lo
.LBB34_74:                              ;   in Loop: Header=BB34_4 Depth=1
	s_or_b32 exec_lo, exec_lo, s67
	s_delay_alu instid0(SALU_CYCLE_1)
	s_and_b32 s67, s68, exec_lo
.LBB34_75:                              ;   in Loop: Header=BB34_4 Depth=1
	s_or_b32 exec_lo, exec_lo, s66
	s_delay_alu instid0(SALU_CYCLE_1)
	s_and_b32 s66, s67, exec_lo
.LBB34_76:                              ;   in Loop: Header=BB34_4 Depth=1
	s_or_b32 exec_lo, exec_lo, s65
	s_delay_alu instid0(SALU_CYCLE_1)
	s_and_b32 s65, s66, exec_lo
.LBB34_77:                              ;   in Loop: Header=BB34_4 Depth=1
	s_or_b32 exec_lo, exec_lo, s64
	s_delay_alu instid0(SALU_CYCLE_1)
	s_and_b32 s64, s65, exec_lo
.LBB34_78:                              ;   in Loop: Header=BB34_4 Depth=1
	s_or_b32 exec_lo, exec_lo, s63
	s_delay_alu instid0(SALU_CYCLE_1)
	s_and_b32 s63, s64, exec_lo
.LBB34_79:                              ;   in Loop: Header=BB34_4 Depth=1
	s_or_b32 exec_lo, exec_lo, s62
	s_delay_alu instid0(SALU_CYCLE_1)
	s_and_b32 s62, s63, exec_lo
.LBB34_80:                              ;   in Loop: Header=BB34_4 Depth=1
	s_or_b32 exec_lo, exec_lo, s61
	s_delay_alu instid0(SALU_CYCLE_1)
	s_and_b32 s61, s62, exec_lo
.LBB34_81:                              ;   in Loop: Header=BB34_4 Depth=1
	s_or_b32 exec_lo, exec_lo, s60
	s_delay_alu instid0(SALU_CYCLE_1)
	s_and_b32 s60, s61, exec_lo
.LBB34_82:                              ;   in Loop: Header=BB34_4 Depth=1
	s_or_b32 exec_lo, exec_lo, s59
	s_delay_alu instid0(SALU_CYCLE_1)
	s_and_b32 s59, s60, exec_lo
.LBB34_83:                              ;   in Loop: Header=BB34_4 Depth=1
	s_or_b32 exec_lo, exec_lo, s58
	s_delay_alu instid0(SALU_CYCLE_1)
	s_and_b32 s58, s59, exec_lo
.LBB34_84:                              ;   in Loop: Header=BB34_4 Depth=1
	s_or_b32 exec_lo, exec_lo, s57
	s_delay_alu instid0(SALU_CYCLE_1)
	s_and_b32 s57, s58, exec_lo
.LBB34_85:                              ;   in Loop: Header=BB34_4 Depth=1
	s_or_b32 exec_lo, exec_lo, s56
	s_delay_alu instid0(SALU_CYCLE_1)
	s_and_b32 s56, s57, exec_lo
.LBB34_86:                              ;   in Loop: Header=BB34_4 Depth=1
	s_or_b32 exec_lo, exec_lo, s55
	s_delay_alu instid0(SALU_CYCLE_1)
	s_and_b32 s55, s56, exec_lo
.LBB34_87:                              ;   in Loop: Header=BB34_4 Depth=1
	s_or_b32 exec_lo, exec_lo, s54
	s_delay_alu instid0(SALU_CYCLE_1)
	s_and_b32 s54, s55, exec_lo
.LBB34_88:                              ;   in Loop: Header=BB34_4 Depth=1
	s_or_b32 exec_lo, exec_lo, s53
	s_delay_alu instid0(SALU_CYCLE_1)
	s_and_b32 s53, s54, exec_lo
.LBB34_89:                              ;   in Loop: Header=BB34_4 Depth=1
	s_or_b32 exec_lo, exec_lo, s52
	s_delay_alu instid0(SALU_CYCLE_1)
	s_and_b32 s52, s53, exec_lo
.LBB34_90:                              ;   in Loop: Header=BB34_4 Depth=1
	s_or_b32 exec_lo, exec_lo, s51
	s_delay_alu instid0(SALU_CYCLE_1)
	s_and_b32 s51, s52, exec_lo
.LBB34_91:                              ;   in Loop: Header=BB34_4 Depth=1
	s_or_b32 exec_lo, exec_lo, s50
	s_delay_alu instid0(SALU_CYCLE_1)
	s_and_b32 s50, s51, exec_lo
.LBB34_92:                              ;   in Loop: Header=BB34_4 Depth=1
	s_or_b32 exec_lo, exec_lo, s49
	s_delay_alu instid0(SALU_CYCLE_1)
	s_and_b32 s49, s50, exec_lo
.LBB34_93:                              ;   in Loop: Header=BB34_4 Depth=1
	s_or_b32 exec_lo, exec_lo, s48
	s_delay_alu instid0(SALU_CYCLE_1)
	s_and_b32 s48, s49, exec_lo
.LBB34_94:                              ;   in Loop: Header=BB34_4 Depth=1
	s_or_b32 exec_lo, exec_lo, s47
	s_delay_alu instid0(SALU_CYCLE_1)
	s_and_b32 s47, s48, exec_lo
.LBB34_95:                              ;   in Loop: Header=BB34_4 Depth=1
	s_or_b32 exec_lo, exec_lo, s46
	s_delay_alu instid0(SALU_CYCLE_1)
	s_and_b32 s46, s47, exec_lo
.LBB34_96:                              ;   in Loop: Header=BB34_4 Depth=1
	s_or_b32 exec_lo, exec_lo, s45
	s_delay_alu instid0(SALU_CYCLE_1)
	s_and_b32 s45, s46, exec_lo
.LBB34_97:                              ;   in Loop: Header=BB34_4 Depth=1
	s_or_b32 exec_lo, exec_lo, s44
	s_delay_alu instid0(SALU_CYCLE_1)
	s_and_b32 s44, s45, exec_lo
.LBB34_98:                              ;   in Loop: Header=BB34_4 Depth=1
	s_or_b32 exec_lo, exec_lo, s43
	s_delay_alu instid0(SALU_CYCLE_1)
	s_and_b32 s43, s44, exec_lo
.LBB34_99:                              ;   in Loop: Header=BB34_4 Depth=1
	s_or_b32 exec_lo, exec_lo, s42
	s_delay_alu instid0(SALU_CYCLE_1)
	s_and_b32 s42, s43, exec_lo
.LBB34_100:                             ;   in Loop: Header=BB34_4 Depth=1
	s_or_b32 exec_lo, exec_lo, s41
	s_delay_alu instid0(SALU_CYCLE_1)
	s_and_b32 s41, s42, exec_lo
.LBB34_101:                             ;   in Loop: Header=BB34_4 Depth=1
	s_or_b32 exec_lo, exec_lo, s40
	s_delay_alu instid0(SALU_CYCLE_1)
	s_and_b32 s40, s41, exec_lo
.LBB34_102:                             ;   in Loop: Header=BB34_4 Depth=1
	s_or_b32 exec_lo, exec_lo, s39
	s_delay_alu instid0(SALU_CYCLE_1)
	s_and_b32 s39, s40, exec_lo
.LBB34_103:                             ;   in Loop: Header=BB34_4 Depth=1
	s_or_b32 exec_lo, exec_lo, s38
	s_delay_alu instid0(SALU_CYCLE_1)
	s_and_b32 s38, s39, exec_lo
.LBB34_104:                             ;   in Loop: Header=BB34_4 Depth=1
	s_or_b32 exec_lo, exec_lo, s37
	s_delay_alu instid0(SALU_CYCLE_1)
	s_and_b32 s37, s38, exec_lo
.LBB34_105:                             ;   in Loop: Header=BB34_4 Depth=1
	s_or_b32 exec_lo, exec_lo, s36
	s_delay_alu instid0(SALU_CYCLE_1)
	s_and_b32 s36, s37, exec_lo
.LBB34_106:                             ;   in Loop: Header=BB34_4 Depth=1
	s_or_b32 exec_lo, exec_lo, s35
	s_delay_alu instid0(SALU_CYCLE_1)
	s_and_b32 s35, s36, exec_lo
.LBB34_107:                             ;   in Loop: Header=BB34_4 Depth=1
	s_or_b32 exec_lo, exec_lo, s34
	s_delay_alu instid0(SALU_CYCLE_1)
	s_and_b32 s34, s35, exec_lo
.LBB34_108:                             ;   in Loop: Header=BB34_4 Depth=1
	s_or_b32 exec_lo, exec_lo, s33
	s_delay_alu instid0(SALU_CYCLE_1)
	s_and_b32 s33, s34, exec_lo
.LBB34_109:                             ;   in Loop: Header=BB34_4 Depth=1
	s_or_b32 exec_lo, exec_lo, s31
	s_delay_alu instid0(SALU_CYCLE_1)
	s_and_b32 s31, s33, exec_lo
.LBB34_110:                             ;   in Loop: Header=BB34_4 Depth=1
	s_or_b32 exec_lo, exec_lo, s30
	s_delay_alu instid0(SALU_CYCLE_1)
	s_and_b32 s30, s31, exec_lo
.LBB34_111:                             ;   in Loop: Header=BB34_4 Depth=1
	s_or_b32 exec_lo, exec_lo, s29
	s_delay_alu instid0(SALU_CYCLE_1)
	s_and_b32 s29, s30, exec_lo
.LBB34_112:                             ;   in Loop: Header=BB34_4 Depth=1
	s_or_b32 exec_lo, exec_lo, s28
	s_delay_alu instid0(SALU_CYCLE_1)
	s_and_b32 s28, s29, exec_lo
.LBB34_113:                             ;   in Loop: Header=BB34_4 Depth=1
	s_or_b32 exec_lo, exec_lo, s27
	s_delay_alu instid0(SALU_CYCLE_1)
	s_and_b32 s27, s28, exec_lo
.LBB34_114:                             ;   in Loop: Header=BB34_4 Depth=1
	s_or_b32 exec_lo, exec_lo, s26
	s_delay_alu instid0(SALU_CYCLE_1)
	s_and_b32 s26, s27, exec_lo
.LBB34_115:                             ;   in Loop: Header=BB34_4 Depth=1
	s_or_b32 exec_lo, exec_lo, s25
	s_delay_alu instid0(SALU_CYCLE_1)
	s_and_b32 s25, s26, exec_lo
.LBB34_116:                             ;   in Loop: Header=BB34_4 Depth=1
	s_or_b32 exec_lo, exec_lo, s24
	s_delay_alu instid0(SALU_CYCLE_1)
	s_and_b32 s24, s25, exec_lo
.LBB34_117:                             ;   in Loop: Header=BB34_4 Depth=1
	s_or_b32 exec_lo, exec_lo, s23
	s_delay_alu instid0(SALU_CYCLE_1)
	s_and_b32 s23, s24, exec_lo
.LBB34_118:                             ;   in Loop: Header=BB34_4 Depth=1
	s_or_b32 exec_lo, exec_lo, s22
	s_delay_alu instid0(SALU_CYCLE_1)
	s_and_b32 s22, s23, exec_lo
.LBB34_119:                             ;   in Loop: Header=BB34_4 Depth=1
	s_or_b32 exec_lo, exec_lo, s21
	s_delay_alu instid0(SALU_CYCLE_1)
	s_and_b32 s21, s22, exec_lo
.LBB34_120:                             ;   in Loop: Header=BB34_4 Depth=1
	s_or_b32 exec_lo, exec_lo, s20
	s_delay_alu instid0(SALU_CYCLE_1)
	s_and_b32 s20, s21, exec_lo
.LBB34_121:                             ;   in Loop: Header=BB34_4 Depth=1
	s_or_b32 exec_lo, exec_lo, s19
	s_delay_alu instid0(SALU_CYCLE_1)
	s_and_b32 s19, s20, exec_lo
.LBB34_122:                             ;   in Loop: Header=BB34_4 Depth=1
	s_or_b32 exec_lo, exec_lo, s18
	s_delay_alu instid0(SALU_CYCLE_1)
	s_and_b32 s18, s19, exec_lo
.LBB34_123:                             ;   in Loop: Header=BB34_4 Depth=1
	s_or_b32 exec_lo, exec_lo, s17
	s_delay_alu instid0(SALU_CYCLE_1)
	s_and_b32 s17, s18, exec_lo
.LBB34_124:                             ;   in Loop: Header=BB34_4 Depth=1
	s_or_b32 exec_lo, exec_lo, s16
	s_delay_alu instid0(SALU_CYCLE_1)
	s_and_b32 s16, s17, exec_lo
.LBB34_125:                             ;   in Loop: Header=BB34_4 Depth=1
	s_or_b32 exec_lo, exec_lo, s15
	s_delay_alu instid0(SALU_CYCLE_1)
	s_and_b32 s15, s16, exec_lo
.LBB34_126:                             ;   in Loop: Header=BB34_4 Depth=1
	s_or_b32 exec_lo, exec_lo, s14
	s_delay_alu instid0(SALU_CYCLE_1)
	s_and_b32 s14, s15, exec_lo
.LBB34_127:                             ;   in Loop: Header=BB34_4 Depth=1
	s_or_b32 exec_lo, exec_lo, s13
	s_delay_alu instid0(SALU_CYCLE_1)
	s_and_b32 s13, s14, exec_lo
.LBB34_128:                             ;   in Loop: Header=BB34_4 Depth=1
	s_or_b32 exec_lo, exec_lo, s10
	s_delay_alu instid0(SALU_CYCLE_1)
	s_and_b32 s10, s13, exec_lo
.LBB34_129:                             ;   in Loop: Header=BB34_4 Depth=1
	s_or_b32 exec_lo, exec_lo, s8
	v_cndmask_b32_e64 v3, 0, 1, s10
	s_mov_b32 s13, exec_lo
	s_delay_alu instid0(VALU_DEP_1)
	v_cmp_ne_u32_e32 vcc_lo, 0, v3
	s_and_saveexec_b32 s8, s0
	s_cbranch_execz .LBB34_3
; %bb.130:                              ;   in Loop: Header=BB34_4 Depth=1
	s_cmp_eq_u32 vcc_lo, s13
	s_cselect_b32 s10, -1, 0
	s_delay_alu instid0(SALU_CYCLE_1)
	v_cndmask_b32_e64 v3, 0, 1, s10
	ds_store_b32 v1, v3
	s_branch .LBB34_3
.LBB34_131:                             ;   in Loop: Header=BB34_4 Depth=1
	s_cbranch_execz .LBB34_4
.LBB34_132:
	s_mov_b32 s0, exec_lo
	v_cmpx_eq_u32_e32 0, v0
	s_cbranch_execz .LBB34_134
; %bb.133:
	s_mul_i32 s0, s11, s12
	v_mov_b32_e32 v1, s4
	s_add_co_i32 s0, s0, s1
	s_delay_alu instid0(SALU_CYCLE_1)
	v_mov_b32_e32 v0, s0
	global_store_b32 v0, v1, s[6:7] scale_offset
.LBB34_134:
	s_endpgm
	.section	.rodata,"a",@progbits
	.p2align	6, 0x0
	.amdhsa_kernel _ZL25flash_attn_mask_to_KV_maxILi32EEvPK7__half2Piiii
		.amdhsa_group_segment_fixed_size 128
		.amdhsa_private_segment_fixed_size 0
		.amdhsa_kernarg_size 288
		.amdhsa_user_sgpr_count 2
		.amdhsa_user_sgpr_dispatch_ptr 0
		.amdhsa_user_sgpr_queue_ptr 0
		.amdhsa_user_sgpr_kernarg_segment_ptr 1
		.amdhsa_user_sgpr_dispatch_id 0
		.amdhsa_user_sgpr_kernarg_preload_length 0
		.amdhsa_user_sgpr_kernarg_preload_offset 0
		.amdhsa_user_sgpr_private_segment_size 0
		.amdhsa_wavefront_size32 1
		.amdhsa_uses_dynamic_stack 0
		.amdhsa_enable_private_segment 0
		.amdhsa_system_sgpr_workgroup_id_x 1
		.amdhsa_system_sgpr_workgroup_id_y 1
		.amdhsa_system_sgpr_workgroup_id_z 0
		.amdhsa_system_sgpr_workgroup_info 0
		.amdhsa_system_vgpr_workitem_id 0
		.amdhsa_next_free_vgpr 6
		.amdhsa_next_free_sgpr 76
		.amdhsa_named_barrier_count 0
		.amdhsa_reserve_vcc 1
		.amdhsa_float_round_mode_32 0
		.amdhsa_float_round_mode_16_64 0
		.amdhsa_float_denorm_mode_32 3
		.amdhsa_float_denorm_mode_16_64 3
		.amdhsa_fp16_overflow 0
		.amdhsa_memory_ordered 1
		.amdhsa_forward_progress 1
		.amdhsa_inst_pref_size 28
		.amdhsa_round_robin_scheduling 0
		.amdhsa_exception_fp_ieee_invalid_op 0
		.amdhsa_exception_fp_denorm_src 0
		.amdhsa_exception_fp_ieee_div_zero 0
		.amdhsa_exception_fp_ieee_overflow 0
		.amdhsa_exception_fp_ieee_underflow 0
		.amdhsa_exception_fp_ieee_inexact 0
		.amdhsa_exception_int_div_zero 0
	.end_amdhsa_kernel
	.section	.text._ZL25flash_attn_mask_to_KV_maxILi32EEvPK7__half2Piiii,"axG",@progbits,_ZL25flash_attn_mask_to_KV_maxILi32EEvPK7__half2Piiii,comdat
.Lfunc_end34:
	.size	_ZL25flash_attn_mask_to_KV_maxILi32EEvPK7__half2Piiii, .Lfunc_end34-_ZL25flash_attn_mask_to_KV_maxILi32EEvPK7__half2Piiii
                                        ; -- End function
	.set _ZL25flash_attn_mask_to_KV_maxILi32EEvPK7__half2Piiii.num_vgpr, 6
	.set _ZL25flash_attn_mask_to_KV_maxILi32EEvPK7__half2Piiii.num_agpr, 0
	.set _ZL25flash_attn_mask_to_KV_maxILi32EEvPK7__half2Piiii.numbered_sgpr, 76
	.set _ZL25flash_attn_mask_to_KV_maxILi32EEvPK7__half2Piiii.num_named_barrier, 0
	.set _ZL25flash_attn_mask_to_KV_maxILi32EEvPK7__half2Piiii.private_seg_size, 0
	.set _ZL25flash_attn_mask_to_KV_maxILi32EEvPK7__half2Piiii.uses_vcc, 1
	.set _ZL25flash_attn_mask_to_KV_maxILi32EEvPK7__half2Piiii.uses_flat_scratch, 0
	.set _ZL25flash_attn_mask_to_KV_maxILi32EEvPK7__half2Piiii.has_dyn_sized_stack, 0
	.set _ZL25flash_attn_mask_to_KV_maxILi32EEvPK7__half2Piiii.has_recursion, 0
	.set _ZL25flash_attn_mask_to_KV_maxILi32EEvPK7__half2Piiii.has_indirect_call, 0
	.section	.AMDGPU.csdata,"",@progbits
; Kernel info:
; codeLenInByte = 3548
; TotalNumSgprs: 78
; NumVgprs: 6
; ScratchSize: 0
; MemoryBound: 0
; FloatMode: 240
; IeeeMode: 1
; LDSByteSize: 128 bytes/workgroup (compile time only)
; SGPRBlocks: 0
; VGPRBlocks: 0
; NumSGPRsForWavesPerEU: 78
; NumVGPRsForWavesPerEU: 6
; NamedBarCnt: 0
; Occupancy: 16
; WaveLimiterHint : 0
; COMPUTE_PGM_RSRC2:SCRATCH_EN: 0
; COMPUTE_PGM_RSRC2:USER_SGPR: 2
; COMPUTE_PGM_RSRC2:TRAP_HANDLER: 0
; COMPUTE_PGM_RSRC2:TGID_X_EN: 1
; COMPUTE_PGM_RSRC2:TGID_Y_EN: 1
; COMPUTE_PGM_RSRC2:TGID_Z_EN: 0
; COMPUTE_PGM_RSRC2:TIDIG_COMP_CNT: 0
	.section	.text._ZL33flash_attn_stream_k_fixup_uniformILi128ELi32ELi2EEvPfPK15HIP_vector_typeIfLj2EEiiiiiiS1_IjLj3EES5_S5_,"axG",@progbits,_ZL33flash_attn_stream_k_fixup_uniformILi128ELi32ELi2EEvPfPK15HIP_vector_typeIfLj2EEiiiiiiS1_IjLj3EES5_S5_,comdat
	.globl	_ZL33flash_attn_stream_k_fixup_uniformILi128ELi32ELi2EEvPfPK15HIP_vector_typeIfLj2EEiiiiiiS1_IjLj3EES5_S5_ ; -- Begin function _ZL33flash_attn_stream_k_fixup_uniformILi128ELi32ELi2EEvPfPK15HIP_vector_typeIfLj2EEiiiiiiS1_IjLj3EES5_S5_
	.p2align	8
	.type	_ZL33flash_attn_stream_k_fixup_uniformILi128ELi32ELi2EEvPfPK15HIP_vector_typeIfLj2EEiiiiiiS1_IjLj3EES5_S5_,@function
_ZL33flash_attn_stream_k_fixup_uniformILi128ELi32ELi2EEvPfPK15HIP_vector_typeIfLj2EEiiiiiiS1_IjLj3EES5_S5_: ; @_ZL33flash_attn_stream_k_fixup_uniformILi128ELi32ELi2EEvPfPK15HIP_vector_typeIfLj2EEiiiiiiS1_IjLj3EES5_S5_
; %bb.0:
	s_load_b256 s[4:11], s[0:1], 0x1c
	s_bfe_u32 s2, ttmp6, 0x40014
	s_lshr_b32 s3, ttmp7, 16
	s_add_co_i32 s2, s2, 1
	s_bfe_u32 s13, ttmp6, 0x40010
	s_mul_i32 s2, s3, s2
	s_bfe_u32 s12, ttmp6, 0x40008
	s_and_b32 s15, ttmp7, 0xffff
	s_add_co_i32 s13, s13, 1
	s_bfe_u32 s14, ttmp6, 0x4000c
	s_add_co_i32 s12, s12, s2
	s_mul_i32 s2, s15, s13
	s_bfe_u32 s13, ttmp6, 0x40004
	s_add_co_i32 s14, s14, 1
	s_add_co_i32 s13, s13, s2
	s_and_b32 s2, ttmp6, 15
	s_mul_i32 s14, ttmp9, s14
	s_getreg_b32 s20, hwreg(HW_REG_IB_STS2, 6, 4)
	s_add_co_i32 s2, s2, s14
	s_load_b128 s[16:19], s[0:1], 0x3c
	s_cmp_eq_u32 s20, 0
	s_cselect_b32 s14, ttmp9, s2
	s_cselect_b32 s13, s15, s13
	s_wait_kmcnt 0x0
	s_mul_hi_u32 s2, s7, s14
	s_cselect_b32 s12, s3, s12
	s_add_co_i32 s2, s14, s2
	s_delay_alu instid0(SALU_CYCLE_1) | instskip(NEXT) | instid1(SALU_CYCLE_1)
	s_lshr_b32 s7, s2, s8
	s_mul_i32 s2, s7, s9
	s_delay_alu instid0(SALU_CYCLE_1) | instskip(NEXT) | instid1(SALU_CYCLE_1)
	s_sub_co_i32 s8, s14, s2
	s_mul_hi_u32 s2, s8, s10
	s_delay_alu instid0(SALU_CYCLE_1) | instskip(SKIP_2) | instid1(SALU_CYCLE_1)
	s_add_co_i32 s9, s8, s2
	s_load_b64 s[2:3], s[0:1], 0x10
	s_lshr_b32 s15, s9, s11
	s_mul_i32 s9, s15, s16
	s_delay_alu instid0(SALU_CYCLE_1) | instskip(NEXT) | instid1(SALU_CYCLE_1)
	s_sub_co_i32 s8, s8, s9
	s_mul_hi_u32 s9, s8, s17
	s_delay_alu instid0(SALU_CYCLE_1) | instskip(NEXT) | instid1(SALU_CYCLE_1)
	s_add_co_i32 s9, s8, s9
	s_lshr_b32 s9, s9, s18
	s_delay_alu instid0(SALU_CYCLE_1) | instskip(SKIP_2) | instid1(SALU_CYCLE_1)
	s_mul_i32 s10, s9, s19
	s_lshl_b32 s17, s9, 1
	s_sub_co_i32 s16, s8, s10
	s_lshl_b32 s8, s16, 5
	s_delay_alu instid0(SALU_CYCLE_1) | instskip(SKIP_4) | instid1(SALU_CYCLE_1)
	s_add_co_i32 s8, s8, s13
	s_wait_kmcnt 0x0
	s_cmp_lt_i32 s8, s2
	s_cselect_b32 s8, -1, 0
	s_add_co_i32 s9, s17, s12
	s_cmp_lt_i32 s9, s5
	s_cselect_b32 s9, -1, 0
	s_delay_alu instid0(SALU_CYCLE_1) | instskip(NEXT) | instid1(SALU_CYCLE_1)
	s_and_b32 s8, s8, s9
	s_and_not1_b32 vcc_lo, exec_lo, s8
	s_cbranch_vccnz .LBB35_6
; %bb.1:
	s_mul_i32 s2, s7, s2
	s_load_b128 s[8:11], s[0:1], 0x0
	s_wait_xcnt 0x0
	s_add_co_i32 s0, s2, s13
	s_mul_i32 s15, s15, s5
	s_mul_i32 s0, s0, s3
	;; [unrolled: 1-line block ×3, first 2 shown]
	s_add_co_i32 s0, s0, s12
	s_lshl_b32 s1, s1, 12
	s_add_co_i32 s0, s0, s15
	s_mul_i32 s7, s6, s14
	s_add_co_i32 s0, s0, s17
	s_lshl_b32 s5, s13, 1
	s_lshl_b32 s0, s0, 7
	s_add_co_i32 s15, s7, s6
	s_add_co_i32 s1, s1, s0
	;; [unrolled: 1-line block ×3, first 2 shown]
	v_or_b32_e32 v4, s1, v0
	s_lshl_b32 s1, s15, 6
	s_add_co_i32 s2, s15, -2
	s_add_co_i32 s0, s0, s1
	s_delay_alu instid0(SALU_CYCLE_1)
	s_sub_co_i32 s0, s0, 64
	s_wait_kmcnt 0x0
	global_load_b32 v3, v4, s[8:9] scale_offset
	s_ashr_i32 s1, s0, 31
	v_ashrrev_i32_e32 v5, 31, v4
	s_lshl_b64 s[0:1], s[0:1], 3
	s_cmp_lt_i32 s2, s7
	s_add_nc_u64 s[0:1], s[10:11], s[0:1]
	s_load_b32 s16, s[0:1], 0x4
	s_cbranch_scc1 .LBB35_4
; %bb.2:
	s_wait_xcnt 0x0
	s_load_b32 s0, s[0:1], 0x0
	s_add_co_i32 s14, s14, 1
	s_lshl_b32 s3, s13, 8
	s_wait_xcnt 0x0
	s_mul_i32 s1, s6, s14
	s_lshl_b32 s6, s12, 7
	s_lshl_b32 s13, s1, 13
	s_add_co_i32 s6, s6, s3
	s_lshl_b32 s1, s1, 6
	s_add_co_i32 s6, s6, s13
	s_lshl_b32 s2, s4, 8
	s_wait_kmcnt 0x0
	v_dual_mov_b32 v2, s16 :: v_dual_bitop2_b32 v0, s6, v0 bitop3:0x54
	s_add_co_i32 s1, s12, s1
	s_lshl_b32 s4, s4, 6
	s_ashr_i32 s3, s2, 31
	s_add_co_i32 s1, s1, s4
	v_add_nc_u32_e32 v0, 0xffffc000, v0
	s_lshl_b64 s[2:3], s[2:3], 2
	s_add_co_i32 s4, s1, s5
	s_add_nc_u64 s[2:3], s[10:11], s[2:3]
	s_add_co_i32 s1, s15, -1
	s_addk_co_i32 s4, 0xff80
.LBB35_3:                               ; =>This Inner Loop Header: Depth=1
	global_load_b32 v7, v0, s[2:3] scale_offset
	s_ashr_i32 s5, s4, 31
	v_max_num_f32_e64 v1, s0, s0
	s_lshl_b64 s[12:13], s[4:5], 3
	s_delay_alu instid0(SALU_CYCLE_1) | instskip(SKIP_1) | instid1(VALU_DEP_1)
	s_add_nc_u64 s[12:13], s[10:11], s[12:13]
	s_load_b64 s[12:13], s[12:13], 0x0
	v_readfirstlane_b32 s5, v1
	v_add_nc_u32_e32 v0, 0xffffe000, v0
	s_wait_kmcnt 0x0
	v_max_num_f32_e64 v1, s12, s12
	s_delay_alu instid0(VALU_DEP_1) | instskip(SKIP_1) | instid1(SALU_CYCLE_3)
	v_readfirstlane_b32 s6, v1
	s_max_num_f32 s5, s5, s6
	s_sub_f32 s0, s0, s5
	s_sub_f32 s6, s12, s5
	s_delay_alu instid0(SALU_CYCLE_2) | instskip(NEXT) | instid1(SALU_CYCLE_2)
	s_mul_f32 s12, s0, 0x3fb8aa3b
	s_mul_f32 s14, s6, 0x3fb8aa3b
	s_delay_alu instid0(SALU_CYCLE_2)
	s_xor_b32 s15, s12, 0x80000000
	s_rndne_f32 s16, s12
	s_fmamk_f32 s15, s0, 0x3fb8aa3b, s15
	s_cmp_nlt_f32 s0, 0xc2ce8ed0
	s_rndne_f32 s17, s14
	s_sub_f32 s12, s12, s16
	s_fmamk_f32 s15, s0, 0x32a5705f, s15
	s_cselect_b32 vcc_lo, -1, 0
	s_cmp_ngt_f32 s0, 0x42b17218
	s_delay_alu instid0(SALU_CYCLE_1) | instskip(SKIP_2) | instid1(SALU_CYCLE_1)
	s_add_f32 s12, s12, s15
	s_cvt_i32_f32 s15, s16
	s_sub_f32 s16, s14, s17
	v_s_exp_f32 s12, s12
	v_nop
	s_delay_alu instid0(TRANS32_DEP_1) | instskip(SKIP_1) | instid1(VALU_DEP_1)
	v_ldexp_f32 v1, s12, s15
	s_cvt_i32_f32 s12, s17
	v_cndmask_b32_e32 v1, 0, v1, vcc_lo
	s_cselect_b32 vcc_lo, -1, 0
	s_cmp_ge_f32 s0, 0xc1a00000
	s_delay_alu instid0(VALU_DEP_1)
	v_cndmask_b32_e32 v1, 0x7f800000, v1, vcc_lo
	s_cselect_b32 vcc_lo, -1, 0
	s_xor_b32 s0, s14, 0x80000000
	s_cmp_nlt_f32 s6, 0xc2ce8ed0
	s_fmamk_f32 s0, s6, 0x3fb8aa3b, s0
	v_cndmask_b32_e32 v10, 0, v1, vcc_lo
	s_delay_alu instid0(SALU_CYCLE_2) | instskip(NEXT) | instid1(SALU_CYCLE_3)
	s_fmamk_f32 s0, s6, 0x32a5705f, s0
	s_add_f32 s0, s16, s0
	s_delay_alu instid0(SALU_CYCLE_3) | instskip(SKIP_1) | instid1(TRANS32_DEP_1)
	v_s_exp_f32 s0, s0
	v_nop
	v_ldexp_f32 v6, s0, s12
	s_cselect_b32 s0, -1, 0
	s_cmp_ngt_f32 s6, 0x42b17218
	s_delay_alu instid0(VALU_DEP_1) | instskip(SKIP_2) | instid1(VALU_DEP_1)
	v_cndmask_b32_e64 v6, 0, v6, s0
	s_cselect_b32 s0, -1, 0
	s_cmp_ge_f32 s6, 0xc1a00000
	v_cndmask_b32_e64 v8, 0x7f800000, v6, s0
	s_cselect_b32 s0, -1, 0
	v_mov_b32_e32 v6, s13
	s_add_co_i32 s1, s1, -1
	s_sub_co_i32 s4, s4, 64
	v_cndmask_b32_e64 v8, 0, v8, s0
	s_cmp_le_i32 s1, s7
	s_mov_b32 s0, s5
	s_wait_loadcnt 0x0
	s_delay_alu instid0(VALU_DEP_1) | instskip(NEXT) | instid1(VALU_DEP_1)
	v_pk_mul_f32 v[6:7], v[6:7], v[8:9] op_sel_hi:[1,0]
	v_pk_fma_f32 v[2:3], v[2:3], v[10:11], v[6:7] op_sel_hi:[1,0,1]
	s_cbranch_scc0 .LBB35_3
	s_branch .LBB35_5
.LBB35_4:
	s_wait_kmcnt 0x0
	v_mov_b32_e32 v2, s16
.LBB35_5:
	v_lshl_add_u64 v[0:1], v[4:5], 2, s[8:9]
	s_wait_loadcnt 0x0
	s_delay_alu instid0(VALU_DEP_2) | instskip(NEXT) | instid1(VALU_DEP_1)
	v_div_scale_f32 v4, null, v2, v2, v3
	v_rcp_f32_e32 v5, v4
	v_nop
	s_delay_alu instid0(TRANS32_DEP_1) | instskip(NEXT) | instid1(VALU_DEP_1)
	v_fma_f32 v6, -v4, v5, 1.0
	v_fmac_f32_e32 v5, v6, v5
	v_div_scale_f32 v6, vcc_lo, v3, v2, v3
	s_delay_alu instid0(VALU_DEP_1) | instskip(NEXT) | instid1(VALU_DEP_1)
	v_mul_f32_e32 v7, v6, v5
	v_fma_f32 v8, -v4, v7, v6
	s_delay_alu instid0(VALU_DEP_1) | instskip(NEXT) | instid1(VALU_DEP_1)
	v_fmac_f32_e32 v7, v8, v5
	v_fma_f32 v4, -v4, v7, v6
	s_delay_alu instid0(VALU_DEP_1) | instskip(NEXT) | instid1(VALU_DEP_1)
	v_div_fmas_f32 v4, v4, v5, v7
	v_div_fixup_f32 v2, v4, v2, v3
	global_store_b32 v[0:1], v2, off
.LBB35_6:
	s_endpgm
	.section	.rodata,"a",@progbits
	.p2align	6, 0x0
	.amdhsa_kernel _ZL33flash_attn_stream_k_fixup_uniformILi128ELi32ELi2EEvPfPK15HIP_vector_typeIfLj2EEiiiiiiS1_IjLj3EES5_S5_
		.amdhsa_group_segment_fixed_size 0
		.amdhsa_private_segment_fixed_size 0
		.amdhsa_kernarg_size 76
		.amdhsa_user_sgpr_count 2
		.amdhsa_user_sgpr_dispatch_ptr 0
		.amdhsa_user_sgpr_queue_ptr 0
		.amdhsa_user_sgpr_kernarg_segment_ptr 1
		.amdhsa_user_sgpr_dispatch_id 0
		.amdhsa_user_sgpr_kernarg_preload_length 0
		.amdhsa_user_sgpr_kernarg_preload_offset 0
		.amdhsa_user_sgpr_private_segment_size 0
		.amdhsa_wavefront_size32 1
		.amdhsa_uses_dynamic_stack 0
		.amdhsa_enable_private_segment 0
		.amdhsa_system_sgpr_workgroup_id_x 1
		.amdhsa_system_sgpr_workgroup_id_y 1
		.amdhsa_system_sgpr_workgroup_id_z 1
		.amdhsa_system_sgpr_workgroup_info 0
		.amdhsa_system_vgpr_workitem_id 0
		.amdhsa_next_free_vgpr 12
		.amdhsa_next_free_sgpr 21
		.amdhsa_named_barrier_count 0
		.amdhsa_reserve_vcc 1
		.amdhsa_float_round_mode_32 0
		.amdhsa_float_round_mode_16_64 0
		.amdhsa_float_denorm_mode_32 3
		.amdhsa_float_denorm_mode_16_64 3
		.amdhsa_fp16_overflow 0
		.amdhsa_memory_ordered 1
		.amdhsa_forward_progress 1
		.amdhsa_inst_pref_size 9
		.amdhsa_round_robin_scheduling 0
		.amdhsa_exception_fp_ieee_invalid_op 0
		.amdhsa_exception_fp_denorm_src 0
		.amdhsa_exception_fp_ieee_div_zero 0
		.amdhsa_exception_fp_ieee_overflow 0
		.amdhsa_exception_fp_ieee_underflow 0
		.amdhsa_exception_fp_ieee_inexact 0
		.amdhsa_exception_int_div_zero 0
	.end_amdhsa_kernel
	.section	.text._ZL33flash_attn_stream_k_fixup_uniformILi128ELi32ELi2EEvPfPK15HIP_vector_typeIfLj2EEiiiiiiS1_IjLj3EES5_S5_,"axG",@progbits,_ZL33flash_attn_stream_k_fixup_uniformILi128ELi32ELi2EEvPfPK15HIP_vector_typeIfLj2EEiiiiiiS1_IjLj3EES5_S5_,comdat
.Lfunc_end35:
	.size	_ZL33flash_attn_stream_k_fixup_uniformILi128ELi32ELi2EEvPfPK15HIP_vector_typeIfLj2EEiiiiiiS1_IjLj3EES5_S5_, .Lfunc_end35-_ZL33flash_attn_stream_k_fixup_uniformILi128ELi32ELi2EEvPfPK15HIP_vector_typeIfLj2EEiiiiiiS1_IjLj3EES5_S5_
                                        ; -- End function
	.set _ZL33flash_attn_stream_k_fixup_uniformILi128ELi32ELi2EEvPfPK15HIP_vector_typeIfLj2EEiiiiiiS1_IjLj3EES5_S5_.num_vgpr, 12
	.set _ZL33flash_attn_stream_k_fixup_uniformILi128ELi32ELi2EEvPfPK15HIP_vector_typeIfLj2EEiiiiiiS1_IjLj3EES5_S5_.num_agpr, 0
	.set _ZL33flash_attn_stream_k_fixup_uniformILi128ELi32ELi2EEvPfPK15HIP_vector_typeIfLj2EEiiiiiiS1_IjLj3EES5_S5_.numbered_sgpr, 21
	.set _ZL33flash_attn_stream_k_fixup_uniformILi128ELi32ELi2EEvPfPK15HIP_vector_typeIfLj2EEiiiiiiS1_IjLj3EES5_S5_.num_named_barrier, 0
	.set _ZL33flash_attn_stream_k_fixup_uniformILi128ELi32ELi2EEvPfPK15HIP_vector_typeIfLj2EEiiiiiiS1_IjLj3EES5_S5_.private_seg_size, 0
	.set _ZL33flash_attn_stream_k_fixup_uniformILi128ELi32ELi2EEvPfPK15HIP_vector_typeIfLj2EEiiiiiiS1_IjLj3EES5_S5_.uses_vcc, 1
	.set _ZL33flash_attn_stream_k_fixup_uniformILi128ELi32ELi2EEvPfPK15HIP_vector_typeIfLj2EEiiiiiiS1_IjLj3EES5_S5_.uses_flat_scratch, 0
	.set _ZL33flash_attn_stream_k_fixup_uniformILi128ELi32ELi2EEvPfPK15HIP_vector_typeIfLj2EEiiiiiiS1_IjLj3EES5_S5_.has_dyn_sized_stack, 0
	.set _ZL33flash_attn_stream_k_fixup_uniformILi128ELi32ELi2EEvPfPK15HIP_vector_typeIfLj2EEiiiiiiS1_IjLj3EES5_S5_.has_recursion, 0
	.set _ZL33flash_attn_stream_k_fixup_uniformILi128ELi32ELi2EEvPfPK15HIP_vector_typeIfLj2EEiiiiiiS1_IjLj3EES5_S5_.has_indirect_call, 0
	.section	.AMDGPU.csdata,"",@progbits
; Kernel info:
; codeLenInByte = 1092
; TotalNumSgprs: 23
; NumVgprs: 12
; ScratchSize: 0
; MemoryBound: 0
; FloatMode: 240
; IeeeMode: 1
; LDSByteSize: 0 bytes/workgroup (compile time only)
; SGPRBlocks: 0
; VGPRBlocks: 0
; NumSGPRsForWavesPerEU: 23
; NumVGPRsForWavesPerEU: 12
; NamedBarCnt: 0
; Occupancy: 16
; WaveLimiterHint : 0
; COMPUTE_PGM_RSRC2:SCRATCH_EN: 0
; COMPUTE_PGM_RSRC2:USER_SGPR: 2
; COMPUTE_PGM_RSRC2:TRAP_HANDLER: 0
; COMPUTE_PGM_RSRC2:TGID_X_EN: 1
; COMPUTE_PGM_RSRC2:TGID_Y_EN: 1
; COMPUTE_PGM_RSRC2:TGID_Z_EN: 1
; COMPUTE_PGM_RSRC2:TIDIG_COMP_CNT: 0
	.section	.text._ZL33flash_attn_stream_k_fixup_generalILi128ELi32ELi2EEvPfPK15HIP_vector_typeIfLj2EEiiiiS1_IjLj3EES5_S5_S5_,"axG",@progbits,_ZL33flash_attn_stream_k_fixup_generalILi128ELi32ELi2EEvPfPK15HIP_vector_typeIfLj2EEiiiiS1_IjLj3EES5_S5_S5_,comdat
	.globl	_ZL33flash_attn_stream_k_fixup_generalILi128ELi32ELi2EEvPfPK15HIP_vector_typeIfLj2EEiiiiS1_IjLj3EES5_S5_S5_ ; -- Begin function _ZL33flash_attn_stream_k_fixup_generalILi128ELi32ELi2EEvPfPK15HIP_vector_typeIfLj2EEiiiiS1_IjLj3EES5_S5_S5_
	.p2align	8
	.type	_ZL33flash_attn_stream_k_fixup_generalILi128ELi32ELi2EEvPfPK15HIP_vector_typeIfLj2EEiiiiS1_IjLj3EES5_S5_S5_,@function
_ZL33flash_attn_stream_k_fixup_generalILi128ELi32ELi2EEvPfPK15HIP_vector_typeIfLj2EEiiiiS1_IjLj3EES5_S5_S5_: ; @_ZL33flash_attn_stream_k_fixup_generalILi128ELi32ELi2EEvPfPK15HIP_vector_typeIfLj2EEiiiiS1_IjLj3EES5_S5_S5_
; %bb.0:
	s_clause 0x1
	s_load_b128 s[4:7], s[0:1], 0x10
	s_load_b32 s16, s[0:1], 0x50
	s_bfe_u32 s2, ttmp6, 0x4000c
	s_and_b32 s3, ttmp6, 15
	s_add_co_i32 s2, s2, 1
	s_getreg_b32 s15, hwreg(HW_REG_IB_STS2, 6, 4)
	s_mul_i32 s2, ttmp9, s2
	s_mov_b32 s17, 0
	s_add_co_i32 s3, s3, s2
	s_cmp_eq_u32 s15, 0
	s_cselect_b32 s2, ttmp9, s3
	s_delay_alu instid0(SALU_CYCLE_1) | instskip(SKIP_3) | instid1(SALU_CYCLE_1)
	s_ashr_i32 s3, s2, 31
	s_wait_kmcnt 0x0
	s_ashr_i32 s19, s7, 31
	s_mov_b32 s18, s7
	s_mul_u64 s[8:9], s[18:19], s[2:3]
	s_delay_alu instid0(SALU_CYCLE_1) | instskip(NEXT) | instid1(SALU_CYCLE_1)
	s_and_b64 s[10:11], s[8:9], 0xffffffff00000000
	s_cmp_lg_u64 s[10:11], 0
	s_cbranch_scc0 .LBB36_21
; %bb.1:
	s_add_nc_u64 s[10:11], s[16:17], 0
	s_mov_b32 s23, s17
	s_xor_b64 s[10:11], s[10:11], 0
	s_mov_b32 s27, s17
	s_cvt_f32_u32 s3, s10
	s_cvt_f32_u32 s7, s11
	s_sub_nc_u64 s[20:21], 0, s[10:11]
	s_delay_alu instid0(SALU_CYCLE_2) | instskip(NEXT) | instid1(SALU_CYCLE_3)
	s_fmamk_f32 s3, s7, 0x4f800000, s3
	v_s_rcp_f32 s3, s3
	s_delay_alu instid0(TRANS32_DEP_1) | instskip(NEXT) | instid1(SALU_CYCLE_3)
	s_mul_f32 s3, s3, 0x5f7ffffc
	s_mul_f32 s7, s3, 0x2f800000
	s_delay_alu instid0(SALU_CYCLE_3) | instskip(NEXT) | instid1(SALU_CYCLE_3)
	s_trunc_f32 s7, s7
	s_fmamk_f32 s3, s7, 0xcf800000, s3
	s_cvt_u32_f32 s13, s7
	s_delay_alu instid0(SALU_CYCLE_2) | instskip(NEXT) | instid1(SALU_CYCLE_3)
	s_cvt_u32_f32 s12, s3
	s_mul_u64 s[24:25], s[20:21], s[12:13]
	s_delay_alu instid0(SALU_CYCLE_1)
	s_mul_hi_u32 s29, s12, s25
	s_mul_i32 s28, s12, s25
	s_mul_hi_u32 s22, s12, s24
	s_mul_i32 s7, s13, s24
	s_add_nc_u64 s[22:23], s[22:23], s[28:29]
	s_mul_hi_u32 s3, s13, s24
	s_mul_hi_u32 s14, s13, s25
	s_add_co_u32 s7, s22, s7
	s_add_co_ci_u32 s26, s23, s3
	s_mul_i32 s24, s13, s25
	s_add_co_ci_u32 s25, s14, 0
	s_delay_alu instid0(SALU_CYCLE_1) | instskip(SKIP_3) | instid1(SALU_CYCLE_1)
	s_add_nc_u64 s[22:23], s[26:27], s[24:25]
	s_mov_b32 s25, s17
	s_add_co_u32 s12, s12, s22
	s_cselect_b32 s3, -1, 0
	s_cmp_lg_u32 s3, 0
	s_add_co_ci_u32 s13, s13, s23
	s_mov_b32 s23, s17
	s_mul_u64 s[20:21], s[20:21], s[12:13]
	s_delay_alu instid0(SALU_CYCLE_1)
	s_mul_hi_u32 s27, s12, s21
	s_mul_i32 s26, s12, s21
	s_mul_hi_u32 s22, s12, s20
	s_mul_i32 s7, s13, s20
	s_add_nc_u64 s[22:23], s[22:23], s[26:27]
	s_mul_hi_u32 s3, s13, s20
	s_mul_hi_u32 s14, s13, s21
	s_add_co_u32 s7, s22, s7
	s_add_co_ci_u32 s24, s23, s3
	s_mul_i32 s20, s13, s21
	s_add_co_ci_u32 s21, s14, 0
	s_mov_b32 s23, s17
	s_add_nc_u64 s[20:21], s[24:25], s[20:21]
	s_delay_alu instid0(SALU_CYCLE_1) | instskip(SKIP_1) | instid1(SALU_CYCLE_1)
	s_add_co_u32 s3, s12, s20
	s_cselect_b32 s7, -1, 0
	s_cmp_lg_u32 s7, 0
	s_add_co_ci_u32 s7, s13, s21
	s_ashr_i32 s12, s9, 31
	s_delay_alu instid0(SALU_CYCLE_1) | instskip(NEXT) | instid1(SALU_CYCLE_1)
	s_mov_b32 s13, s12
	s_add_nc_u64 s[20:21], s[8:9], s[12:13]
	s_delay_alu instid0(SALU_CYCLE_1) | instskip(NEXT) | instid1(SALU_CYCLE_1)
	s_xor_b64 s[20:21], s[20:21], s[12:13]
	s_mul_hi_u32 s27, s20, s7
	s_mul_i32 s26, s20, s7
	s_mul_hi_u32 s22, s20, s3
	s_mul_hi_u32 s14, s21, s3
	s_mul_i32 s3, s21, s3
	s_add_nc_u64 s[22:23], s[22:23], s[26:27]
	s_mul_hi_u32 s9, s21, s7
	s_add_co_u32 s3, s22, s3
	s_add_co_ci_u32 s24, s23, s14
	s_mul_i32 s26, s21, s7
	s_add_co_ci_u32 s27, s9, 0
	s_delay_alu instid0(SALU_CYCLE_1) | instskip(NEXT) | instid1(SALU_CYCLE_1)
	s_add_nc_u64 s[22:23], s[24:25], s[26:27]
	s_and_b64 s[24:25], s[22:23], 0xffffffff00000000
	s_delay_alu instid0(SALU_CYCLE_1) | instskip(NEXT) | instid1(SALU_CYCLE_1)
	s_or_b32 s24, s24, s22
	s_mul_u64 s[22:23], s[10:11], s[24:25]
	s_add_nc_u64 s[26:27], s[24:25], 1
	s_sub_co_u32 s3, s20, s22
	s_cselect_b32 s7, -1, 0
	s_sub_co_i32 s9, s21, s23
	s_cmp_lg_u32 s7, 0
	s_add_nc_u64 s[28:29], s[24:25], 2
	s_sub_co_ci_u32 s9, s9, s11
	s_sub_co_u32 s14, s3, s10
	s_cselect_b32 s20, -1, 0
	s_delay_alu instid0(SALU_CYCLE_1) | instskip(SKIP_1) | instid1(SALU_CYCLE_1)
	s_cmp_lg_u32 s20, 0
	s_sub_co_ci_u32 s9, s9, 0
	s_cmp_ge_u32 s9, s11
	s_cselect_b32 s20, -1, 0
	s_cmp_ge_u32 s14, s10
	s_cselect_b32 s14, -1, 0
	s_cmp_eq_u32 s9, s11
	s_cselect_b32 s9, s14, s20
	s_delay_alu instid0(SALU_CYCLE_1) | instskip(SKIP_4) | instid1(SALU_CYCLE_1)
	s_cmp_lg_u32 s9, 0
	s_cselect_b32 s9, s28, s26
	s_cselect_b32 s14, s29, s27
	s_cmp_lg_u32 s7, 0
	s_sub_co_ci_u32 s7, s21, s23
	s_cmp_ge_u32 s7, s11
	s_cselect_b32 s20, -1, 0
	s_cmp_ge_u32 s3, s10
	s_cselect_b32 s3, -1, 0
	s_cmp_eq_u32 s7, s11
	s_cselect_b32 s3, s3, s20
	s_delay_alu instid0(SALU_CYCLE_1) | instskip(SKIP_4) | instid1(SALU_CYCLE_1)
	s_cmp_lg_u32 s3, 0
	s_mov_b32 s3, s17
	s_cselect_b32 s11, s14, s25
	s_cselect_b32 s10, s9, s24
	s_xor_b64 s[12:13], s[12:13], 0
	s_xor_b64 s[10:11], s[10:11], s[12:13]
	s_delay_alu instid0(SALU_CYCLE_1)
	s_sub_nc_u64 s[20:21], s[10:11], s[12:13]
	s_and_not1_b32 vcc_lo, exec_lo, s3
	s_cbranch_vccnz .LBB36_3
.LBB36_2:
	v_cvt_f32_u32_e32 v1, s16
	s_sub_co_i32 s7, 0, s16
	s_mov_b32 s21, 0
	s_delay_alu instid0(VALU_DEP_1) | instskip(SKIP_1) | instid1(TRANS32_DEP_1)
	v_rcp_iflag_f32_e32 v1, v1
	v_nop
	v_mul_f32_e32 v1, 0x4f7ffffe, v1
	s_delay_alu instid0(VALU_DEP_1) | instskip(NEXT) | instid1(VALU_DEP_1)
	v_cvt_u32_f32_e32 v1, v1
	v_readfirstlane_b32 s3, v1
	s_mul_i32 s7, s7, s3
	s_delay_alu instid0(SALU_CYCLE_1) | instskip(NEXT) | instid1(SALU_CYCLE_1)
	s_mul_hi_u32 s7, s3, s7
	s_add_co_i32 s3, s3, s7
	s_delay_alu instid0(SALU_CYCLE_1) | instskip(NEXT) | instid1(SALU_CYCLE_1)
	s_mul_hi_u32 s3, s8, s3
	s_mul_i32 s7, s3, s16
	s_delay_alu instid0(SALU_CYCLE_1)
	s_sub_co_i32 s7, s8, s7
	s_add_co_i32 s8, s3, 1
	s_sub_co_i32 s9, s7, s16
	s_cmp_ge_u32 s7, s16
	s_cselect_b32 s3, s8, s3
	s_cselect_b32 s7, s9, s7
	s_add_co_i32 s8, s3, 1
	s_cmp_ge_u32 s7, s16
	s_cselect_b32 s20, s8, s3
.LBB36_3:
	s_add_co_i32 s8, s2, 1
	s_delay_alu instid0(SALU_CYCLE_1) | instskip(NEXT) | instid1(SALU_CYCLE_1)
	s_ashr_i32 s9, s8, 31
	s_mul_u64 s[8:9], s[18:19], s[8:9]
	s_delay_alu instid0(SALU_CYCLE_1) | instskip(NEXT) | instid1(SALU_CYCLE_1)
	s_and_b64 s[10:11], s[8:9], 0xffffffff00000000
	s_cmp_lg_u64 s[10:11], 0
	s_cbranch_scc0 .LBB36_22
; %bb.4:
	s_add_nc_u64 s[10:11], s[16:17], 0
	s_delay_alu instid0(SALU_CYCLE_1) | instskip(SKIP_4) | instid1(SALU_CYCLE_2)
	s_xor_b64 s[12:13], s[10:11], 0
	s_mov_b32 s11, 0
	s_cvt_f32_u32 s3, s12
	s_cvt_f32_u32 s7, s13
	s_sub_nc_u64 s[24:25], 0, s[12:13]
	s_fmamk_f32 s3, s7, 0x4f800000, s3
	s_delay_alu instid0(SALU_CYCLE_3) | instskip(NEXT) | instid1(TRANS32_DEP_1)
	v_s_rcp_f32 s3, s3
	s_mul_f32 s3, s3, 0x5f7ffffc
	s_delay_alu instid0(SALU_CYCLE_3) | instskip(NEXT) | instid1(SALU_CYCLE_3)
	s_mul_f32 s7, s3, 0x2f800000
	s_trunc_f32 s7, s7
	s_delay_alu instid0(SALU_CYCLE_3) | instskip(SKIP_1) | instid1(SALU_CYCLE_2)
	s_fmamk_f32 s3, s7, 0xcf800000, s3
	s_cvt_u32_f32 s23, s7
	s_cvt_u32_f32 s22, s3
	s_delay_alu instid0(SALU_CYCLE_3) | instskip(NEXT) | instid1(SALU_CYCLE_1)
	s_mul_u64 s[26:27], s[24:25], s[22:23]
	s_mul_hi_u32 s29, s22, s27
	s_mul_i32 s28, s22, s27
	s_mul_hi_u32 s10, s22, s26
	s_mul_i32 s7, s23, s26
	s_add_nc_u64 s[28:29], s[10:11], s[28:29]
	s_mul_hi_u32 s3, s23, s26
	s_mul_hi_u32 s14, s23, s27
	s_add_co_u32 s7, s28, s7
	s_add_co_ci_u32 s10, s29, s3
	s_mul_i32 s26, s23, s27
	s_add_co_ci_u32 s27, s14, 0
	s_delay_alu instid0(SALU_CYCLE_1) | instskip(NEXT) | instid1(SALU_CYCLE_1)
	s_add_nc_u64 s[26:27], s[10:11], s[26:27]
	s_add_co_u32 s22, s22, s26
	s_cselect_b32 s3, -1, 0
	s_delay_alu instid0(SALU_CYCLE_1) | instskip(SKIP_1) | instid1(SALU_CYCLE_1)
	s_cmp_lg_u32 s3, 0
	s_add_co_ci_u32 s23, s23, s27
	s_mul_u64 s[24:25], s[24:25], s[22:23]
	s_delay_alu instid0(SALU_CYCLE_1)
	s_mul_hi_u32 s27, s22, s25
	s_mul_i32 s26, s22, s25
	s_mul_hi_u32 s10, s22, s24
	s_mul_i32 s7, s23, s24
	s_add_nc_u64 s[26:27], s[10:11], s[26:27]
	s_mul_hi_u32 s3, s23, s24
	s_mul_hi_u32 s14, s23, s25
	s_add_co_u32 s7, s26, s7
	s_add_co_ci_u32 s10, s27, s3
	s_mul_i32 s24, s23, s25
	s_add_co_ci_u32 s25, s14, 0
	s_delay_alu instid0(SALU_CYCLE_1) | instskip(NEXT) | instid1(SALU_CYCLE_1)
	s_add_nc_u64 s[24:25], s[10:11], s[24:25]
	s_add_co_u32 s3, s22, s24
	s_cselect_b32 s7, -1, 0
	s_delay_alu instid0(SALU_CYCLE_1) | instskip(SKIP_2) | instid1(SALU_CYCLE_1)
	s_cmp_lg_u32 s7, 0
	s_add_co_ci_u32 s7, s23, s25
	s_ashr_i32 s22, s9, 31
	s_mov_b32 s23, s22
	s_delay_alu instid0(SALU_CYCLE_1) | instskip(NEXT) | instid1(SALU_CYCLE_1)
	s_add_nc_u64 s[24:25], s[8:9], s[22:23]
	s_xor_b64 s[24:25], s[24:25], s[22:23]
	s_delay_alu instid0(SALU_CYCLE_1)
	s_mul_hi_u32 s27, s24, s7
	s_mul_i32 s26, s24, s7
	s_mul_hi_u32 s10, s24, s3
	s_mul_hi_u32 s14, s25, s3
	s_mul_i32 s3, s25, s3
	s_add_nc_u64 s[26:27], s[10:11], s[26:27]
	s_mul_hi_u32 s9, s25, s7
	s_add_co_u32 s3, s26, s3
	s_add_co_ci_u32 s10, s27, s14
	s_mul_i32 s28, s25, s7
	s_add_co_ci_u32 s29, s9, 0
	s_delay_alu instid0(SALU_CYCLE_1) | instskip(NEXT) | instid1(SALU_CYCLE_1)
	s_add_nc_u64 s[26:27], s[10:11], s[28:29]
	s_and_b64 s[28:29], s[26:27], 0xffffffff00000000
	s_delay_alu instid0(SALU_CYCLE_1) | instskip(NEXT) | instid1(SALU_CYCLE_1)
	s_or_b32 s28, s28, s26
	s_mul_u64 s[26:27], s[12:13], s[28:29]
	s_add_nc_u64 s[30:31], s[28:29], 1
	s_sub_co_u32 s3, s24, s26
	s_cselect_b32 s7, -1, 0
	s_sub_co_i32 s9, s25, s27
	s_cmp_lg_u32 s7, 0
	s_add_nc_u64 s[34:35], s[28:29], 2
	s_sub_co_ci_u32 s9, s9, s13
	s_sub_co_u32 s10, s3, s12
	s_cselect_b32 s14, -1, 0
	s_delay_alu instid0(SALU_CYCLE_1) | instskip(SKIP_1) | instid1(SALU_CYCLE_1)
	s_cmp_lg_u32 s14, 0
	s_sub_co_ci_u32 s9, s9, 0
	s_cmp_ge_u32 s9, s13
	s_cselect_b32 s14, -1, 0
	s_cmp_ge_u32 s10, s12
	s_cselect_b32 s10, -1, 0
	s_cmp_eq_u32 s9, s13
	s_cselect_b32 s9, s10, s14
	s_delay_alu instid0(SALU_CYCLE_1) | instskip(SKIP_4) | instid1(SALU_CYCLE_1)
	s_cmp_lg_u32 s9, 0
	s_cselect_b32 s9, s34, s30
	s_cselect_b32 s10, s35, s31
	s_cmp_lg_u32 s7, 0
	s_sub_co_ci_u32 s7, s25, s27
	s_cmp_ge_u32 s7, s13
	s_cselect_b32 s14, -1, 0
	s_cmp_ge_u32 s3, s12
	s_cselect_b32 s3, -1, 0
	s_cmp_eq_u32 s7, s13
	s_cselect_b32 s3, s3, s14
	s_delay_alu instid0(SALU_CYCLE_1) | instskip(SKIP_3) | instid1(SALU_CYCLE_1)
	s_cmp_lg_u32 s3, 0
	s_cselect_b32 s13, s10, s29
	s_cselect_b32 s12, s9, s28
	s_xor_b64 s[22:23], s[22:23], 0
	s_xor_b64 s[12:13], s[12:13], s[22:23]
	s_delay_alu instid0(SALU_CYCLE_1)
	s_sub_nc_u64 s[24:25], s[12:13], s[22:23]
	s_load_b96 s[12:14], s[0:1], 0x44
	s_cbranch_execnz .LBB36_6
.LBB36_5:
	v_cvt_f32_u32_e32 v1, s16
	s_sub_co_i32 s7, 0, s16
	s_delay_alu instid0(VALU_DEP_1) | instskip(SKIP_1) | instid1(TRANS32_DEP_1)
	v_rcp_iflag_f32_e32 v1, v1
	v_nop
	v_mul_f32_e32 v1, 0x4f7ffffe, v1
	s_delay_alu instid0(VALU_DEP_1) | instskip(NEXT) | instid1(VALU_DEP_1)
	v_cvt_u32_f32_e32 v1, v1
	v_readfirstlane_b32 s3, v1
	s_mul_i32 s7, s7, s3
	s_delay_alu instid0(SALU_CYCLE_1) | instskip(NEXT) | instid1(SALU_CYCLE_1)
	s_mul_hi_u32 s7, s3, s7
	s_add_co_i32 s3, s3, s7
	s_delay_alu instid0(SALU_CYCLE_1) | instskip(NEXT) | instid1(SALU_CYCLE_1)
	s_mul_hi_u32 s3, s8, s3
	s_mul_i32 s7, s3, s16
	s_delay_alu instid0(SALU_CYCLE_1)
	s_sub_co_i32 s7, s8, s7
	s_add_co_i32 s8, s3, 1
	s_sub_co_i32 s9, s7, s16
	s_cmp_ge_u32 s7, s16
	s_cselect_b32 s3, s8, s3
	s_cselect_b32 s7, s9, s7
	s_add_co_i32 s8, s3, 1
	s_cmp_ge_u32 s7, s16
	s_cselect_b32 s24, s8, s3
.LBB36_6:
	s_delay_alu instid0(SALU_CYCLE_1)
	s_cmp_eq_u32 s20, s24
	s_mov_b64 s[8:9], 0xffffffff
	s_cselect_b32 s3, -1, 0
	s_and_b64 s[8:9], s[20:21], s[8:9]
	s_mov_b32 s23, 0
	s_wait_kmcnt 0x0
	s_mov_b32 s22, s12
	s_mov_b32 s25, s23
	s_mul_u64 s[10:11], s[8:9], s[22:23]
	s_delay_alu instid0(SALU_CYCLE_1) | instskip(SKIP_2) | instid1(SALU_CYCLE_1)
	s_add_co_i32 s7, s11, s20
	s_mul_u64 s[10:11], s[24:25], s[22:23]
	s_lshr_b32 s12, s7, s13
	s_mul_i32 s7, s12, s14
	s_delay_alu instid0(SALU_CYCLE_1) | instskip(SKIP_2) | instid1(SALU_CYCLE_1)
	s_cmp_eq_u32 s7, s20
	s_cselect_b32 s7, -1, 0
	s_add_co_i32 s10, s11, s24
	s_lshr_b32 s10, s10, s13
	s_delay_alu instid0(SALU_CYCLE_1)
	s_cmp_eq_u32 s12, s10
	s_mul_i32 s10, s10, s14
	s_cselect_b32 s11, -1, 0
	s_cmp_lg_u32 s10, s24
	s_cselect_b32 s10, -1, 0
	s_or_b32 s3, s3, s7
	s_and_b32 s10, s11, s10
	s_delay_alu instid0(SALU_CYCLE_1) | instskip(NEXT) | instid1(SALU_CYCLE_1)
	s_or_b32 s3, s3, s10
	s_and_b32 vcc_lo, exec_lo, s3
	s_cbranch_vccnz .LBB36_24
; %bb.7:
	s_load_b256 s[24:31], s[0:1], 0x20
	s_bfe_u32 s7, ttmp6, 0x40014
	s_bfe_u32 s33, ttmp6, 0x40010
	s_lshr_b32 s3, ttmp7, 16
	s_add_co_i32 s7, s7, 1
	s_and_b32 s21, ttmp7, 0xffff
	s_add_co_i32 s33, s33, 1
	s_bfe_u32 s10, ttmp6, 0x40008
	s_mul_i32 s7, s3, s7
	s_bfe_u32 s34, ttmp6, 0x40004
	s_mul_i32 s33, s21, s33
	s_mov_b32 s11, s23
	s_add_co_i32 s35, s10, s7
	s_add_co_i32 s34, s34, s33
	s_cmp_eq_u32 s15, 0
	s_cselect_b32 s7, s21, s34
	s_cselect_b32 s3, s3, s35
	s_wait_kmcnt 0x0
	s_mov_b32 s10, s24
	s_delay_alu instid0(SALU_CYCLE_1) | instskip(NEXT) | instid1(SALU_CYCLE_1)
	s_mul_u64 s[8:9], s[8:9], s[10:11]
	s_add_co_i32 s8, s9, s20
	s_load_b32 s9, s[0:1], 0x40
	s_lshr_b32 s8, s8, s25
	s_delay_alu instid0(SALU_CYCLE_1) | instskip(NEXT) | instid1(SALU_CYCLE_1)
	s_mul_i32 s10, s8, s26
	s_sub_co_i32 s10, s20, s10
	s_delay_alu instid0(SALU_CYCLE_1) | instskip(NEXT) | instid1(SALU_CYCLE_1)
	s_mul_hi_u32 s11, s10, s27
	s_add_co_i32 s11, s10, s11
	s_delay_alu instid0(SALU_CYCLE_1) | instskip(NEXT) | instid1(SALU_CYCLE_1)
	s_lshr_b32 s15, s11, s28
	s_mul_i32 s11, s15, s29
	s_delay_alu instid0(SALU_CYCLE_1) | instskip(NEXT) | instid1(SALU_CYCLE_1)
	s_sub_co_i32 s10, s10, s11
	s_mul_hi_u32 s11, s10, s30
	s_delay_alu instid0(SALU_CYCLE_1) | instskip(NEXT) | instid1(SALU_CYCLE_1)
	s_add_co_i32 s11, s10, s11
	s_lshr_b32 s26, s11, s31
	s_mov_b32 s11, s23
	s_wait_kmcnt 0x0
	s_mul_i32 s9, s26, s9
	s_delay_alu instid0(SALU_CYCLE_1) | instskip(NEXT) | instid1(SALU_CYCLE_1)
	s_sub_co_i32 s10, s10, s9
	s_mul_u64 s[24:25], s[10:11], s[22:23]
	s_lshl_b32 s24, s26, 1
	s_add_co_i32 s9, s10, s25
	s_delay_alu instid0(SALU_CYCLE_1) | instskip(NEXT) | instid1(SALU_CYCLE_1)
	s_lshr_b32 s21, s9, s13
	s_lshl_b32 s9, s21, 5
	s_delay_alu instid0(SALU_CYCLE_1) | instskip(NEXT) | instid1(SALU_CYCLE_1)
	s_add_co_i32 s9, s9, s7
	s_cmp_lt_i32 s9, s4
	s_cselect_b32 s9, -1, 0
	s_add_co_i32 s10, s24, s3
	s_delay_alu instid0(SALU_CYCLE_1) | instskip(SKIP_1) | instid1(SALU_CYCLE_1)
	s_cmp_lt_i32 s10, s6
	s_cselect_b32 s10, -1, 0
	s_and_b32 s9, s9, s10
	s_delay_alu instid0(SALU_CYCLE_1)
	s_and_not1_b32 vcc_lo, exec_lo, s9
	s_cbranch_vccnz .LBB36_24
; %bb.8:
	s_mul_i32 s4, s8, s4
	s_load_b128 s[8:11], s[0:1], 0x0
	s_wait_xcnt 0x0
	s_add_co_i32 s0, s4, s7
	s_mul_i32 s15, s15, s6
	s_mul_i32 s0, s0, s5
	;; [unrolled: 1-line block ×3, first 2 shown]
	s_add_co_i32 s0, s0, s3
	s_lshl_b32 s1, s1, 12
	s_add_co_i32 s0, s0, s15
	s_lshl_b32 s15, s7, 1
	s_add_co_i32 s0, s0, s24
	s_add_co_i32 s15, s15, s3
	s_lshl_b32 s0, s0, 7
	v_lshl_or_b32 v6, s15, 7, v0
	s_add_co_i32 s1, s1, s0
	v_cvt_f32_u32_e32 v4, s16
	v_or_b32_e32 v2, s1, v0
	s_add_nc_u64 s[0:1], s[16:17], 0
	s_lshl_b32 s24, s16, 8
	s_xor_b64 s[6:7], s[0:1], 0
	s_lshl_b32 s0, s2, 6
	s_cvt_f32_u32 s3, s6
	s_add_co_i32 s0, s15, s0
	s_cvt_f32_u32 s4, s7
	s_ashr_i32 s1, s0, 31
	v_rcp_iflag_f32_e32 v4, v4
	s_lshl_b64 s[0:1], s[0:1], 3
	s_fmamk_f32 s3, s4, 0x4f800000, s3
	s_wait_kmcnt 0x0
	s_add_nc_u64 s[0:1], s[10:11], s[0:1]
	s_mov_b32 s25, 0
	s_load_b64 s[28:29], s[0:1], 0x0
	v_s_rcp_f32 s3, s3
	s_wait_xcnt 0x0
	s_lshl_b64 s[0:1], s[24:25], 2
	s_add_co_i32 s36, s2, -1
	s_add_nc_u64 s[26:27], s[10:11], s[0:1]
	s_sub_nc_u64 s[34:35], 0, s[6:7]
	v_mul_f32_e32 v4, 0x4f7ffffe, v4
	s_delay_alu instid0(TRANS32_DEP_1) | instskip(NEXT) | instid1(VALU_DEP_1)
	s_mul_f32 s3, s3, 0x5f7ffffc
	v_cvt_u32_f32_e32 v7, v4
	s_delay_alu instid0(SALU_CYCLE_2) | instskip(NEXT) | instid1(SALU_CYCLE_3)
	s_mul_f32 s4, s3, 0x2f800000
	s_trunc_f32 s4, s4
	s_wait_kmcnt 0x0
	v_mov_b32_e32 v0, s29
	global_load_b32 v1, v2, s[8:9] scale_offset
	v_ashrrev_i32_e32 v3, 31, v2
	s_fmamk_f32 s0, s4, 0xcf800000, s3
	s_cvt_u32_f32 s31, s4
	s_wait_xcnt 0x0
	s_delay_alu instid0(VALU_DEP_1)
	v_lshl_add_u64 v[2:3], v[2:3], 2, s[8:9]
	s_cvt_u32_f32 s30, s0
	s_mov_b64 s[8:9], 0xffffffff
.LBB36_9:                               ; =>This Inner Loop Header: Depth=1
	s_ashr_i32 s37, s36, 31
                                        ; implicit-def: $sgpr40_sgpr41
	s_delay_alu instid0(SALU_CYCLE_1) | instskip(NEXT) | instid1(SALU_CYCLE_1)
	s_mul_u64 s[0:1], s[36:37], s[18:19]
	s_and_b64 s[2:3], s[0:1], 0xffffffff00000000
	s_delay_alu instid0(SALU_CYCLE_1)
	s_cmp_lg_u64 s[2:3], 0
	s_mov_b32 s2, -1
	s_cbranch_scc0 .LBB36_11
; %bb.10:                               ;   in Loop: Header=BB36_9 Depth=1
	s_mul_u64 s[2:3], s[34:35], s[30:31]
	s_delay_alu instid0(SALU_CYCLE_1)
	s_mul_hi_u32 s5, s30, s3
	s_mul_i32 s4, s30, s3
	s_mul_hi_u32 s24, s30, s2
	s_mul_hi_u32 s17, s31, s2
	s_add_nc_u64 s[4:5], s[24:25], s[4:5]
	s_mul_i32 s2, s31, s2
	s_mul_hi_u32 s21, s31, s3
	s_add_co_u32 s2, s4, s2
	s_add_co_ci_u32 s24, s5, s17
	s_add_co_ci_u32 s5, s21, 0
	s_mul_i32 s4, s31, s3
	s_delay_alu instid0(SALU_CYCLE_1) | instskip(NEXT) | instid1(SALU_CYCLE_1)
	s_add_nc_u64 s[2:3], s[24:25], s[4:5]
	s_add_co_u32 s2, s30, s2
	s_cselect_b32 s4, -1, 0
	s_delay_alu instid0(SALU_CYCLE_1) | instskip(SKIP_1) | instid1(SALU_CYCLE_1)
	s_cmp_lg_u32 s4, 0
	s_add_co_ci_u32 s3, s31, s3
	s_mul_u64 s[4:5], s[34:35], s[2:3]
	s_delay_alu instid0(SALU_CYCLE_1)
	s_mul_hi_u32 s39, s2, s5
	s_mul_i32 s38, s2, s5
	s_mul_hi_u32 s24, s2, s4
	s_mul_hi_u32 s17, s3, s4
	s_mul_i32 s4, s3, s4
	s_add_nc_u64 s[38:39], s[24:25], s[38:39]
	s_mul_hi_u32 s21, s3, s5
	s_add_co_u32 s4, s38, s4
	s_add_co_ci_u32 s24, s39, s17
	s_mul_i32 s4, s3, s5
	s_add_co_ci_u32 s5, s21, 0
	s_delay_alu instid0(SALU_CYCLE_1) | instskip(NEXT) | instid1(SALU_CYCLE_1)
	s_add_nc_u64 s[4:5], s[24:25], s[4:5]
	s_add_co_u32 s17, s2, s4
	s_cselect_b32 s2, -1, 0
	s_delay_alu instid0(SALU_CYCLE_1) | instskip(SKIP_2) | instid1(SALU_CYCLE_1)
	s_cmp_lg_u32 s2, 0
	s_add_co_ci_u32 s21, s3, s5
	s_ashr_i32 s2, s1, 31
	s_mov_b32 s3, s2
	s_delay_alu instid0(SALU_CYCLE_1) | instskip(NEXT) | instid1(SALU_CYCLE_1)
	s_add_nc_u64 s[4:5], s[0:1], s[2:3]
	s_xor_b64 s[4:5], s[4:5], s[2:3]
	s_delay_alu instid0(SALU_CYCLE_1)
	s_mul_hi_u32 s39, s4, s21
	s_mul_i32 s38, s4, s21
	s_mul_hi_u32 s24, s4, s17
	s_mul_hi_u32 s29, s5, s17
	s_mul_i32 s17, s5, s17
	s_add_nc_u64 s[38:39], s[24:25], s[38:39]
	s_mul_hi_u32 s1, s5, s21
	s_add_co_u32 s17, s38, s17
	s_add_co_ci_u32 s24, s39, s29
	s_mul_i32 s40, s5, s21
	s_add_co_ci_u32 s41, s1, 0
	s_delay_alu instid0(SALU_CYCLE_1) | instskip(NEXT) | instid1(SALU_CYCLE_1)
	s_add_nc_u64 s[38:39], s[24:25], s[40:41]
	s_and_b64 s[40:41], s[38:39], 0xffffffff00000000
	s_delay_alu instid0(SALU_CYCLE_1) | instskip(NEXT) | instid1(SALU_CYCLE_1)
	s_or_b32 s40, s40, s38
	s_mul_u64 s[38:39], s[6:7], s[40:41]
	s_add_nc_u64 s[42:43], s[40:41], 1
	s_sub_co_u32 s1, s4, s38
	s_cselect_b32 s4, -1, 0
	s_sub_co_i32 s17, s5, s39
	s_cmp_lg_u32 s4, 0
	s_add_nc_u64 s[44:45], s[40:41], 2
	s_sub_co_ci_u32 s17, s17, s7
	s_sub_co_u32 s21, s1, s6
	s_cselect_b32 s24, -1, 0
	s_delay_alu instid0(SALU_CYCLE_1) | instskip(SKIP_1) | instid1(SALU_CYCLE_1)
	s_cmp_lg_u32 s24, 0
	s_sub_co_ci_u32 s17, s17, 0
	s_cmp_ge_u32 s17, s7
	s_cselect_b32 s24, -1, 0
	s_cmp_ge_u32 s21, s6
	s_cselect_b32 s21, -1, 0
	s_cmp_eq_u32 s17, s7
	s_cselect_b32 s17, s21, s24
	s_delay_alu instid0(SALU_CYCLE_1) | instskip(SKIP_4) | instid1(SALU_CYCLE_1)
	s_cmp_lg_u32 s17, 0
	s_cselect_b32 s17, s44, s42
	s_cselect_b32 s21, s45, s43
	s_cmp_lg_u32 s4, 0
	s_sub_co_ci_u32 s4, s5, s39
	s_cmp_ge_u32 s4, s7
	s_cselect_b32 s5, -1, 0
	s_cmp_ge_u32 s1, s6
	s_cselect_b32 s1, -1, 0
	s_cmp_eq_u32 s4, s7
	s_cselect_b32 s1, s1, s5
	s_delay_alu instid0(SALU_CYCLE_1) | instskip(SKIP_3) | instid1(SALU_CYCLE_1)
	s_cmp_lg_u32 s1, 0
	s_cselect_b32 s5, s21, s41
	s_cselect_b32 s4, s17, s40
	s_xor_b64 s[2:3], s[2:3], 0
	s_xor_b64 s[4:5], s[4:5], s[2:3]
	s_delay_alu instid0(SALU_CYCLE_1)
	s_sub_nc_u64 s[40:41], s[4:5], s[2:3]
	s_mov_b32 s2, 0
.LBB36_11:                              ;   in Loop: Header=BB36_9 Depth=1
	s_delay_alu instid0(SALU_CYCLE_1)
	s_and_not1_b32 vcc_lo, exec_lo, s2
	s_cbranch_vccnz .LBB36_13
; %bb.12:                               ;   in Loop: Header=BB36_9 Depth=1
	v_readfirstlane_b32 s1, v7
	s_sub_co_i32 s2, 0, s16
	s_delay_alu instid0(SALU_CYCLE_1) | instskip(NEXT) | instid1(SALU_CYCLE_1)
	s_mul_i32 s2, s2, s1
	s_mul_hi_u32 s2, s1, s2
	s_delay_alu instid0(SALU_CYCLE_1) | instskip(NEXT) | instid1(SALU_CYCLE_1)
	s_add_co_i32 s1, s1, s2
	s_mul_hi_u32 s1, s0, s1
	s_delay_alu instid0(SALU_CYCLE_1) | instskip(NEXT) | instid1(SALU_CYCLE_1)
	s_mul_i32 s2, s1, s16
	s_sub_co_i32 s0, s0, s2
	s_add_co_i32 s2, s1, 1
	s_sub_co_i32 s3, s0, s16
	s_cmp_ge_u32 s0, s16
	s_cselect_b32 s1, s2, s1
	s_cselect_b32 s0, s3, s0
	s_add_co_i32 s2, s1, 1
	s_cmp_ge_u32 s0, s16
	s_cselect_b32 s24, s2, s1
	s_delay_alu instid0(SALU_CYCLE_1)
	s_mov_b64 s[40:41], s[24:25]
.LBB36_13:                              ;   in Loop: Header=BB36_9 Depth=1
	s_delay_alu instid0(SALU_CYCLE_1)
	s_cmp_lg_u32 s20, s40
	s_mov_b32 s0, -1
                                        ; implicit-def: $vgpr4_vgpr5
                                        ; implicit-def: $sgpr24
                                        ; implicit-def: $sgpr17
                                        ; implicit-def: $sgpr21
                                        ; implicit-def: $sgpr29
	s_cbranch_scc0 .LBB36_18
; %bb.14:                               ;   in Loop: Header=BB36_9 Depth=1
	s_add_co_i32 s0, s36, s16
	v_max_num_f32_e64 v4, s28, s28
	s_lshl_b32 s0, s0, 6
	s_mov_b32 s29, s20
	s_add_co_i32 s0, s0, s15
	s_load_b64 s[38:39], s[10:11], s0 offset:0x0 scale_offset
	s_wait_xcnt 0x0
	v_readfirstlane_b32 s0, v4
	s_wait_kmcnt 0x0
	v_max_num_f32_e64 v5, s38, s38
	s_delay_alu instid0(VALU_DEP_1) | instskip(SKIP_1) | instid1(SALU_CYCLE_3)
	v_readfirstlane_b32 s1, v5
	s_max_num_f32 s17, s0, s1
	s_sub_f32 s33, s28, s17
	s_sub_f32 s37, s38, s17
	s_delay_alu instid0(SALU_CYCLE_2)
	s_cmp_nlt_f32 s33, 0xc2ce8ed0
	s_cselect_b32 s1, -1, 0
	s_cmp_ngt_f32 s33, 0x42b17218
	s_cselect_b32 s2, -1, 0
	s_cmp_ge_f32 s33, 0xc1a00000
	s_cselect_b32 s0, -1, 0
	s_cmp_nlt_f32 s37, 0xc2ce8ed0
	s_cselect_b32 s3, -1, 0
	s_cmp_ngt_f32 s37, 0x42b17218
	s_cselect_b32 s4, -1, 0
	s_cmp_ge_f32 s37, 0xc1a00000
	s_cselect_b32 s5, -1, 0
	s_and_b64 s[42:43], s[40:41], s[8:9]
	s_delay_alu instid0(SALU_CYCLE_1) | instskip(NEXT) | instid1(SALU_CYCLE_1)
	s_mul_u64 s[42:43], s[42:43], s[22:23]
	s_add_co_i32 s21, s43, s40
	s_delay_alu instid0(SALU_CYCLE_1) | instskip(NEXT) | instid1(SALU_CYCLE_1)
	s_lshr_b32 s21, s21, s13
	s_mul_i32 s24, s21, s14
	s_delay_alu instid0(SALU_CYCLE_1) | instskip(SKIP_3) | instid1(SALU_CYCLE_1)
	s_cmp_eq_u32 s24, s40
	s_cselect_b32 s24, -1, 0
	s_cmp_lt_u32 s21, s12
	s_cselect_b32 s21, -1, 0
	s_or_b32 s21, s21, s24
	s_mov_b32 s24, -1
	s_and_b32 vcc_lo, exec_lo, s21
	s_mov_b32 s21, s36
	s_cbranch_vccnz .LBB36_16
; %bb.15:                               ;   in Loop: Header=BB36_9 Depth=1
	s_add_co_i32 s21, s36, -1
	s_mov_b32 s24, 0
	s_mov_b32 s29, s40
.LBB36_16:                              ;   in Loop: Header=BB36_9 Depth=1
	v_lshl_add_u32 v4, s36, 13, v6
	s_mul_f32 s40, s33, 0x3fb8aa3b
	s_mul_f32 s38, s37, 0x3fb8aa3b
	s_delay_alu instid0(SALU_CYCLE_2)
	s_xor_b32 s42, s40, 0x80000000
	global_load_b32 v5, v4, s[26:27] scale_offset
	s_fmamk_f32 s42, s33, 0x3fb8aa3b, s42
	s_rndne_f32 s44, s40
	s_xor_b32 s41, s38, 0x80000000
	s_rndne_f32 s43, s38
	s_fmamk_f32 s33, s33, 0x32a5705f, s42
	s_sub_f32 s40, s40, s44
	s_fmamk_f32 s41, s37, 0x3fb8aa3b, s41
	s_sub_f32 s38, s38, s43
	s_delay_alu instid0(SALU_CYCLE_1) | instskip(NEXT) | instid1(SALU_CYCLE_1)
	s_add_f32 s33, s40, s33
	s_fmamk_f32 s37, s37, 0x32a5705f, s41
	s_cvt_i32_f32 s40, s44
	s_delay_alu instid0(SALU_CYCLE_1) | instskip(NEXT) | instid1(SALU_CYCLE_1)
	v_s_exp_f32 s33, s33
	s_add_f32 s37, s38, s37
	s_cvt_i32_f32 s38, s43
	s_delay_alu instid0(SALU_CYCLE_2) | instskip(NEXT) | instid1(TRANS32_DEP_2)
	v_s_exp_f32 s37, s37
	v_ldexp_f32 v8, s33, s40
	s_wait_xcnt 0x0
	s_delay_alu instid0(TRANS32_DEP_1) | instskip(NEXT) | instid1(VALU_DEP_2)
	v_ldexp_f32 v4, s37, s38
	v_cndmask_b32_e64 v8, 0, v8, s1
	s_delay_alu instid0(VALU_DEP_1) | instskip(NEXT) | instid1(VALU_DEP_1)
	v_cndmask_b32_e64 v9, 0x7f800000, v8, s2
	v_dual_cndmask_b32 v4, 0, v4, s3 :: v_dual_cndmask_b32 v10, 0, v9, s0
	s_delay_alu instid0(VALU_DEP_1) | instskip(NEXT) | instid1(VALU_DEP_1)
	v_cndmask_b32_e64 v4, 0x7f800000, v4, s4
	v_dual_cndmask_b32 v8, 0, v4, s5 :: v_dual_mov_b32 v4, s39
	s_wait_loadcnt 0x0
	s_delay_alu instid0(VALU_DEP_1) | instskip(NEXT) | instid1(VALU_DEP_1)
	v_pk_mul_f32 v[4:5], v[4:5], v[8:9] op_sel_hi:[1,0]
	v_pk_fma_f32 v[4:5], v[0:1], v[10:11], v[4:5] op_sel_hi:[1,0,1]
	s_cbranch_execz .LBB36_19
.LBB36_17:                              ;   in Loop: Header=BB36_9 Depth=1
	s_and_not1_b32 vcc_lo, exec_lo, s24
	s_cbranch_vccnz .LBB36_20
	s_branch .LBB36_23
.LBB36_18:                              ;   in Loop: Header=BB36_9 Depth=1
	s_and_not1_b32 vcc_lo, exec_lo, s0
	s_cbranch_vccnz .LBB36_17
.LBB36_19:                              ;   in Loop: Header=BB36_9 Depth=1
	s_wait_loadcnt 0x0
	v_mov_b64_e32 v[4:5], v[0:1]
	s_add_co_i32 s21, s36, -1
	s_mov_b32 s29, s20
	s_mov_b32 s17, s28
	s_cbranch_execz .LBB36_23
.LBB36_20:                              ;   in Loop: Header=BB36_9 Depth=1
	s_wait_loadcnt 0x0
	s_delay_alu instid0(VALU_DEP_1)
	v_mov_b64_e32 v[0:1], v[4:5]
	s_mov_b32 s20, s29
	s_mov_b32 s36, s21
	;; [unrolled: 1-line block ×3, first 2 shown]
	s_branch .LBB36_9
.LBB36_21:
                                        ; implicit-def: $sgpr20_sgpr21
	s_branch .LBB36_2
.LBB36_22:
                                        ; implicit-def: $sgpr24_sgpr25
	s_load_b96 s[12:14], s[0:1], 0x44
	s_branch .LBB36_5
.LBB36_23:
	s_delay_alu instid0(VALU_DEP_1) | instskip(SKIP_1) | instid1(VALU_DEP_1)
	v_div_scale_f32 v0, null, v4, v4, v5
	s_wait_loadcnt 0x0
	v_rcp_f32_e32 v1, v0
	v_nop
	s_delay_alu instid0(TRANS32_DEP_1) | instskip(NEXT) | instid1(VALU_DEP_1)
	v_fma_f32 v6, -v0, v1, 1.0
	v_fmac_f32_e32 v1, v6, v1
	v_div_scale_f32 v6, vcc_lo, v5, v4, v5
	s_delay_alu instid0(VALU_DEP_1) | instskip(NEXT) | instid1(VALU_DEP_1)
	v_mul_f32_e32 v7, v6, v1
	v_fma_f32 v8, -v0, v7, v6
	s_delay_alu instid0(VALU_DEP_1) | instskip(NEXT) | instid1(VALU_DEP_1)
	v_fmac_f32_e32 v7, v8, v1
	v_fma_f32 v0, -v0, v7, v6
	s_delay_alu instid0(VALU_DEP_1) | instskip(NEXT) | instid1(VALU_DEP_1)
	v_div_fmas_f32 v0, v0, v1, v7
	v_div_fixup_f32 v0, v0, v4, v5
	global_store_b32 v[2:3], v0, off
.LBB36_24:
	s_endpgm
	.section	.rodata,"a",@progbits
	.p2align	6, 0x0
	.amdhsa_kernel _ZL33flash_attn_stream_k_fixup_generalILi128ELi32ELi2EEvPfPK15HIP_vector_typeIfLj2EEiiiiS1_IjLj3EES5_S5_S5_
		.amdhsa_group_segment_fixed_size 0
		.amdhsa_private_segment_fixed_size 0
		.amdhsa_kernarg_size 336
		.amdhsa_user_sgpr_count 2
		.amdhsa_user_sgpr_dispatch_ptr 0
		.amdhsa_user_sgpr_queue_ptr 0
		.amdhsa_user_sgpr_kernarg_segment_ptr 1
		.amdhsa_user_sgpr_dispatch_id 0
		.amdhsa_user_sgpr_kernarg_preload_length 0
		.amdhsa_user_sgpr_kernarg_preload_offset 0
		.amdhsa_user_sgpr_private_segment_size 0
		.amdhsa_wavefront_size32 1
		.amdhsa_uses_dynamic_stack 0
		.amdhsa_enable_private_segment 0
		.amdhsa_system_sgpr_workgroup_id_x 1
		.amdhsa_system_sgpr_workgroup_id_y 1
		.amdhsa_system_sgpr_workgroup_id_z 1
		.amdhsa_system_sgpr_workgroup_info 0
		.amdhsa_system_vgpr_workitem_id 0
		.amdhsa_next_free_vgpr 12
		.amdhsa_next_free_sgpr 46
		.amdhsa_named_barrier_count 0
		.amdhsa_reserve_vcc 1
		.amdhsa_float_round_mode_32 0
		.amdhsa_float_round_mode_16_64 0
		.amdhsa_float_denorm_mode_32 3
		.amdhsa_float_denorm_mode_16_64 3
		.amdhsa_fp16_overflow 0
		.amdhsa_memory_ordered 1
		.amdhsa_forward_progress 1
		.amdhsa_inst_pref_size 27
		.amdhsa_round_robin_scheduling 0
		.amdhsa_exception_fp_ieee_invalid_op 0
		.amdhsa_exception_fp_denorm_src 0
		.amdhsa_exception_fp_ieee_div_zero 0
		.amdhsa_exception_fp_ieee_overflow 0
		.amdhsa_exception_fp_ieee_underflow 0
		.amdhsa_exception_fp_ieee_inexact 0
		.amdhsa_exception_int_div_zero 0
	.end_amdhsa_kernel
	.section	.text._ZL33flash_attn_stream_k_fixup_generalILi128ELi32ELi2EEvPfPK15HIP_vector_typeIfLj2EEiiiiS1_IjLj3EES5_S5_S5_,"axG",@progbits,_ZL33flash_attn_stream_k_fixup_generalILi128ELi32ELi2EEvPfPK15HIP_vector_typeIfLj2EEiiiiS1_IjLj3EES5_S5_S5_,comdat
.Lfunc_end36:
	.size	_ZL33flash_attn_stream_k_fixup_generalILi128ELi32ELi2EEvPfPK15HIP_vector_typeIfLj2EEiiiiS1_IjLj3EES5_S5_S5_, .Lfunc_end36-_ZL33flash_attn_stream_k_fixup_generalILi128ELi32ELi2EEvPfPK15HIP_vector_typeIfLj2EEiiiiS1_IjLj3EES5_S5_S5_
                                        ; -- End function
	.set _ZL33flash_attn_stream_k_fixup_generalILi128ELi32ELi2EEvPfPK15HIP_vector_typeIfLj2EEiiiiS1_IjLj3EES5_S5_S5_.num_vgpr, 12
	.set _ZL33flash_attn_stream_k_fixup_generalILi128ELi32ELi2EEvPfPK15HIP_vector_typeIfLj2EEiiiiS1_IjLj3EES5_S5_S5_.num_agpr, 0
	.set _ZL33flash_attn_stream_k_fixup_generalILi128ELi32ELi2EEvPfPK15HIP_vector_typeIfLj2EEiiiiS1_IjLj3EES5_S5_S5_.numbered_sgpr, 46
	.set _ZL33flash_attn_stream_k_fixup_generalILi128ELi32ELi2EEvPfPK15HIP_vector_typeIfLj2EEiiiiS1_IjLj3EES5_S5_S5_.num_named_barrier, 0
	.set _ZL33flash_attn_stream_k_fixup_generalILi128ELi32ELi2EEvPfPK15HIP_vector_typeIfLj2EEiiiiS1_IjLj3EES5_S5_S5_.private_seg_size, 0
	.set _ZL33flash_attn_stream_k_fixup_generalILi128ELi32ELi2EEvPfPK15HIP_vector_typeIfLj2EEiiiiS1_IjLj3EES5_S5_S5_.uses_vcc, 1
	.set _ZL33flash_attn_stream_k_fixup_generalILi128ELi32ELi2EEvPfPK15HIP_vector_typeIfLj2EEiiiiS1_IjLj3EES5_S5_S5_.uses_flat_scratch, 0
	.set _ZL33flash_attn_stream_k_fixup_generalILi128ELi32ELi2EEvPfPK15HIP_vector_typeIfLj2EEiiiiS1_IjLj3EES5_S5_S5_.has_dyn_sized_stack, 0
	.set _ZL33flash_attn_stream_k_fixup_generalILi128ELi32ELi2EEvPfPK15HIP_vector_typeIfLj2EEiiiiS1_IjLj3EES5_S5_S5_.has_recursion, 0
	.set _ZL33flash_attn_stream_k_fixup_generalILi128ELi32ELi2EEvPfPK15HIP_vector_typeIfLj2EEiiiiS1_IjLj3EES5_S5_S5_.has_indirect_call, 0
	.section	.AMDGPU.csdata,"",@progbits
; Kernel info:
; codeLenInByte = 3360
; TotalNumSgprs: 48
; NumVgprs: 12
; ScratchSize: 0
; MemoryBound: 0
; FloatMode: 240
; IeeeMode: 1
; LDSByteSize: 0 bytes/workgroup (compile time only)
; SGPRBlocks: 0
; VGPRBlocks: 0
; NumSGPRsForWavesPerEU: 48
; NumVGPRsForWavesPerEU: 12
; NamedBarCnt: 0
; Occupancy: 16
; WaveLimiterHint : 0
; COMPUTE_PGM_RSRC2:SCRATCH_EN: 0
; COMPUTE_PGM_RSRC2:USER_SGPR: 2
; COMPUTE_PGM_RSRC2:TRAP_HANDLER: 0
; COMPUTE_PGM_RSRC2:TGID_X_EN: 1
; COMPUTE_PGM_RSRC2:TGID_Y_EN: 1
; COMPUTE_PGM_RSRC2:TGID_Z_EN: 1
; COMPUTE_PGM_RSRC2:TIDIG_COMP_CNT: 0
	.section	.text._ZL15flash_attn_tileILi128ELi128ELi16ELi2ELb0EEvPKcS1_S1_S1_S1_PKiPfP15HIP_vector_typeIfLj2EEffffjfiS5_IjLj3EEiiiiiiiiiiiliiliiiiil,"axG",@progbits,_ZL15flash_attn_tileILi128ELi128ELi16ELi2ELb0EEvPKcS1_S1_S1_S1_PKiPfP15HIP_vector_typeIfLj2EEffffjfiS5_IjLj3EEiiiiiiiiiiiliiliiiiil,comdat
	.globl	_ZL15flash_attn_tileILi128ELi128ELi16ELi2ELb0EEvPKcS1_S1_S1_S1_PKiPfP15HIP_vector_typeIfLj2EEffffjfiS5_IjLj3EEiiiiiiiiiiiliiliiiiil ; -- Begin function _ZL15flash_attn_tileILi128ELi128ELi16ELi2ELb0EEvPKcS1_S1_S1_S1_PKiPfP15HIP_vector_typeIfLj2EEffffjfiS5_IjLj3EEiiiiiiiiiiiliiliiiiil
	.p2align	8
	.type	_ZL15flash_attn_tileILi128ELi128ELi16ELi2ELb0EEvPKcS1_S1_S1_S1_PKiPfP15HIP_vector_typeIfLj2EEffffjfiS5_IjLj3EEiiiiiiiiiiiliiliiiiil,@function
_ZL15flash_attn_tileILi128ELi128ELi16ELi2ELb0EEvPKcS1_S1_S1_S1_PKiPfP15HIP_vector_typeIfLj2EEffffjfiS5_IjLj3EEiiiiiiiiiiiliiliiiiil: ; @_ZL15flash_attn_tileILi128ELi128ELi16ELi2ELb0EEvPKcS1_S1_S1_S1_PKiPfP15HIP_vector_typeIfLj2EEffffjfiS5_IjLj3EEiiiiiiiiiiiliiliiiiil
; %bb.0:
	s_clause 0x1
	s_load_b128 s[36:39], s[0:1], 0x5c
	s_load_b64 s[42:43], s[0:1], 0x80
	s_bfe_u32 s6, ttmp6, 0x40014
	s_lshr_b32 s5, ttmp7, 16
	s_add_co_i32 s6, s6, 1
	s_bfe_u32 s7, ttmp6, 0x40008
	s_mul_i32 s6, s5, s6
	s_getreg_b32 s4, hwreg(HW_REG_IB_STS2, 6, 4)
	s_add_co_i32 s7, s7, s6
	s_load_b512 s[16:31], s[0:1], 0x0
	s_mov_b64 s[44:45], 0
	s_wait_kmcnt 0x0
	s_lshr_b32 s2, s39, 31
	s_delay_alu instid0(SALU_CYCLE_1) | instskip(NEXT) | instid1(SALU_CYCLE_1)
	s_add_co_i32 s2, s39, s2
	s_ashr_i32 s2, s2, 1
	s_delay_alu instid0(SALU_CYCLE_1) | instskip(SKIP_1) | instid1(SALU_CYCLE_2)
	s_cvt_f32_u32 s3, s2
	s_sub_co_i32 s8, 0, s2
	v_rcp_iflag_f32_e32 v1, s3
	v_nop
	s_delay_alu instid0(TRANS32_DEP_1) | instskip(SKIP_1) | instid1(SALU_CYCLE_3)
	v_readfirstlane_b32 s3, v1
	s_mul_f32 s3, s3, 0x4f7ffffe
	s_cvt_u32_f32 s3, s3
	s_delay_alu instid0(SALU_CYCLE_3) | instskip(NEXT) | instid1(SALU_CYCLE_1)
	s_mul_i32 s8, s8, s3
	s_mul_hi_u32 s8, s3, s8
	s_delay_alu instid0(SALU_CYCLE_1) | instskip(SKIP_2) | instid1(SALU_CYCLE_1)
	s_add_co_i32 s3, s3, s8
	s_cmp_eq_u32 s4, 0
	s_cselect_b32 s5, s5, s7
	s_mul_hi_u32 s3, s5, s3
	s_delay_alu instid0(SALU_CYCLE_1) | instskip(SKIP_2) | instid1(SALU_CYCLE_1)
	s_mul_i32 s6, s3, s2
	s_add_co_i32 s7, s3, 1
	s_sub_co_i32 s6, s5, s6
	s_sub_co_i32 s8, s6, s2
	s_cmp_ge_u32 s6, s2
	s_cselect_b32 s3, s7, s3
	s_cselect_b32 s6, s8, s6
	s_add_co_i32 s7, s3, 1
	s_cmp_ge_u32 s6, s2
	s_cselect_b32 s40, s7, s3
	s_abs_i32 s2, s43
	s_abs_i32 s8, s39
	s_cvt_f32_u32 s3, s2
	s_sub_co_i32 s6, 0, s2
	s_lshl_b32 s5, s5, 1
	s_mul_i32 s7, s40, s39
	v_rcp_iflag_f32_e32 v1, s3
	s_sub_co_i32 s34, s5, s7
	s_xor_b32 s5, s39, s43
	s_delay_alu instid0(SALU_CYCLE_1) | instskip(SKIP_1) | instid1(TRANS32_DEP_1)
	s_ashr_i32 s5, s5, 31
	v_nop
	v_readfirstlane_b32 s3, v1
	s_mul_f32 s3, s3, 0x4f7ffffe
	s_delay_alu instid0(SALU_CYCLE_3) | instskip(NEXT) | instid1(SALU_CYCLE_3)
	s_cvt_u32_f32 s3, s3
	s_mul_i32 s6, s6, s3
	s_delay_alu instid0(SALU_CYCLE_1) | instskip(NEXT) | instid1(SALU_CYCLE_1)
	s_mul_hi_u32 s6, s3, s6
	s_add_co_i32 s3, s3, s6
	s_delay_alu instid0(SALU_CYCLE_1) | instskip(NEXT) | instid1(SALU_CYCLE_1)
	s_mul_hi_u32 s3, s8, s3
	s_mul_i32 s6, s3, s2
	s_add_co_i32 s7, s3, 1
	s_sub_co_i32 s6, s8, s6
	s_delay_alu instid0(SALU_CYCLE_1)
	s_sub_co_i32 s8, s6, s2
	s_cmp_ge_u32 s6, s2
	s_cselect_b32 s3, s7, s3
	s_cselect_b32 s6, s8, s6
	s_add_co_i32 s7, s3, 1
	s_cmp_ge_u32 s6, s2
	s_load_b64 s[8:9], s[0:1], 0xb8
	s_cselect_b32 s2, s7, s3
	s_mov_b32 s3, 0
	s_xor_b32 s2, s2, s5
	s_delay_alu instid0(SALU_CYCLE_1) | instskip(NEXT) | instid1(SALU_CYCLE_1)
	s_sub_co_i32 s13, s2, s5
	s_abs_i32 s12, s13
	s_cmp_eq_u64 s[22:23], 0
	s_cvt_f32_u32 s2, s12
	s_delay_alu instid0(SALU_CYCLE_3) | instskip(SKIP_1) | instid1(TRANS32_DEP_1)
	v_rcp_iflag_f32_e32 v1, s2
	v_nop
	v_readfirstlane_b32 s2, v1
	s_cbranch_scc1 .LBB37_2
; %bb.1:
	s_wait_kmcnt 0x0
	s_abs_i32 s5, s8
	s_abs_i32 s8, s40
	s_cvt_f32_u32 s6, s5
	s_sub_co_i32 s7, 0, s5
	s_delay_alu instid0(SALU_CYCLE_2) | instskip(SKIP_1) | instid1(TRANS32_DEP_1)
	v_rcp_iflag_f32_e32 v1, s6
	v_nop
	v_readfirstlane_b32 s6, v1
	s_mul_f32 s6, s6, 0x4f7ffffe
	s_delay_alu instid0(SALU_CYCLE_3) | instskip(NEXT) | instid1(SALU_CYCLE_3)
	s_cvt_u32_f32 s6, s6
	s_mul_i32 s7, s7, s6
	s_delay_alu instid0(SALU_CYCLE_1) | instskip(NEXT) | instid1(SALU_CYCLE_1)
	s_mul_hi_u32 s7, s6, s7
	s_add_co_i32 s6, s6, s7
	s_delay_alu instid0(SALU_CYCLE_1) | instskip(SKIP_2) | instid1(SALU_CYCLE_1)
	s_mul_hi_u32 s10, s8, s6
	s_load_b64 s[6:7], s[0:1], 0xc8
	s_mul_i32 s10, s10, s5
	s_sub_co_i32 s8, s8, s10
	s_ashr_i32 s10, s40, 31
	s_sub_co_i32 s11, s8, s5
	s_cmp_ge_u32 s8, s5
	s_cselect_b32 s8, s11, s8
	s_delay_alu instid0(SALU_CYCLE_1) | instskip(SKIP_2) | instid1(SALU_CYCLE_1)
	s_sub_co_i32 s11, s8, s5
	s_cmp_ge_u32 s8, s5
	s_cselect_b32 s5, s11, s8
	s_xor_b32 s5, s5, s10
	s_delay_alu instid0(SALU_CYCLE_1) | instskip(NEXT) | instid1(SALU_CYCLE_1)
	s_sub_co_i32 s10, s5, s10
	s_ashr_i32 s11, s10, 31
	s_wait_kmcnt 0x0
	s_mul_u64 s[6:7], s[6:7], s[10:11]
	s_delay_alu instid0(SALU_CYCLE_1)
	s_add_nc_u64 s[44:45], s[22:23], s[6:7]
.LBB37_2:
	s_bfe_u32 s5, ttmp6, 0x4000c
	v_bfe_u32 v24, v0, 10, 10
	s_add_co_i32 s5, s5, 1
	s_and_b32 s6, ttmp6, 15
	s_mul_i32 s5, ttmp9, s5
	s_load_b96 s[48:50], s[0:1], 0x70
	v_dual_lshlrev_b32 v1, 2, v24 :: v_dual_lshlrev_b32 v69, 1, v24
	s_add_co_i32 s6, s6, s5
	s_cmp_eq_u32 s4, 0
	v_and_b32_e32 v70, 0x3ff, v0
	s_cselect_b32 s5, ttmp9, s6
	v_lshlrev_b32_e32 v0, 10, v24
	s_lshl_b32 s43, s5, 4
	v_or_b32_e32 v26, 3, v1
	v_dual_lshlrev_b32 v12, 4, v70 :: v_dual_bitop2_b32 v25, 2, v1 bitop3:0x54
	v_lshlrev_b32_e32 v72, 3, v70
	s_delay_alu instid0(VALU_DEP_2) | instskip(NEXT) | instid1(VALU_DEP_1)
	v_dual_lshrrev_b32 v64, 1, v26 :: v_dual_lshrrev_b32 v66, 1, v25
	v_dual_add_nc_u32 v65, s43, v64 :: v_dual_add_nc_u32 v67, s43, v66
	s_wait_kmcnt 0x0
	s_mul_i32 s6, s34, s49
	s_ashr_i32 s11, s49, 31
	s_mov_b32 s10, s49
	v_mul_hi_u32 v4, v65, s36
	v_mul_hi_u32 v3, v67, s36
	v_add_nc_u32_e32 v71, s43, v69
	s_ashr_i32 s49, s48, 31
	s_ashr_i32 s7, s6, 31
	s_lshr_b64 s[14:15], s[48:49], 2
	s_and_b64 s[10:11], s[10:11], -4
	s_delay_alu instid0(VALU_DEP_2) | instskip(SKIP_1) | instid1(VALU_DEP_2)
	v_dual_add_nc_u32 v4, v65, v4 :: v_dual_add_nc_u32 v3, v67, v3
	v_mul_hi_u32 v2, v71, s36
	v_dual_lshrrev_b32 v4, s37, v4 :: v_dual_lshrrev_b32 v5, s37, v3
	v_mov_b32_e32 v3, 0
	s_delay_alu instid0(VALU_DEP_2) | instskip(NEXT) | instid1(VALU_DEP_3)
	v_mul_lo_u32 v10, v4, s38
	v_mul_lo_u32 v6, v5, s38
	s_delay_alu instid0(VALU_DEP_3) | instskip(SKIP_1) | instid1(VALU_DEP_1)
	v_dual_mov_b32 v5, v3 :: v_dual_mov_b32 v7, v3
	v_add_nc_u32_e32 v2, v71, v2
	v_dual_mov_b32 v13, v3 :: v_dual_lshrrev_b32 v2, s37, v2
	s_delay_alu instid0(VALU_DEP_4) | instskip(SKIP_1) | instid1(VALU_DEP_3)
	v_sub_nc_u32_e32 v4, v67, v6
	v_sub_nc_u32_e32 v6, v65, v10
	v_mul_lo_u32 v2, v2, s38
	s_delay_alu instid0(VALU_DEP_3) | instskip(NEXT) | instid1(VALU_DEP_3)
	v_mul_u64_e32 v[4:5], s[14:15], v[4:5]
	v_mul_u64_e32 v[6:7], s[14:15], v[6:7]
	s_delay_alu instid0(VALU_DEP_3) | instskip(NEXT) | instid1(VALU_DEP_1)
	v_sub_nc_u32_e32 v2, v71, v2
	v_mul_u64_e32 v[8:9], s[14:15], v[2:3]
	s_mul_i32 s14, s40, s50
	v_add_nc_u32_e32 v3, 0x6800, v72
	s_ashr_i32 s15, s14, 31
	s_cmp_eq_u64 s[26:27], 0
	s_add_nc_u64 s[14:15], s[16:17], s[14:15]
	s_delay_alu instid0(SALU_CYCLE_1) | instskip(NEXT) | instid1(SALU_CYCLE_1)
	s_add_nc_u64 s[6:7], s[14:15], s[6:7]
	s_add_nc_u64 s[10:11], s[6:7], s[10:11]
	v_lshl_add_u64 v[4:5], v[4:5], 2, s[6:7]
	v_lshl_add_u64 v[6:7], v[6:7], 2, s[10:11]
	s_delay_alu instid0(VALU_DEP_2) | instskip(NEXT) | instid1(VALU_DEP_2)
	v_add_nc_u64_e32 v[4:5], v[4:5], v[12:13]
	v_add_nc_u64_e32 v[14:15], v[6:7], v[12:13]
	global_load_b128 v[4:7], v[4:5], off
	v_lshlrev_b64_e32 v[8:9], 2, v[8:9]
	s_delay_alu instid0(VALU_DEP_1) | instskip(SKIP_2) | instid1(VALU_DEP_2)
	v_add_nc_u64_e32 v[10:11], s[6:7], v[8:9]
	v_add_nc_u64_e32 v[16:17], s[10:11], v[8:9]
	s_load_b32 s6, s[0:1], 0x40
	v_add_nc_u64_e32 v[20:21], v[10:11], v[12:13]
	s_delay_alu instid0(VALU_DEP_2)
	v_add_nc_u64_e32 v[22:23], v[16:17], v[12:13]
	s_clause 0x2
	global_load_b128 v[8:11], v[14:15], off
	global_load_b128 v[12:15], v[20:21], off
	;; [unrolled: 1-line block ×3, first 2 shown]
	s_wait_xcnt 0x1
	v_lshl_add_u32 v21, v25, 8, v3
	s_wait_loadcnt 0x3
	s_wait_kmcnt 0x0
	v_fma_mixlo_f16 v4, s6, v4, 0
	v_fma_mixlo_f16 v5, s6, v5, 0
	;; [unrolled: 1-line block ×4, first 2 shown]
	v_add_nc_u32_e32 v20, v3, v0
	v_lshl_add_u32 v3, v26, 8, v3
	v_lshlrev_b32_e32 v5, 16, v5
	v_and_b32_e32 v4, 0xffff, v4
	v_lshlrev_b32_e32 v7, 16, v7
	v_and_b32_e32 v6, 0xffff, v6
	s_delay_alu instid0(VALU_DEP_3) | instskip(NEXT) | instid1(VALU_DEP_2)
	v_or_b32_e32 v4, v5, v4
	v_or3_b32 v5, v7, v6, 0
	s_wait_loadcnt 0x2
	v_fma_mixlo_f16 v8, s6, v8, 0
	v_fma_mixlo_f16 v9, s6, v9, 0
	;; [unrolled: 1-line block ×4, first 2 shown]
	s_wait_loadcnt 0x1
	v_fma_mixlo_f16 v12, s6, v12, 0
	v_fma_mixlo_f16 v13, s6, v13, 0
	s_wait_loadcnt 0x0
	v_fma_mixlo_f16 v16, s6, v16, 0
	v_fma_mixlo_f16 v17, s6, v17, 0
	v_dual_lshlrev_b32 v9, 16, v9 :: v_dual_lshlrev_b32 v11, 16, v11
	v_and_b32_e32 v8, 0xffff, v8
	v_fma_mixlo_f16 v14, s6, v14, 0
	v_fma_mixlo_f16 v15, s6, v15, 0
	;; [unrolled: 1-line block ×4, first 2 shown]
	v_and_b32_e32 v10, 0xffff, v10
	s_delay_alu instid0(VALU_DEP_4) | instskip(SKIP_1) | instid1(VALU_DEP_4)
	v_dual_lshlrev_b32 v13, 16, v13 :: v_dual_lshlrev_b32 v15, 16, v15
	v_and_b32_e32 v12, 0xffff, v12
	v_dual_lshlrev_b32 v17, 16, v17 :: v_dual_lshlrev_b32 v19, 16, v19
	v_and_b32_e32 v16, 0xffff, v16
	v_or_b32_e32 v6, v9, v8
	v_and_b32_e32 v14, 0xffff, v14
	v_and_b32_e32 v18, 0xffff, v18
	v_or3_b32 v7, v11, v10, 0
	v_or_b32_e32 v8, v13, v12
	v_or_b32_e32 v10, v17, v16
	v_or3_b32 v4, 0, 0, v4
	v_or3_b32 v6, 0, 0, v6
	;; [unrolled: 1-line block ×6, first 2 shown]
	ds_store_b64 v21, v[4:5]
	ds_store_b64 v3, v[6:7]
	ds_store_2addr_b64 v20, v[8:9], v[10:11] offset1:32
	s_wait_dscnt 0x0
	s_barrier_signal -1
	s_barrier_wait -1
	s_cbranch_scc1 .LBB37_4
; %bb.3:
	s_load_b32 s6, s[0:1], 0xd0
	s_wait_kmcnt 0x0
	s_mul_i32 s6, s6, s40
	s_delay_alu instid0(SALU_CYCLE_1)
	s_add_co_i32 s6, s6, s5
	s_load_b32 s42, s[26:27], s6 offset:0x0 scale_offset
.LBB37_4:
	s_bfe_u32 s5, ttmp6, 0x40010
	s_wait_xcnt 0x0
	s_and_b32 s6, ttmp7, 0xffff
	s_add_co_i32 s5, s5, 1
	s_bfe_u32 s7, ttmp6, 0x40004
	s_mul_i32 s5, s6, s5
	v_mbcnt_lo_u32_b32 v73, -1, 0
	s_add_co_i32 s7, s7, s5
	s_cmp_eq_u32 s4, 0
	s_mov_b32 s4, 0
	s_cselect_b32 s33, s6, s7
	s_delay_alu instid0(SALU_CYCLE_1)
	s_lshl_b32 s22, s33, 7
	s_wait_kmcnt 0x0
	s_cmp_lt_i32 s22, s42
	s_cbranch_scc1 .LBB37_7
; %bb.5:
	v_mbcnt_lo_u32_b32 v4, -1, 0
	s_delay_alu instid0(VALU_DEP_1)
	v_dual_mov_b32 v74, 32 :: v_dual_bitop2_b32 v79, 16, v4 bitop3:0x14
	v_xor_b32_e32 v78, 8, v4
	v_xor_b32_e32 v77, 4, v4
	;; [unrolled: 1-line block ×3, first 2 shown]
	v_dual_lshlrev_b32 v68, 2, v70 :: v_dual_bitop2_b32 v75, 1, v4 bitop3:0x14
	s_and_not1_b32 vcc_lo, exec_lo, s4
	s_cbranch_vccz .LBB37_8
; %bb.6:
	v_dual_mov_b32 v30, 0 :: v_dual_mov_b32 v43, 0
	v_dual_mov_b32 v3, 0xfeffffff :: v_dual_mov_b32 v2, 0xfeffffff
	;; [unrolled: 1-line block ×3, first 2 shown]
	s_delay_alu instid0(VALU_DEP_3)
	v_dual_mov_b32 v42, v43 :: v_dual_mov_b32 v47, v43
	v_dual_mov_b32 v46, v43 :: v_dual_mov_b32 v31, 0
	;; [unrolled: 1-line block ×5, first 2 shown]
	s_branch .LBB37_11
.LBB37_7:
                                        ; implicit-def: $vgpr4
                                        ; implicit-def: $vgpr74
                                        ; implicit-def: $vgpr79
                                        ; implicit-def: $vgpr78
                                        ; implicit-def: $vgpr77
                                        ; implicit-def: $vgpr76
                                        ; implicit-def: $vgpr75
	v_lshlrev_b32_e32 v68, 2, v70
.LBB37_8:
	s_clause 0x1
	s_load_b128 s[4:7], s[0:1], 0x98
	s_load_b64 s[10:11], s[0:1], 0x8c
	s_mul_f32 s8, s2, 0x4f7ffffe
	v_dual_mov_b32 v41, 0 :: v_dual_lshrrev_b32 v3, 3, v70
	v_add3_u32 v40, s43, v69, 1
	s_mov_b32 s16, s36
	s_cvt_u32_f32 s8, s8
	s_mov_b32 s17, s3
	s_sub_co_i32 s14, 0, s12
	v_mul_u64_e32 v[4:5], s[16:17], v[40:41]
	s_mul_i32 s14, s14, s8
	s_abs_i32 s2, s34
	s_mul_hi_u32 s14, s8, s14
	s_mov_b32 s15, s3
	s_add_co_i32 s14, s8, s14
	s_ashr_i32 s27, s9, 1
	s_mul_u64 s[8:9], s[2:3], s[14:15]
	s_ashr_i32 s23, s34, 31
	s_mul_i32 s3, s9, s12
	s_ashr_i32 s13, s13, 31
	s_load_b64 s[46:47], s[0:1], 0xa8
	s_sub_co_i32 s2, s2, s3
	s_wait_kmcnt 0x0
	s_ashr_i32 s26, s6, 2
	s_ashr_i32 s36, s10, 2
	;; [unrolled: 1-line block ×3, first 2 shown]
	s_xor_b32 s6, s23, s13
	s_add_co_i32 s3, s9, 1
	s_sub_co_i32 s8, s2, s12
	s_cmp_ge_u32 s2, s12
	v_dual_add_nc_u32 v1, v3, v1 :: v_dual_bitop2_b32 v4, 28, v68 bitop3:0x40
	s_cselect_b32 s3, s3, s9
	s_cselect_b32 s2, s8, s2
	s_add_co_i32 s8, s3, 1
	s_cmp_ge_u32 s2, s12
	v_mul_lo_u32 v44, s36, v1
	s_cselect_b32 s2, s8, s3
	v_mul_lo_u32 v86, v2, s27
	s_xor_b32 s2, s2, s6
	v_dual_mov_b32 v42, v41 :: v_dual_add_nc_u32 v89, 0x4800, v0
	s_sub_co_i32 s6, s2, s6
	s_mul_u64 s[2:3], s[4:5], s[40:41]
	s_mul_i32 s4, s6, s11
	s_add_nc_u64 s[2:3], s[18:19], s[2:3]
	s_ashr_i32 s5, s4, 31
	s_mul_u64 s[8:9], s[46:47], s[40:41]
	s_add_nc_u64 s[46:47], s[2:3], s[4:5]
	v_dual_add_nc_u32 v3, v40, v5 :: v_dual_lshlrev_b32 v5, 2, v4
	s_lshl_b32 s2, s36, 5
	s_delay_alu instid0(SALU_CYCLE_1) | instskip(NEXT) | instid1(VALU_DEP_2)
	v_dual_lshrrev_b32 v6, 4, v70 :: v_dual_add_nc_u32 v48, s2, v44
	v_lshrrev_b32_e32 v3, s37, v3
	s_delay_alu instid0(VALU_DEP_3) | instskip(NEXT) | instid1(VALU_DEP_3)
	v_mad_u32_u24 v80, 0x90, v1, v5
	v_dual_add_nc_u32 v1, v6, v69 :: v_dual_bitop2_b32 v8, 60, v68 bitop3:0x40
	s_delay_alu instid0(VALU_DEP_4) | instskip(SKIP_2) | instid1(VALU_DEP_4)
	v_dual_add_nc_u32 v50, s2, v48 :: v_dual_ashrrev_i32 v49, 31, v48
	v_ashrrev_i32_e32 v45, 31, v44
	v_mul_lo_u32 v3, v3, s38
	v_mul_lo_u32 v6, s26, v1
	s_delay_alu instid0(VALU_DEP_4) | instskip(SKIP_3) | instid1(VALU_DEP_2)
	v_add_nc_u32_e32 v52, s2, v50
	s_lshl_b32 s2, s26, 4
	v_dual_ashrrev_i32 v51, 31, v50 :: v_dual_lshlrev_b32 v5, 2, v8
	s_mul_i32 s6, s6, s7
	v_ashrrev_i32_e32 v53, 31, v52
	v_dual_mov_b32 v74, 32 :: v_dual_add_nc_u32 v81, 0x1200, v80
	v_dual_mov_b32 v57, v41 :: v_dual_add_nc_u32 v82, 0x2400, v80
	v_dual_add_nc_u32 v10, s2, v6 :: v_dual_sub_nc_u32 v3, v40, v3
	v_lshl_or_b32 v87, v1, 8, v5
	v_dual_mov_b32 v46, v41 :: v_dual_add_nc_u32 v83, 0x3600, v80
	s_delay_alu instid0(VALU_DEP_3) | instskip(NEXT) | instid1(VALU_DEP_4)
	v_dual_add_nc_u32 v2, s2, v10 :: v_dual_ashrrev_i32 v11, 31, v10
	v_mul_lo_u32 v88, v3, s27
	v_dual_mov_b32 v47, v41 :: v_dual_add_nc_u32 v84, 0x6800, v0
	s_delay_alu instid0(VALU_DEP_3) | instskip(SKIP_3) | instid1(VALU_DEP_4)
	v_dual_add_nc_u32 v12, s2, v2 :: v_dual_ashrrev_i32 v3, 31, v2
	v_ashrrev_i32_e32 v7, 31, v6
	v_lshlrev_b64_e32 v[58:59], 2, v[10:11]
	v_mul_u32_u24_e32 v85, 0x90, v70
	v_ashrrev_i32_e32 v13, 31, v12
	v_lshlrev_b64_e32 v[60:61], 2, v[2:3]
	v_lshlrev_b64_e32 v[54:55], 2, v[6:7]
	v_dual_mov_b32 v43, v41 :: v_dual_add_nc_u32 v90, 0x1000, v87
	s_delay_alu instid0(VALU_DEP_4)
	v_lshlrev_b64_e32 v[62:63], 2, v[12:13]
	v_dual_mov_b32 v26, v41 :: v_dual_add_nc_u32 v91, 0x2000, v87
	v_dual_mov_b32 v27, v41 :: v_dual_add_nc_u32 v92, 0x3000, v87
	v_dual_mov_b32 v0, 0xfeffffff :: v_dual_add_nc_u32 v93, v89, v72
	v_dual_lshlrev_b32 v40, 2, v4 :: v_dual_bitop2_b32 v79, 16, v73 bitop3:0x14
	v_dual_lshlrev_b32 v56, 2, v8 :: v_dual_bitop2_b32 v78, 8, v73 bitop3:0x14
	v_dual_mov_b32 v25, v41 :: v_dual_bitop2_b32 v77, 4, v73 bitop3:0x14
	v_dual_mov_b32 v24, v41 :: v_dual_bitop2_b32 v76, 2, v73 bitop3:0x14
	;; [unrolled: 1-line block ×3, first 2 shown]
	v_dual_mov_b32 v31, v41 :: v_dual_add_nc_u32 v94, 0x800, v72
	v_dual_mov_b32 v28, v41 :: v_dual_add_nc_u32 v95, 0x1000, v72
	v_add_nc_u32_e32 v96, 0x1800, v72
	v_dual_mov_b32 v30, v41 :: v_dual_add_nc_u32 v97, 0x2000, v72
	v_add_nc_u32_e32 v98, 0x2800, v72
	v_add_nc_u32_e32 v99, 0x3000, v72
	;; [unrolled: 1-line block ×3, first 2 shown]
	v_dual_mov_b32 v1, 0xfeffffff :: v_dual_mov_b32 v2, 0xfeffffff
	v_mov_b32_e32 v3, 0xfeffffff
	s_add_nc_u64 s[8:9], s[20:21], s[8:9]
	s_ashr_i32 s7, s6, 31
	s_ashr_i32 s37, s36, 31
	s_add_nc_u64 s[48:49], s[8:9], s[6:7]
	s_ashr_i32 s27, s26, 31
	s_add_nc_u64 s[50:51], s[0:1], 0xd0
.LBB37_9:                               ; =>This Inner Loop Header: Depth=1
	v_cmp_gt_i32_e32 vcc_lo, 32, v79
	v_dual_mov_b32 v23, v1 :: v_dual_mov_b32 v22, v0
	v_dual_mov_b32 v33, v3 :: v_dual_add_nc_u32 v0, s22, v70
	v_dual_mov_b32 v32, v2 :: v_dual_cndmask_b32 v1, v73, v79
	v_cmp_gt_i32_e32 vcc_lo, 32, v78
	s_ashr_i32 s23, s22, 31
	s_delay_alu instid0(VALU_DEP_3)
	v_dual_add_nc_u32 v39, v0, v86 :: v_dual_add_nc_u32 v101, v0, v88
	s_mul_u64 s[4:5], s[22:23], s[36:37]
	v_cndmask_b32_e32 v2, v73, v78, vcc_lo
	v_cmp_gt_i32_e32 vcc_lo, 32, v77
	s_lshl_b64 s[4:5], s[4:5], 2
	v_dual_mov_b32 v102, 0 :: v_dual_mov_b32 v103, 0
	s_add_nc_u64 s[4:5], s[46:47], s[4:5]
	v_cndmask_b32_e32 v3, v73, v77, vcc_lo
	v_cmp_gt_i32_e32 vcc_lo, 32, v76
	v_dual_lshlrev_b32 v38, 2, v1 :: v_dual_lshlrev_b32 v37, 2, v2
	v_lshl_add_u64 v[0:1], v[44:45], 2, s[4:5]
	v_lshl_add_u64 v[16:17], v[50:51], 2, s[4:5]
	v_cndmask_b32_e32 v4, v73, v76, vcc_lo
	v_cmp_gt_i32_e32 vcc_lo, 32, v75
	v_lshl_add_u64 v[20:21], v[52:53], 2, s[4:5]
	v_add_nc_u64_e32 v[0:1], v[0:1], v[40:41]
	v_add_nc_u64_e32 v[18:19], v[16:17], v[40:41]
	v_dual_mov_b32 v104, 0 :: v_dual_mov_b32 v105, 0
	v_cndmask_b32_e32 v5, v73, v75, vcc_lo
	v_dual_lshlrev_b32 v36, 2, v3 :: v_dual_lshlrev_b32 v35, 2, v4
	v_lshl_add_u64 v[2:3], v[48:49], 2, s[4:5]
	v_add_nc_u64_e32 v[20:21], v[20:21], v[40:41]
	v_dual_mov_b32 v106, 0 :: v_dual_mov_b32 v107, 0
	v_dual_mov_b32 v108, 0 :: v_dual_mov_b32 v109, 0
	s_delay_alu instid0(VALU_DEP_4)
	v_add_nc_u64_e32 v[2:3], v[2:3], v[40:41]
	s_clause 0x3
	global_load_b128 v[118:121], v[0:1], off
	global_load_b128 v[122:125], v[2:3], off
	;; [unrolled: 1-line block ×4, first 2 shown]
	v_dual_mov_b32 v110, 0 :: v_dual_mov_b32 v111, 0
	v_dual_mov_b32 v112, 0 :: v_dual_mov_b32 v113, 0
	;; [unrolled: 1-line block ×4, first 2 shown]
	s_mul_u64 s[6:7], s[22:23], s[26:27]
	s_or_b32 s2, s22, 64
	s_lshl_b64 s[6:7], s[6:7], 2
	s_ashr_i32 s3, s2, 31
	s_add_nc_u64 s[6:7], s[48:49], s[6:7]
	s_mul_u64 s[2:3], s[2:3], s[26:27]
	v_add_nc_u64_e32 v[8:9], s[6:7], v[60:61]
	v_add_nc_u64_e32 v[6:7], s[6:7], v[58:59]
	s_lshl_b64 s[2:3], s[2:3], 2
	v_add_nc_u64_e32 v[10:11], s[6:7], v[62:63]
	s_add_nc_u64 s[2:3], s[48:49], s[2:3]
	s_wait_loadcnt 0x3
	ds_store_b128 v80, v[118:121]
	s_wait_loadcnt 0x2
	ds_store_b128 v81, v[122:125]
	s_wait_loadcnt 0x1
	ds_store_b128 v82, v[126:129]
	s_wait_loadcnt 0x0
	ds_store_b128 v83, v[130:133]
	s_wait_dscnt 0x0
	s_barrier_signal -1
	s_barrier_wait -1
	ds_load_b128 v[118:121], v85
	ds_load_b128 v[122:125], v84
	ds_load_b128 v[126:129], v84 offset:256
	ds_load_b128 v[130:133], v84 offset:512
	;; [unrolled: 1-line block ×6, first 2 shown]
	s_wait_dscnt 0x6
	;;#ASMSTART
	v_dot2_f32_f16 v102, v118, v122, v102
	;;#ASMEND
	;;#ASMSTART
	v_dot2_f32_f16 v102, v119, v123, v102
	;;#ASMEND
	;;#ASMSTART
	v_dot2_f32_f16 v102, v120, v124, v102
	;;#ASMEND
	;;#ASMSTART
	v_dot2_f32_f16 v102, v121, v125, v102
	;;#ASMEND
	s_wait_dscnt 0x5
	;;#ASMSTART
	v_dot2_f32_f16 v103, v118, v126, v103
	;;#ASMEND
	;;#ASMSTART
	v_dot2_f32_f16 v103, v119, v127, v103
	;;#ASMEND
	;;#ASMSTART
	v_dot2_f32_f16 v103, v120, v128, v103
	;;#ASMEND
	;;#ASMSTART
	v_dot2_f32_f16 v103, v121, v129, v103
	;;#ASMEND
	;; [unrolled: 13-line block ×5, first 2 shown]
	;;#ASMSTART
	v_dot2_f32_f16 v107, v138, v126, v107
	;;#ASMEND
	;;#ASMSTART
	v_dot2_f32_f16 v107, v139, v127, v107
	;;#ASMEND
	;; [unrolled: 3-line block ×12, first 2 shown]
	s_wait_dscnt 0x1
	;;#ASMSTART
	v_dot2_f32_f16 v110, v142, v122, v110
	;;#ASMEND
	;;#ASMSTART
	v_dot2_f32_f16 v110, v143, v123, v110
	;;#ASMEND
	;; [unrolled: 3-line block ×16, first 2 shown]
	s_wait_dscnt 0x0
	;;#ASMSTART
	v_dot2_f32_f16 v114, v146, v122, v114
	;;#ASMEND
	;;#ASMSTART
	v_dot2_f32_f16 v114, v147, v123, v114
	;;#ASMEND
	;; [unrolled: 3-line block ×16, first 2 shown]
	ds_load_b128 v[118:121], v85 offset:16
	ds_load_b128 v[122:125], v84 offset:16
	;; [unrolled: 1-line block ×8, first 2 shown]
	s_wait_dscnt 0x6
	;;#ASMSTART
	v_dot2_f32_f16 v102, v118, v122, v102
	;;#ASMEND
	;;#ASMSTART
	v_dot2_f32_f16 v102, v119, v123, v102
	;;#ASMEND
	;;#ASMSTART
	v_dot2_f32_f16 v102, v120, v124, v102
	;;#ASMEND
	;;#ASMSTART
	v_dot2_f32_f16 v102, v121, v125, v102
	;;#ASMEND
	s_wait_dscnt 0x5
	;;#ASMSTART
	v_dot2_f32_f16 v103, v118, v126, v103
	;;#ASMEND
	;;#ASMSTART
	v_dot2_f32_f16 v103, v119, v127, v103
	;;#ASMEND
	;;#ASMSTART
	v_dot2_f32_f16 v103, v120, v128, v103
	;;#ASMEND
	;;#ASMSTART
	v_dot2_f32_f16 v103, v121, v129, v103
	;;#ASMEND
	;; [unrolled: 13-line block ×5, first 2 shown]
	;;#ASMSTART
	v_dot2_f32_f16 v107, v138, v126, v107
	;;#ASMEND
	;;#ASMSTART
	v_dot2_f32_f16 v107, v139, v127, v107
	;;#ASMEND
	;;#ASMSTART
	v_dot2_f32_f16 v107, v140, v128, v107
	;;#ASMEND
	;;#ASMSTART
	v_dot2_f32_f16 v107, v141, v129, v107
	;;#ASMEND
	;;#ASMSTART
	v_dot2_f32_f16 v108, v138, v130, v108
	;;#ASMEND
	;;#ASMSTART
	v_dot2_f32_f16 v108, v139, v131, v108
	;;#ASMEND
	;;#ASMSTART
	v_dot2_f32_f16 v108, v140, v132, v108
	;;#ASMEND
	;;#ASMSTART
	v_dot2_f32_f16 v108, v141, v133, v108
	;;#ASMEND
	;;#ASMSTART
	v_dot2_f32_f16 v109, v138, v134, v109
	;;#ASMEND
	;;#ASMSTART
	v_dot2_f32_f16 v109, v139, v135, v109
	;;#ASMEND
	;;#ASMSTART
	v_dot2_f32_f16 v109, v140, v136, v109
	;;#ASMEND
	;;#ASMSTART
	v_dot2_f32_f16 v109, v141, v137, v109
	;;#ASMEND
	s_wait_dscnt 0x1
	;;#ASMSTART
	v_dot2_f32_f16 v110, v142, v122, v110
	;;#ASMEND
	;;#ASMSTART
	v_dot2_f32_f16 v110, v143, v123, v110
	;;#ASMEND
	;; [unrolled: 3-line block ×16, first 2 shown]
	s_wait_dscnt 0x0
	;;#ASMSTART
	v_dot2_f32_f16 v114, v146, v122, v114
	;;#ASMEND
	;;#ASMSTART
	v_dot2_f32_f16 v114, v147, v123, v114
	;;#ASMEND
	;; [unrolled: 3-line block ×16, first 2 shown]
	ds_load_b128 v[118:121], v85 offset:32
	ds_load_b128 v[122:125], v84 offset:32
	;; [unrolled: 1-line block ×8, first 2 shown]
	s_wait_dscnt 0x6
	;;#ASMSTART
	v_dot2_f32_f16 v102, v118, v122, v102
	;;#ASMEND
	;;#ASMSTART
	v_dot2_f32_f16 v102, v119, v123, v102
	;;#ASMEND
	;;#ASMSTART
	v_dot2_f32_f16 v102, v120, v124, v102
	;;#ASMEND
	;;#ASMSTART
	v_dot2_f32_f16 v102, v121, v125, v102
	;;#ASMEND
	s_wait_dscnt 0x5
	;;#ASMSTART
	v_dot2_f32_f16 v103, v118, v126, v103
	;;#ASMEND
	;;#ASMSTART
	v_dot2_f32_f16 v103, v119, v127, v103
	;;#ASMEND
	;;#ASMSTART
	v_dot2_f32_f16 v103, v120, v128, v103
	;;#ASMEND
	;;#ASMSTART
	v_dot2_f32_f16 v103, v121, v129, v103
	;;#ASMEND
	;; [unrolled: 13-line block ×5, first 2 shown]
	;;#ASMSTART
	v_dot2_f32_f16 v107, v138, v126, v107
	;;#ASMEND
	;;#ASMSTART
	v_dot2_f32_f16 v107, v139, v127, v107
	;;#ASMEND
	;; [unrolled: 3-line block ×12, first 2 shown]
	s_wait_dscnt 0x1
	;;#ASMSTART
	v_dot2_f32_f16 v110, v142, v122, v110
	;;#ASMEND
	;;#ASMSTART
	v_dot2_f32_f16 v110, v143, v123, v110
	;;#ASMEND
	;; [unrolled: 3-line block ×16, first 2 shown]
	s_wait_dscnt 0x0
	;;#ASMSTART
	v_dot2_f32_f16 v114, v146, v122, v114
	;;#ASMEND
	;;#ASMSTART
	v_dot2_f32_f16 v114, v147, v123, v114
	;;#ASMEND
	;; [unrolled: 3-line block ×16, first 2 shown]
	ds_load_b128 v[118:121], v85 offset:48
	ds_load_b128 v[122:125], v84 offset:48
	ds_load_b128 v[126:129], v84 offset:304
	ds_load_b128 v[130:133], v84 offset:560
	ds_load_b128 v[134:137], v84 offset:816
	ds_load_b128 v[138:141], v85 offset:4656
	ds_load_b128 v[142:145], v85 offset:9264
	ds_load_b128 v[146:149], v85 offset:13872
	s_wait_dscnt 0x6
	;;#ASMSTART
	v_dot2_f32_f16 v102, v118, v122, v102
	;;#ASMEND
	;;#ASMSTART
	v_dot2_f32_f16 v102, v119, v123, v102
	;;#ASMEND
	;;#ASMSTART
	v_dot2_f32_f16 v102, v120, v124, v102
	;;#ASMEND
	;;#ASMSTART
	v_dot2_f32_f16 v102, v121, v125, v102
	;;#ASMEND
	s_wait_dscnt 0x5
	;;#ASMSTART
	v_dot2_f32_f16 v103, v118, v126, v103
	;;#ASMEND
	;;#ASMSTART
	v_dot2_f32_f16 v103, v119, v127, v103
	;;#ASMEND
	;;#ASMSTART
	v_dot2_f32_f16 v103, v120, v128, v103
	;;#ASMEND
	;;#ASMSTART
	v_dot2_f32_f16 v103, v121, v129, v103
	;;#ASMEND
	;; [unrolled: 13-line block ×5, first 2 shown]
	;;#ASMSTART
	v_dot2_f32_f16 v107, v138, v126, v107
	;;#ASMEND
	;;#ASMSTART
	v_dot2_f32_f16 v107, v139, v127, v107
	;;#ASMEND
	;; [unrolled: 3-line block ×12, first 2 shown]
	s_wait_dscnt 0x1
	;;#ASMSTART
	v_dot2_f32_f16 v110, v142, v122, v110
	;;#ASMEND
	;;#ASMSTART
	v_dot2_f32_f16 v110, v143, v123, v110
	;;#ASMEND
	;; [unrolled: 3-line block ×16, first 2 shown]
	s_wait_dscnt 0x0
	;;#ASMSTART
	v_dot2_f32_f16 v114, v146, v122, v114
	;;#ASMEND
	;;#ASMSTART
	v_dot2_f32_f16 v114, v147, v123, v114
	;;#ASMEND
	;; [unrolled: 3-line block ×16, first 2 shown]
	ds_load_b128 v[118:121], v85 offset:64
	ds_load_b128 v[122:125], v84 offset:64
	;; [unrolled: 1-line block ×8, first 2 shown]
	s_wait_dscnt 0x6
	;;#ASMSTART
	v_dot2_f32_f16 v102, v118, v122, v102
	;;#ASMEND
	;;#ASMSTART
	v_dot2_f32_f16 v102, v119, v123, v102
	;;#ASMEND
	;;#ASMSTART
	v_dot2_f32_f16 v102, v120, v124, v102
	;;#ASMEND
	;;#ASMSTART
	v_dot2_f32_f16 v102, v121, v125, v102
	;;#ASMEND
	s_wait_dscnt 0x5
	;;#ASMSTART
	v_dot2_f32_f16 v103, v118, v126, v103
	;;#ASMEND
	;;#ASMSTART
	v_dot2_f32_f16 v103, v119, v127, v103
	;;#ASMEND
	;;#ASMSTART
	v_dot2_f32_f16 v103, v120, v128, v103
	;;#ASMEND
	;;#ASMSTART
	v_dot2_f32_f16 v103, v121, v129, v103
	;;#ASMEND
	;; [unrolled: 13-line block ×5, first 2 shown]
	;;#ASMSTART
	v_dot2_f32_f16 v107, v138, v126, v107
	;;#ASMEND
	;;#ASMSTART
	v_dot2_f32_f16 v107, v139, v127, v107
	;;#ASMEND
	;; [unrolled: 3-line block ×12, first 2 shown]
	s_wait_dscnt 0x1
	;;#ASMSTART
	v_dot2_f32_f16 v110, v142, v122, v110
	;;#ASMEND
	;;#ASMSTART
	v_dot2_f32_f16 v110, v143, v123, v110
	;;#ASMEND
	;;#ASMSTART
	v_dot2_f32_f16 v110, v144, v124, v110
	;;#ASMEND
	;;#ASMSTART
	v_dot2_f32_f16 v110, v145, v125, v110
	;;#ASMEND
	;;#ASMSTART
	v_dot2_f32_f16 v111, v142, v126, v111
	;;#ASMEND
	;;#ASMSTART
	v_dot2_f32_f16 v111, v143, v127, v111
	;;#ASMEND
	;;#ASMSTART
	v_dot2_f32_f16 v111, v144, v128, v111
	;;#ASMEND
	;;#ASMSTART
	v_dot2_f32_f16 v111, v145, v129, v111
	;;#ASMEND
	;;#ASMSTART
	v_dot2_f32_f16 v112, v142, v130, v112
	;;#ASMEND
	;;#ASMSTART
	v_dot2_f32_f16 v112, v143, v131, v112
	;;#ASMEND
	;;#ASMSTART
	v_dot2_f32_f16 v112, v144, v132, v112
	;;#ASMEND
	;;#ASMSTART
	v_dot2_f32_f16 v112, v145, v133, v112
	;;#ASMEND
	;;#ASMSTART
	v_dot2_f32_f16 v113, v142, v134, v113
	;;#ASMEND
	;;#ASMSTART
	v_dot2_f32_f16 v113, v143, v135, v113
	;;#ASMEND
	;;#ASMSTART
	v_dot2_f32_f16 v113, v144, v136, v113
	;;#ASMEND
	;;#ASMSTART
	v_dot2_f32_f16 v113, v145, v137, v113
	;;#ASMEND
	s_wait_dscnt 0x0
	;;#ASMSTART
	v_dot2_f32_f16 v114, v146, v122, v114
	;;#ASMEND
	;;#ASMSTART
	v_dot2_f32_f16 v114, v147, v123, v114
	;;#ASMEND
	;; [unrolled: 3-line block ×16, first 2 shown]
	ds_load_b128 v[118:121], v85 offset:80
	ds_load_b128 v[122:125], v84 offset:80
	;; [unrolled: 1-line block ×8, first 2 shown]
	s_wait_dscnt 0x6
	;;#ASMSTART
	v_dot2_f32_f16 v102, v118, v122, v102
	;;#ASMEND
	;;#ASMSTART
	v_dot2_f32_f16 v102, v119, v123, v102
	;;#ASMEND
	;;#ASMSTART
	v_dot2_f32_f16 v102, v120, v124, v102
	;;#ASMEND
	;;#ASMSTART
	v_dot2_f32_f16 v102, v121, v125, v102
	;;#ASMEND
	s_wait_dscnt 0x5
	;;#ASMSTART
	v_dot2_f32_f16 v103, v118, v126, v103
	;;#ASMEND
	;;#ASMSTART
	v_dot2_f32_f16 v103, v119, v127, v103
	;;#ASMEND
	;;#ASMSTART
	v_dot2_f32_f16 v103, v120, v128, v103
	;;#ASMEND
	;;#ASMSTART
	v_dot2_f32_f16 v103, v121, v129, v103
	;;#ASMEND
	;; [unrolled: 13-line block ×5, first 2 shown]
	;;#ASMSTART
	v_dot2_f32_f16 v107, v138, v126, v107
	;;#ASMEND
	;;#ASMSTART
	v_dot2_f32_f16 v107, v139, v127, v107
	;;#ASMEND
	;; [unrolled: 3-line block ×12, first 2 shown]
	s_wait_dscnt 0x1
	;;#ASMSTART
	v_dot2_f32_f16 v110, v142, v122, v110
	;;#ASMEND
	;;#ASMSTART
	v_dot2_f32_f16 v110, v143, v123, v110
	;;#ASMEND
	;; [unrolled: 3-line block ×16, first 2 shown]
	s_wait_dscnt 0x0
	;;#ASMSTART
	v_dot2_f32_f16 v114, v146, v122, v114
	;;#ASMEND
	;;#ASMSTART
	v_dot2_f32_f16 v114, v147, v123, v114
	;;#ASMEND
	;; [unrolled: 3-line block ×16, first 2 shown]
	ds_load_b128 v[118:121], v85 offset:96
	ds_load_b128 v[122:125], v84 offset:96
	;; [unrolled: 1-line block ×8, first 2 shown]
	s_wait_dscnt 0x6
	;;#ASMSTART
	v_dot2_f32_f16 v102, v118, v122, v102
	;;#ASMEND
	;;#ASMSTART
	v_dot2_f32_f16 v102, v119, v123, v102
	;;#ASMEND
	;;#ASMSTART
	v_dot2_f32_f16 v102, v120, v124, v102
	;;#ASMEND
	;;#ASMSTART
	v_dot2_f32_f16 v102, v121, v125, v102
	;;#ASMEND
	s_wait_dscnt 0x5
	;;#ASMSTART
	v_dot2_f32_f16 v103, v118, v126, v103
	;;#ASMEND
	;;#ASMSTART
	v_dot2_f32_f16 v103, v119, v127, v103
	;;#ASMEND
	;;#ASMSTART
	v_dot2_f32_f16 v103, v120, v128, v103
	;;#ASMEND
	;;#ASMSTART
	v_dot2_f32_f16 v103, v121, v129, v103
	;;#ASMEND
	;; [unrolled: 13-line block ×5, first 2 shown]
	;;#ASMSTART
	v_dot2_f32_f16 v107, v138, v126, v107
	;;#ASMEND
	;;#ASMSTART
	v_dot2_f32_f16 v107, v139, v127, v107
	;;#ASMEND
	;; [unrolled: 3-line block ×12, first 2 shown]
	s_wait_dscnt 0x1
	;;#ASMSTART
	v_dot2_f32_f16 v110, v142, v122, v110
	;;#ASMEND
	;;#ASMSTART
	v_dot2_f32_f16 v110, v143, v123, v110
	;;#ASMEND
	;; [unrolled: 3-line block ×16, first 2 shown]
	s_wait_dscnt 0x0
	;;#ASMSTART
	v_dot2_f32_f16 v114, v146, v122, v114
	;;#ASMEND
	;;#ASMSTART
	v_dot2_f32_f16 v114, v147, v123, v114
	;;#ASMEND
	;; [unrolled: 3-line block ×16, first 2 shown]
	ds_load_b128 v[118:121], v85 offset:112
	ds_load_b128 v[122:125], v84 offset:112
	;; [unrolled: 1-line block ×8, first 2 shown]
	s_wait_dscnt 0x6
	;;#ASMSTART
	v_dot2_f32_f16 v102, v118, v122, v102
	;;#ASMEND
	;;#ASMSTART
	v_dot2_f32_f16 v102, v119, v123, v102
	;;#ASMEND
	;;#ASMSTART
	v_dot2_f32_f16 v102, v120, v124, v102
	;;#ASMEND
	;;#ASMSTART
	v_dot2_f32_f16 v102, v121, v125, v102
	;;#ASMEND
	s_wait_dscnt 0x5
	;;#ASMSTART
	v_dot2_f32_f16 v103, v118, v126, v103
	;;#ASMEND
	;;#ASMSTART
	v_dot2_f32_f16 v103, v119, v127, v103
	;;#ASMEND
	;;#ASMSTART
	v_dot2_f32_f16 v103, v120, v128, v103
	;;#ASMEND
	;;#ASMSTART
	v_dot2_f32_f16 v103, v121, v129, v103
	;;#ASMEND
	;; [unrolled: 13-line block ×5, first 2 shown]
	;;#ASMSTART
	v_dot2_f32_f16 v107, v138, v126, v107
	;;#ASMEND
	;;#ASMSTART
	v_dot2_f32_f16 v107, v139, v127, v107
	;;#ASMEND
	;; [unrolled: 3-line block ×12, first 2 shown]
	s_wait_dscnt 0x1
	;;#ASMSTART
	v_dot2_f32_f16 v110, v142, v122, v110
	;;#ASMEND
	;;#ASMSTART
	v_dot2_f32_f16 v110, v143, v123, v110
	;;#ASMEND
	;; [unrolled: 3-line block ×16, first 2 shown]
	s_wait_dscnt 0x0
	;;#ASMSTART
	v_dot2_f32_f16 v114, v146, v122, v114
	;;#ASMEND
	;;#ASMSTART
	v_dot2_f32_f16 v114, v147, v123, v114
	;;#ASMEND
	;; [unrolled: 3-line block ×16, first 2 shown]
	s_barrier_signal -1
	s_barrier_wait -1
	s_clause 0x3
	global_load_b128 v[118:121], v[0:1], off offset:128
	global_load_b128 v[122:125], v[2:3], off offset:128
	;; [unrolled: 1-line block ×4, first 2 shown]
	v_add_nc_u64_e32 v[12:13], s[2:3], v[54:55]
	v_add_nc_u64_e32 v[14:15], s[2:3], v[58:59]
	;; [unrolled: 1-line block ×3, first 2 shown]
	s_wait_loadcnt 0x3
	ds_store_b128 v80, v[118:121]
	s_wait_loadcnt 0x2
	ds_store_b128 v81, v[122:125]
	;; [unrolled: 2-line block ×4, first 2 shown]
	s_wait_dscnt 0x0
	s_barrier_signal -1
	s_barrier_wait -1
	ds_load_b128 v[0:3], v85
	ds_load_b128 v[18:21], v84 offset:128
	ds_load_b128 v[118:121], v84 offset:384
	;; [unrolled: 1-line block ×7, first 2 shown]
	s_wait_dscnt 0x6
	;;#ASMSTART
	v_dot2_f32_f16 v102, v0, v18, v102
	;;#ASMEND
	;;#ASMSTART
	v_dot2_f32_f16 v102, v1, v19, v102
	;;#ASMEND
	;;#ASMSTART
	v_dot2_f32_f16 v102, v2, v20, v102
	;;#ASMEND
	;;#ASMSTART
	v_dot2_f32_f16 v102, v3, v21, v102
	;;#ASMEND
	s_wait_dscnt 0x5
	;;#ASMSTART
	v_dot2_f32_f16 v103, v0, v118, v103
	;;#ASMEND
	;;#ASMSTART
	v_dot2_f32_f16 v103, v1, v119, v103
	;;#ASMEND
	;;#ASMSTART
	v_dot2_f32_f16 v103, v2, v120, v103
	;;#ASMEND
	;;#ASMSTART
	v_dot2_f32_f16 v103, v3, v121, v103
	;;#ASMEND
	;; [unrolled: 13-line block ×5, first 2 shown]
	;;#ASMSTART
	v_dot2_f32_f16 v107, v130, v118, v107
	;;#ASMEND
	;;#ASMSTART
	v_dot2_f32_f16 v107, v131, v119, v107
	;;#ASMEND
	;; [unrolled: 3-line block ×12, first 2 shown]
	s_wait_dscnt 0x1
	;;#ASMSTART
	v_dot2_f32_f16 v110, v134, v18, v110
	;;#ASMEND
	;;#ASMSTART
	v_dot2_f32_f16 v110, v135, v19, v110
	;;#ASMEND
	;; [unrolled: 3-line block ×16, first 2 shown]
	s_wait_dscnt 0x0
	;;#ASMSTART
	v_dot2_f32_f16 v114, v138, v18, v114
	;;#ASMEND
	;;#ASMSTART
	v_dot2_f32_f16 v114, v139, v19, v114
	;;#ASMEND
	;; [unrolled: 3-line block ×16, first 2 shown]
	ds_load_b128 v[0:3], v85 offset:16
	ds_load_b128 v[18:21], v84 offset:144
	;; [unrolled: 1-line block ×8, first 2 shown]
	s_wait_dscnt 0x6
	;;#ASMSTART
	v_dot2_f32_f16 v102, v0, v18, v102
	;;#ASMEND
	;;#ASMSTART
	v_dot2_f32_f16 v102, v1, v19, v102
	;;#ASMEND
	;;#ASMSTART
	v_dot2_f32_f16 v102, v2, v20, v102
	;;#ASMEND
	;;#ASMSTART
	v_dot2_f32_f16 v102, v3, v21, v102
	;;#ASMEND
	s_wait_dscnt 0x5
	;;#ASMSTART
	v_dot2_f32_f16 v103, v0, v118, v103
	;;#ASMEND
	;;#ASMSTART
	v_dot2_f32_f16 v103, v1, v119, v103
	;;#ASMEND
	;;#ASMSTART
	v_dot2_f32_f16 v103, v2, v120, v103
	;;#ASMEND
	;;#ASMSTART
	v_dot2_f32_f16 v103, v3, v121, v103
	;;#ASMEND
	;; [unrolled: 13-line block ×5, first 2 shown]
	;;#ASMSTART
	v_dot2_f32_f16 v107, v130, v118, v107
	;;#ASMEND
	;;#ASMSTART
	v_dot2_f32_f16 v107, v131, v119, v107
	;;#ASMEND
	;;#ASMSTART
	v_dot2_f32_f16 v107, v132, v120, v107
	;;#ASMEND
	;;#ASMSTART
	v_dot2_f32_f16 v107, v133, v121, v107
	;;#ASMEND
	;;#ASMSTART
	v_dot2_f32_f16 v108, v130, v122, v108
	;;#ASMEND
	;;#ASMSTART
	v_dot2_f32_f16 v108, v131, v123, v108
	;;#ASMEND
	;;#ASMSTART
	v_dot2_f32_f16 v108, v132, v124, v108
	;;#ASMEND
	;;#ASMSTART
	v_dot2_f32_f16 v108, v133, v125, v108
	;;#ASMEND
	;;#ASMSTART
	v_dot2_f32_f16 v109, v130, v126, v109
	;;#ASMEND
	;;#ASMSTART
	v_dot2_f32_f16 v109, v131, v127, v109
	;;#ASMEND
	;;#ASMSTART
	v_dot2_f32_f16 v109, v132, v128, v109
	;;#ASMEND
	;;#ASMSTART
	v_dot2_f32_f16 v109, v133, v129, v109
	;;#ASMEND
	s_wait_dscnt 0x1
	;;#ASMSTART
	v_dot2_f32_f16 v110, v134, v18, v110
	;;#ASMEND
	;;#ASMSTART
	v_dot2_f32_f16 v110, v135, v19, v110
	;;#ASMEND
	;; [unrolled: 3-line block ×16, first 2 shown]
	s_wait_dscnt 0x0
	;;#ASMSTART
	v_dot2_f32_f16 v114, v138, v18, v114
	;;#ASMEND
	;;#ASMSTART
	v_dot2_f32_f16 v114, v139, v19, v114
	;;#ASMEND
	;; [unrolled: 3-line block ×16, first 2 shown]
	ds_load_b128 v[0:3], v85 offset:32
	ds_load_b128 v[18:21], v84 offset:160
	;; [unrolled: 1-line block ×8, first 2 shown]
	s_wait_dscnt 0x6
	;;#ASMSTART
	v_dot2_f32_f16 v102, v0, v18, v102
	;;#ASMEND
	;;#ASMSTART
	v_dot2_f32_f16 v102, v1, v19, v102
	;;#ASMEND
	;;#ASMSTART
	v_dot2_f32_f16 v102, v2, v20, v102
	;;#ASMEND
	;;#ASMSTART
	v_dot2_f32_f16 v102, v3, v21, v102
	;;#ASMEND
	s_wait_dscnt 0x5
	;;#ASMSTART
	v_dot2_f32_f16 v103, v0, v118, v103
	;;#ASMEND
	;;#ASMSTART
	v_dot2_f32_f16 v103, v1, v119, v103
	;;#ASMEND
	;;#ASMSTART
	v_dot2_f32_f16 v103, v2, v120, v103
	;;#ASMEND
	;;#ASMSTART
	v_dot2_f32_f16 v103, v3, v121, v103
	;;#ASMEND
	;; [unrolled: 13-line block ×5, first 2 shown]
	;;#ASMSTART
	v_dot2_f32_f16 v107, v130, v118, v107
	;;#ASMEND
	;;#ASMSTART
	v_dot2_f32_f16 v107, v131, v119, v107
	;;#ASMEND
	;; [unrolled: 3-line block ×12, first 2 shown]
	s_wait_dscnt 0x1
	;;#ASMSTART
	v_dot2_f32_f16 v110, v134, v18, v110
	;;#ASMEND
	;;#ASMSTART
	v_dot2_f32_f16 v110, v135, v19, v110
	;;#ASMEND
	;; [unrolled: 3-line block ×16, first 2 shown]
	s_wait_dscnt 0x0
	;;#ASMSTART
	v_dot2_f32_f16 v114, v138, v18, v114
	;;#ASMEND
	;;#ASMSTART
	v_dot2_f32_f16 v114, v139, v19, v114
	;;#ASMEND
	;; [unrolled: 3-line block ×16, first 2 shown]
	ds_load_b128 v[0:3], v85 offset:48
	ds_load_b128 v[18:21], v84 offset:176
	;; [unrolled: 1-line block ×8, first 2 shown]
	s_wait_dscnt 0x6
	;;#ASMSTART
	v_dot2_f32_f16 v102, v0, v18, v102
	;;#ASMEND
	;;#ASMSTART
	v_dot2_f32_f16 v102, v1, v19, v102
	;;#ASMEND
	;;#ASMSTART
	v_dot2_f32_f16 v102, v2, v20, v102
	;;#ASMEND
	;;#ASMSTART
	v_dot2_f32_f16 v102, v3, v21, v102
	;;#ASMEND
	s_wait_dscnt 0x5
	;;#ASMSTART
	v_dot2_f32_f16 v103, v0, v118, v103
	;;#ASMEND
	;;#ASMSTART
	v_dot2_f32_f16 v103, v1, v119, v103
	;;#ASMEND
	;;#ASMSTART
	v_dot2_f32_f16 v103, v2, v120, v103
	;;#ASMEND
	;;#ASMSTART
	v_dot2_f32_f16 v103, v3, v121, v103
	;;#ASMEND
	;; [unrolled: 13-line block ×5, first 2 shown]
	;;#ASMSTART
	v_dot2_f32_f16 v107, v130, v118, v107
	;;#ASMEND
	;;#ASMSTART
	v_dot2_f32_f16 v107, v131, v119, v107
	;;#ASMEND
	;; [unrolled: 3-line block ×12, first 2 shown]
	s_wait_dscnt 0x1
	;;#ASMSTART
	v_dot2_f32_f16 v110, v134, v18, v110
	;;#ASMEND
	;;#ASMSTART
	v_dot2_f32_f16 v110, v135, v19, v110
	;;#ASMEND
	;; [unrolled: 3-line block ×16, first 2 shown]
	s_wait_dscnt 0x0
	;;#ASMSTART
	v_dot2_f32_f16 v114, v138, v18, v114
	;;#ASMEND
	;;#ASMSTART
	v_dot2_f32_f16 v114, v139, v19, v114
	;;#ASMEND
	;; [unrolled: 3-line block ×16, first 2 shown]
	ds_load_b128 v[0:3], v85 offset:64
	ds_load_b128 v[18:21], v84 offset:192
	;; [unrolled: 1-line block ×8, first 2 shown]
	s_wait_dscnt 0x6
	;;#ASMSTART
	v_dot2_f32_f16 v102, v0, v18, v102
	;;#ASMEND
	;;#ASMSTART
	v_dot2_f32_f16 v102, v1, v19, v102
	;;#ASMEND
	;;#ASMSTART
	v_dot2_f32_f16 v102, v2, v20, v102
	;;#ASMEND
	;;#ASMSTART
	v_dot2_f32_f16 v102, v3, v21, v102
	;;#ASMEND
	s_wait_dscnt 0x5
	;;#ASMSTART
	v_dot2_f32_f16 v103, v0, v118, v103
	;;#ASMEND
	;;#ASMSTART
	v_dot2_f32_f16 v103, v1, v119, v103
	;;#ASMEND
	;;#ASMSTART
	v_dot2_f32_f16 v103, v2, v120, v103
	;;#ASMEND
	;;#ASMSTART
	v_dot2_f32_f16 v103, v3, v121, v103
	;;#ASMEND
	;; [unrolled: 13-line block ×5, first 2 shown]
	;;#ASMSTART
	v_dot2_f32_f16 v107, v130, v118, v107
	;;#ASMEND
	;;#ASMSTART
	v_dot2_f32_f16 v107, v131, v119, v107
	;;#ASMEND
	;; [unrolled: 3-line block ×12, first 2 shown]
	s_wait_dscnt 0x1
	;;#ASMSTART
	v_dot2_f32_f16 v110, v134, v18, v110
	;;#ASMEND
	;;#ASMSTART
	v_dot2_f32_f16 v110, v135, v19, v110
	;;#ASMEND
	;;#ASMSTART
	v_dot2_f32_f16 v110, v136, v20, v110
	;;#ASMEND
	;;#ASMSTART
	v_dot2_f32_f16 v110, v137, v21, v110
	;;#ASMEND
	;;#ASMSTART
	v_dot2_f32_f16 v111, v134, v118, v111
	;;#ASMEND
	;;#ASMSTART
	v_dot2_f32_f16 v111, v135, v119, v111
	;;#ASMEND
	;;#ASMSTART
	v_dot2_f32_f16 v111, v136, v120, v111
	;;#ASMEND
	;;#ASMSTART
	v_dot2_f32_f16 v111, v137, v121, v111
	;;#ASMEND
	;;#ASMSTART
	v_dot2_f32_f16 v112, v134, v122, v112
	;;#ASMEND
	;;#ASMSTART
	v_dot2_f32_f16 v112, v135, v123, v112
	;;#ASMEND
	;;#ASMSTART
	v_dot2_f32_f16 v112, v136, v124, v112
	;;#ASMEND
	;;#ASMSTART
	v_dot2_f32_f16 v112, v137, v125, v112
	;;#ASMEND
	;;#ASMSTART
	v_dot2_f32_f16 v113, v134, v126, v113
	;;#ASMEND
	;;#ASMSTART
	v_dot2_f32_f16 v113, v135, v127, v113
	;;#ASMEND
	;;#ASMSTART
	v_dot2_f32_f16 v113, v136, v128, v113
	;;#ASMEND
	;;#ASMSTART
	v_dot2_f32_f16 v113, v137, v129, v113
	;;#ASMEND
	s_wait_dscnt 0x0
	;;#ASMSTART
	v_dot2_f32_f16 v114, v138, v18, v114
	;;#ASMEND
	;;#ASMSTART
	v_dot2_f32_f16 v114, v139, v19, v114
	;;#ASMEND
	;; [unrolled: 3-line block ×16, first 2 shown]
	ds_load_b128 v[0:3], v85 offset:80
	ds_load_b128 v[18:21], v84 offset:208
	;; [unrolled: 1-line block ×8, first 2 shown]
	s_wait_dscnt 0x6
	;;#ASMSTART
	v_dot2_f32_f16 v102, v0, v18, v102
	;;#ASMEND
	;;#ASMSTART
	v_dot2_f32_f16 v102, v1, v19, v102
	;;#ASMEND
	;;#ASMSTART
	v_dot2_f32_f16 v102, v2, v20, v102
	;;#ASMEND
	;;#ASMSTART
	v_dot2_f32_f16 v102, v3, v21, v102
	;;#ASMEND
	s_wait_dscnt 0x5
	;;#ASMSTART
	v_dot2_f32_f16 v103, v0, v118, v103
	;;#ASMEND
	;;#ASMSTART
	v_dot2_f32_f16 v103, v1, v119, v103
	;;#ASMEND
	;;#ASMSTART
	v_dot2_f32_f16 v103, v2, v120, v103
	;;#ASMEND
	;;#ASMSTART
	v_dot2_f32_f16 v103, v3, v121, v103
	;;#ASMEND
	;; [unrolled: 13-line block ×5, first 2 shown]
	;;#ASMSTART
	v_dot2_f32_f16 v107, v130, v118, v107
	;;#ASMEND
	;;#ASMSTART
	v_dot2_f32_f16 v107, v131, v119, v107
	;;#ASMEND
	;;#ASMSTART
	v_dot2_f32_f16 v107, v132, v120, v107
	;;#ASMEND
	;;#ASMSTART
	v_dot2_f32_f16 v107, v133, v121, v107
	;;#ASMEND
	;;#ASMSTART
	v_dot2_f32_f16 v108, v130, v122, v108
	;;#ASMEND
	;;#ASMSTART
	v_dot2_f32_f16 v108, v131, v123, v108
	;;#ASMEND
	;;#ASMSTART
	v_dot2_f32_f16 v108, v132, v124, v108
	;;#ASMEND
	;;#ASMSTART
	v_dot2_f32_f16 v108, v133, v125, v108
	;;#ASMEND
	;;#ASMSTART
	v_dot2_f32_f16 v109, v130, v126, v109
	;;#ASMEND
	;;#ASMSTART
	v_dot2_f32_f16 v109, v131, v127, v109
	;;#ASMEND
	;;#ASMSTART
	v_dot2_f32_f16 v109, v132, v128, v109
	;;#ASMEND
	;;#ASMSTART
	v_dot2_f32_f16 v109, v133, v129, v109
	;;#ASMEND
	s_wait_dscnt 0x1
	;;#ASMSTART
	v_dot2_f32_f16 v110, v134, v18, v110
	;;#ASMEND
	;;#ASMSTART
	v_dot2_f32_f16 v110, v135, v19, v110
	;;#ASMEND
	;;#ASMSTART
	v_dot2_f32_f16 v110, v136, v20, v110
	;;#ASMEND
	;;#ASMSTART
	v_dot2_f32_f16 v110, v137, v21, v110
	;;#ASMEND
	;;#ASMSTART
	v_dot2_f32_f16 v111, v134, v118, v111
	;;#ASMEND
	;;#ASMSTART
	v_dot2_f32_f16 v111, v135, v119, v111
	;;#ASMEND
	;;#ASMSTART
	v_dot2_f32_f16 v111, v136, v120, v111
	;;#ASMEND
	;;#ASMSTART
	v_dot2_f32_f16 v111, v137, v121, v111
	;;#ASMEND
	;;#ASMSTART
	v_dot2_f32_f16 v112, v134, v122, v112
	;;#ASMEND
	;;#ASMSTART
	v_dot2_f32_f16 v112, v135, v123, v112
	;;#ASMEND
	;;#ASMSTART
	v_dot2_f32_f16 v112, v136, v124, v112
	;;#ASMEND
	;;#ASMSTART
	v_dot2_f32_f16 v112, v137, v125, v112
	;;#ASMEND
	;;#ASMSTART
	v_dot2_f32_f16 v113, v134, v126, v113
	;;#ASMEND
	;;#ASMSTART
	v_dot2_f32_f16 v113, v135, v127, v113
	;;#ASMEND
	;;#ASMSTART
	v_dot2_f32_f16 v113, v136, v128, v113
	;;#ASMEND
	;;#ASMSTART
	v_dot2_f32_f16 v113, v137, v129, v113
	;;#ASMEND
	s_wait_dscnt 0x0
	;;#ASMSTART
	v_dot2_f32_f16 v114, v138, v18, v114
	;;#ASMEND
	;;#ASMSTART
	v_dot2_f32_f16 v114, v139, v19, v114
	;;#ASMEND
	;; [unrolled: 3-line block ×16, first 2 shown]
	ds_load_b128 v[0:3], v85 offset:96
	ds_load_b128 v[18:21], v84 offset:224
	;; [unrolled: 1-line block ×8, first 2 shown]
	s_wait_dscnt 0x6
	;;#ASMSTART
	v_dot2_f32_f16 v102, v0, v18, v102
	;;#ASMEND
	;;#ASMSTART
	v_dot2_f32_f16 v102, v1, v19, v102
	;;#ASMEND
	;;#ASMSTART
	v_dot2_f32_f16 v102, v2, v20, v102
	;;#ASMEND
	;;#ASMSTART
	v_dot2_f32_f16 v102, v3, v21, v102
	;;#ASMEND
	s_wait_dscnt 0x5
	;;#ASMSTART
	v_dot2_f32_f16 v103, v0, v118, v103
	;;#ASMEND
	;;#ASMSTART
	v_dot2_f32_f16 v103, v1, v119, v103
	;;#ASMEND
	;;#ASMSTART
	v_dot2_f32_f16 v103, v2, v120, v103
	;;#ASMEND
	;;#ASMSTART
	v_dot2_f32_f16 v103, v3, v121, v103
	;;#ASMEND
	;; [unrolled: 13-line block ×5, first 2 shown]
	;;#ASMSTART
	v_dot2_f32_f16 v107, v130, v118, v107
	;;#ASMEND
	;;#ASMSTART
	v_dot2_f32_f16 v107, v131, v119, v107
	;;#ASMEND
	;; [unrolled: 3-line block ×12, first 2 shown]
	s_wait_dscnt 0x1
	;;#ASMSTART
	v_dot2_f32_f16 v110, v134, v18, v110
	;;#ASMEND
	;;#ASMSTART
	v_dot2_f32_f16 v110, v135, v19, v110
	;;#ASMEND
	;; [unrolled: 3-line block ×16, first 2 shown]
	s_wait_dscnt 0x0
	;;#ASMSTART
	v_dot2_f32_f16 v114, v138, v18, v114
	;;#ASMEND
	;;#ASMSTART
	v_dot2_f32_f16 v114, v139, v19, v114
	;;#ASMEND
	;; [unrolled: 3-line block ×16, first 2 shown]
	ds_load_b128 v[0:3], v85 offset:112
	ds_load_b128 v[18:21], v84 offset:240
	;; [unrolled: 1-line block ×8, first 2 shown]
	s_wait_dscnt 0x6
	;;#ASMSTART
	v_dot2_f32_f16 v102, v0, v18, v102
	;;#ASMEND
	;;#ASMSTART
	v_dot2_f32_f16 v102, v1, v19, v102
	;;#ASMEND
	;;#ASMSTART
	v_dot2_f32_f16 v102, v2, v20, v102
	;;#ASMEND
	;;#ASMSTART
	v_dot2_f32_f16 v102, v3, v21, v102
	;;#ASMEND
	s_wait_dscnt 0x5
	;;#ASMSTART
	v_dot2_f32_f16 v103, v0, v118, v103
	;;#ASMEND
	;;#ASMSTART
	v_dot2_f32_f16 v103, v1, v119, v103
	;;#ASMEND
	;;#ASMSTART
	v_dot2_f32_f16 v103, v2, v120, v103
	;;#ASMEND
	;;#ASMSTART
	v_dot2_f32_f16 v103, v3, v121, v103
	;;#ASMEND
	;; [unrolled: 13-line block ×5, first 2 shown]
	;;#ASMSTART
	v_dot2_f32_f16 v107, v130, v118, v107
	;;#ASMEND
	;;#ASMSTART
	v_dot2_f32_f16 v107, v131, v119, v107
	;;#ASMEND
	;; [unrolled: 3-line block ×12, first 2 shown]
	s_wait_dscnt 0x1
	;;#ASMSTART
	v_dot2_f32_f16 v110, v134, v18, v110
	;;#ASMEND
	;;#ASMSTART
	v_dot2_f32_f16 v110, v135, v19, v110
	;;#ASMEND
	;; [unrolled: 3-line block ×16, first 2 shown]
	s_wait_dscnt 0x0
	;;#ASMSTART
	v_dot2_f32_f16 v114, v138, v18, v114
	;;#ASMEND
	;;#ASMSTART
	v_dot2_f32_f16 v114, v139, v19, v114
	;;#ASMEND
	;; [unrolled: 3-line block ×16, first 2 shown]
	s_clause 0x7
	global_load_u16 v0, v39, s[44:45] scale_offset
	global_load_u16 v1, v39, s[44:45] offset:64 scale_offset
	global_load_u16 v2, v39, s[44:45] offset:128 scale_offset
	global_load_u16 v3, v39, s[44:45] offset:192 scale_offset
	global_load_u16 v18, v101, s[44:45] scale_offset
	global_load_u16 v19, v101, s[44:45] offset:64 scale_offset
	global_load_u16 v20, v101, s[44:45] offset:128 scale_offset
	;; [unrolled: 1-line block ×3, first 2 shown]
	s_wait_loadcnt 0x0
	s_barrier_signal -1
	s_barrier_wait -1
	v_cvt_f32_f16_e32 v0, v0
	v_cvt_f32_f16_e32 v1, v1
	v_lshlrev_b32_e32 v34, 2, v5
	v_cvt_f32_f16_e32 v2, v2
	v_cvt_f32_f16_e32 v3, v3
	s_wait_xcnt 0x4
	v_add_f32_e32 v39, v102, v0
	s_wait_xcnt 0x0
	v_dual_add_f32 v101, v106, v1 :: v_dual_add_f32 v103, v103, v0
	v_cvt_f32_f16_e32 v21, v21
	v_cvt_f32_f16_e32 v18, v18
	;; [unrolled: 1-line block ×4, first 2 shown]
	v_dual_add_f32 v102, v110, v2 :: v_dual_add_f32 v107, v107, v1
	v_dual_add_f32 v106, v114, v3 :: v_dual_add_f32 v110, v111, v2
	v_dual_add_f32 v114, v116, v21 :: v_dual_add_f32 v21, v117, v21
	v_dual_add_f32 v0, 0x40051340, v39 :: v_dual_add_f32 v1, 0x40051340, v101
	s_delay_alu instid0(VALU_DEP_4)
	v_dual_add_f32 v2, 0x40051340, v102 :: v_dual_add_f32 v111, v115, v3
	v_add_f32_e32 v104, v104, v18
	v_dual_add_f32 v108, v108, v19 :: v_dual_add_f32 v18, v105, v18
	v_add_f32_e32 v3, 0x40051340, v106
	v_max3_num_f32 v0, v22, v0, v1
	v_dual_add_f32 v112, v112, v20 :: v_dual_add_f32 v19, v109, v19
	v_add_f32_e32 v105, 0x40051340, v103
	v_dual_add_f32 v109, 0x40051340, v107 :: v_dual_add_f32 v120, 0x40051340, v18
	v_add_f32_e32 v116, 0x40051340, v104
	v_max3_num_f32 v0, v0, v2, v3
	v_add_f32_e32 v117, 0x40051340, v108
	v_add_f32_e32 v20, v113, v20
	v_dual_add_f32 v118, 0x40051340, v112 :: v_dual_add_f32 v119, 0x40051340, v114
	v_max3_num_f32 v1, v23, v105, v109
	s_delay_alu instid0(VALU_DEP_4) | instskip(NEXT) | instid1(VALU_DEP_4)
	v_max3_num_f32 v105, v32, v116, v117
	v_dual_add_f32 v113, 0x40051340, v110 :: v_dual_add_f32 v122, 0x40051340, v20
	v_add_f32_e32 v115, 0x40051340, v111
	v_add_f32_e32 v121, 0x40051340, v19
	s_delay_alu instid0(VALU_DEP_4)
	v_max3_num_f32 v2, v105, v118, v119
	ds_bpermute_b32 v105, v38, v0
	v_add_nc_u64_e32 v[4:5], s[6:7], v[54:55]
	v_max3_num_f32 v1, v1, v113, v115
	v_max3_num_f32 v109, v33, v120, v121
	ds_bpermute_b32 v113, v38, v2
	v_add_nc_u64_e32 v[4:5], v[4:5], v[56:57]
	s_wait_dscnt 0x1
	v_max_num_f32_e32 v105, v105, v105
	s_wait_dscnt 0x0
	v_max_num_f32_e32 v113, v113, v113
	s_delay_alu instid0(VALU_DEP_2) | instskip(SKIP_1) | instid1(VALU_DEP_3)
	v_max_num_f32_e32 v0, v0, v105
	v_add_f32_e32 v123, 0x40051340, v21
	v_max_num_f32_e32 v2, v2, v113
	s_delay_alu instid0(VALU_DEP_2) | instskip(SKIP_4) | instid1(VALU_DEP_1)
	v_max3_num_f32 v3, v109, v122, v123
	ds_bpermute_b32 v109, v38, v1
	ds_bpermute_b32 v38, v38, v3
	s_wait_dscnt 0x0
	v_dual_max_num_f32 v109, v109, v109 :: v_dual_max_num_f32 v38, v38, v38
	v_max_num_f32_e32 v1, v1, v109
	ds_bpermute_b32 v109, v37, v2
	v_max_num_f32_e32 v3, v3, v38
	ds_bpermute_b32 v38, v37, v0
	s_wait_dscnt 0x0
	v_dual_max_num_f32 v109, v109, v109 :: v_dual_max_num_f32 v38, v38, v38
	s_delay_alu instid0(VALU_DEP_1) | instskip(SKIP_4) | instid1(VALU_DEP_1)
	v_max_num_f32_e32 v2, v2, v109
	ds_bpermute_b32 v105, v37, v1
	ds_bpermute_b32 v37, v37, v3
	s_wait_dscnt 0x0
	v_dual_max_num_f32 v0, v0, v38 :: v_dual_max_num_f32 v37, v37, v37
	v_max_num_f32_e32 v3, v3, v37
	ds_bpermute_b32 v37, v36, v0
	s_wait_dscnt 0x0
	v_max_num_f32_e32 v37, v37, v37
	v_max_num_f32_e32 v105, v105, v105
	s_delay_alu instid0(VALU_DEP_1) | instskip(SKIP_3) | instid1(VALU_DEP_1)
	v_max_num_f32_e32 v1, v1, v105
	ds_bpermute_b32 v105, v36, v2
	s_wait_dscnt 0x0
	v_max_num_f32_e32 v105, v105, v105
	v_max_num_f32_e32 v2, v2, v105
	ds_bpermute_b32 v38, v36, v1
	ds_bpermute_b32 v36, v36, v3
	s_wait_dscnt 0x0
	v_dual_max_num_f32 v38, v38, v38 :: v_dual_max_num_f32 v36, v36, v36
	s_delay_alu instid0(VALU_DEP_1) | instskip(NEXT) | instid1(VALU_DEP_2)
	v_dual_max_num_f32 v0, v0, v37 :: v_dual_max_num_f32 v1, v1, v38
	v_max_num_f32_e32 v3, v3, v36
	ds_bpermute_b32 v36, v35, v0
	ds_bpermute_b32 v38, v35, v2
	;; [unrolled: 1-line block ×4, first 2 shown]
	s_wait_dscnt 0x2
	v_dual_max_num_f32 v36, v36, v36 :: v_dual_max_num_f32 v38, v38, v38
	s_wait_dscnt 0x0
	v_dual_max_num_f32 v37, v37, v37 :: v_dual_max_num_f32 v35, v35, v35
	s_delay_alu instid0(VALU_DEP_2) | instskip(NEXT) | instid1(VALU_DEP_2)
	v_dual_max_num_f32 v0, v0, v36 :: v_dual_max_num_f32 v2, v2, v38
	v_max_num_f32_e32 v1, v1, v37
	ds_bpermute_b32 v37, v34, v2
	ds_bpermute_b32 v36, v34, v1
	v_max_num_f32_e32 v3, v3, v35
	ds_bpermute_b32 v35, v34, v0
	s_wait_dscnt 0x1
	v_dual_max_num_f32 v37, v37, v37 :: v_dual_max_num_f32 v36, v36, v36
	ds_bpermute_b32 v34, v34, v3
	s_wait_dscnt 0x1
	v_dual_max_num_f32 v35, v35, v35 :: v_dual_max_num_f32 v2, v2, v37
	s_delay_alu instid0(VALU_DEP_1) | instskip(NEXT) | instid1(VALU_DEP_2)
	v_dual_max_num_f32 v1, v1, v36 :: v_dual_max_num_f32 v0, v0, v35
	v_sub_f32_e32 v104, v104, v2
	s_delay_alu instid0(VALU_DEP_2) | instskip(NEXT) | instid1(VALU_DEP_3)
	v_dual_sub_f32 v105, v108, v2 :: v_dual_sub_f32 v109, v110, v1
	v_dual_sub_f32 v110, v111, v1 :: v_dual_sub_f32 v106, v106, v0
	;; [unrolled: 1-line block ×5, first 2 shown]
	v_dual_sub_f32 v117, v23, v1 :: v_dual_mul_f32 v22, 0x3fb8aa3b, v104
	s_wait_dscnt 0x0
	v_dual_mul_f32 v23, 0x3fb8aa3b, v105 :: v_dual_max_num_f32 v34, v34, v34
	v_sub_f32_e32 v116, v32, v2
	v_mul_f32_e32 v35, 0x3fb8aa3b, v106
	v_fma_f32 v131, 0x3fb8aa3b, v104, -v22
	s_delay_alu instid0(VALU_DEP_4) | instskip(SKIP_4) | instid1(VALU_DEP_4)
	v_fma_f32 v132, 0x3fb8aa3b, v105, -v23
	v_max_num_f32_e32 v3, v3, v34
	v_dual_sub_f32 v103, v107, v1 :: v_dual_sub_f32 v112, v114, v2
	v_fma_f32 v136, 0x3fb8aa3b, v106, -v35
	v_rndne_f32_e32 v149, v22
	v_dual_sub_f32 v107, v18, v3 :: v_dual_mul_f32 v18, 0x3fb8aa3b, v38
	v_dual_sub_f32 v108, v19, v3 :: v_dual_sub_f32 v113, v20, v3
	v_sub_f32_e32 v114, v21, v3
	v_dual_mul_f32 v19, 0x3fb8aa3b, v39 :: v_dual_mul_f32 v20, 0x3fb8aa3b, v101
	v_mul_f32_e32 v21, 0x3fb8aa3b, v103
	v_fma_f32 v127, 0x3fb8aa3b, v38, -v18
	v_rndne_f32_e32 v144, v18
	v_sub_f32_e32 v115, v33, v3
	v_mul_f32_e32 v33, 0x3fb8aa3b, v108
	v_fma_f32 v128, 0x3fb8aa3b, v39, -v19
	v_fma_f32 v129, 0x3fb8aa3b, v101, -v20
	v_rndne_f32_e32 v147, v19
	v_dual_fmac_f32 v127, 0x32a5705f, v38 :: v_dual_sub_f32 v18, v18, v144
	v_mul_f32_e32 v126, 0x3fb8aa3b, v118
	s_delay_alu instid0(VALU_DEP_4) | instskip(NEXT) | instid1(VALU_DEP_4)
	v_dual_fmac_f32 v128, 0x32a5705f, v39 :: v_dual_fmac_f32 v129, 0x32a5705f, v101
	v_sub_f32_e32 v19, v19, v147
	s_delay_alu instid0(VALU_DEP_4)
	v_add_f32_e32 v18, v18, v127
	v_rndne_f32_e32 v127, v20
	v_mul_f32_e32 v32, 0x3fb8aa3b, v107
	v_fma_f32 v130, 0x3fb8aa3b, v103, -v21
	v_add_f32_e32 v128, v19, v128
	v_rndne_f32_e32 v148, v21
	v_dual_sub_f32 v19, v20, v127 :: v_dual_fmac_f32 v132, 0x32a5705f, v105
	s_delay_alu instid0(VALU_DEP_4) | instskip(SKIP_1) | instid1(VALU_DEP_3)
	v_fmac_f32_e32 v130, 0x32a5705f, v103
	v_dual_mul_f32 v120, 0x3fb8aa3b, v112 :: v_dual_mul_f32 v121, 0x3fb8aa3b, v113
	v_dual_add_f32 v129, v19, v129 :: v_dual_sub_f32 v19, v21, v148
	v_fmac_f32_e32 v136, 0x32a5705f, v106
	v_fma_f32 v134, 0x3fb8aa3b, v108, -v33
	v_rndne_f32_e32 v150, v23
	s_delay_alu instid0(VALU_DEP_4) | instskip(NEXT) | instid1(VALU_DEP_3)
	v_dual_fmac_f32 v131, 0x32a5705f, v104 :: v_dual_add_f32 v130, v19, v130
	v_dual_sub_f32 v19, v22, v149 :: v_dual_fmac_f32 v134, 0x32a5705f, v108
	v_dual_mul_f32 v36, 0x3fb8aa3b, v109 :: v_dual_mul_f32 v37, 0x3fb8aa3b, v110
	v_fma_f32 v133, 0x3fb8aa3b, v107, -v32
	v_fma_f32 v140, 0x3fb8aa3b, v112, -v120
	s_delay_alu instid0(VALU_DEP_4)
	v_add_f32_e32 v131, v19, v131
	v_rndne_f32_e32 v151, v32
	v_sub_f32_e32 v19, v23, v150
	v_dual_mul_f32 v34, 0x3fb8aa3b, v102 :: v_dual_mul_f32 v119, 0x3fb8aa3b, v111
	v_fma_f32 v138, 0x3fb8aa3b, v110, -v37
	v_rndne_f32_e32 v152, v33
	v_dual_fmac_f32 v133, 0x32a5705f, v107 :: v_dual_fmac_f32 v140, 0x32a5705f, v112
	v_dual_add_f32 v132, v19, v132 :: v_dual_sub_f32 v19, v32, v151
	s_delay_alu instid0(VALU_DEP_4) | instskip(SKIP_2) | instid1(VALU_DEP_4)
	v_fmac_f32_e32 v138, 0x32a5705f, v110
	v_dual_mul_f32 v122, 0x3fb8aa3b, v114 :: v_dual_mul_f32 v123, 0x3fb8aa3b, v115
	v_fma_f32 v135, 0x3fb8aa3b, v102, -v34
	v_dual_add_f32 v133, v19, v133 :: v_dual_sub_f32 v19, v33, v152
	v_rndne_f32_e32 v153, v34
	v_dual_mul_f32 v124, 0x3fb8aa3b, v116 :: v_dual_mul_f32 v125, 0x3fb8aa3b, v117
	v_fma_f32 v137, 0x3fb8aa3b, v109, -v36
	v_fma_f32 v142, 0x3fb8aa3b, v114, -v122
	v_add_f32_e32 v134, v19, v134
	v_rndne_f32_e32 v154, v35
	v_fmac_f32_e32 v135, 0x32a5705f, v102
	s_delay_alu instid0(VALU_DEP_4) | instskip(SKIP_3) | instid1(VALU_DEP_4)
	v_dual_sub_f32 v19, v34, v153 :: v_dual_fmac_f32 v142, 0x32a5705f, v114
	v_fma_f32 v146, 0x3fb8aa3b, v117, -v125
	v_rndne_f32_e32 v155, v36
	v_fmac_f32_e32 v137, 0x32a5705f, v109
	v_add_f32_e32 v135, v19, v135
	s_delay_alu instid0(VALU_DEP_4) | instskip(SKIP_3) | instid1(VALU_DEP_4)
	v_dual_sub_f32 v19, v35, v154 :: v_dual_fmac_f32 v146, 0x32a5705f, v117
	v_rndne_f32_e32 v156, v37
	v_fma_f32 v139, 0x3fb8aa3b, v111, -v119
	v_rndne_f32_e32 v157, v119
	v_dual_add_f32 v136, v19, v136 :: v_dual_sub_f32 v19, v36, v155
	v_rndne_f32_e32 v158, v120
	s_delay_alu instid0(VALU_DEP_4) | instskip(SKIP_4) | instid1(VALU_DEP_4)
	v_fmac_f32_e32 v139, 0x32a5705f, v111
	v_fma_f32 v141, 0x3fb8aa3b, v113, -v121
	v_cmp_ngt_f32_e64 s20, 0xc2ce8ed0, v39
	v_dual_add_f32 v137, v19, v137 :: v_dual_sub_f32 v19, v37, v156
	v_add_nc_u64_e32 v[34:35], v[8:9], v[56:57]
	v_fmac_f32_e32 v141, 0x32a5705f, v113
	v_exp_f32_e32 v8, v129
	v_fma_f32 v143, 0x3fb8aa3b, v115, -v123
	v_add_f32_e32 v138, v19, v138
	v_sub_f32_e32 v19, v119, v157
	v_fma_f32 v145, 0x3fb8aa3b, v116, -v124
	v_add_nc_u64_e32 v[32:33], v[6:7], v[56:57]
	v_cvt_i32_f32_e32 v6, v127
	v_cmp_ngt_f32_e32 vcc_lo, 0xc2ce8ed0, v101
	v_dual_add_f32 v119, v19, v139 :: v_dual_sub_f32 v19, v120, v158
	v_rndne_f32_e32 v139, v121
	v_fmac_f32_e32 v145, 0x32a5705f, v116
	v_fmac_f32_e32 v143, 0x32a5705f, v115
	v_ldexp_f32 v127, v8, v6
	v_add_f32_e32 v120, v19, v140
	v_rndne_f32_e32 v140, v122
	v_sub_f32_e32 v19, v121, v139
	v_exp_f32_e32 v18, v18
	v_cvt_i32_f32_e32 v21, v144
	v_exp_f32_e32 v9, v130
	v_cvt_i32_f32_e32 v7, v148
	v_dual_add_f32 v121, v19, v141 :: v_dual_sub_f32 v19, v122, v140
	v_rndne_f32_e32 v141, v123
	s_delay_alu instid0(TRANS32_DEP_2)
	v_ldexp_f32 v144, v18, v21
	v_add_nc_u64_e32 v[22:23], v[12:13], v[56:57]
	v_add_nc_u64_e32 v[36:37], v[10:11], v[56:57]
	v_add_f32_e32 v122, v19, v142
	v_rndne_f32_e32 v142, v124
	v_sub_f32_e32 v19, v123, v141
	v_exp_f32_e32 v10, v131
	v_exp_f32_e32 v11, v132
	v_ldexp_f32 v129, v9, v7
	v_cvt_i32_f32_e32 v8, v149
	v_dual_add_f32 v123, v19, v143 :: v_dual_sub_f32 v19, v124, v142
	v_rndne_f32_e32 v143, v125
	v_cvt_i32_f32_e32 v9, v150
	global_load_b128 v[4:7], v[4:5], off
	v_ldexp_f32 v130, v10, v8
	v_add_f32_e32 v124, v19, v145
	v_fma_f32 v19, 0x3fb8aa3b, v118, -v126
	v_sub_f32_e32 v20, v125, v143
	v_rndne_f32_e32 v145, v126
	v_ldexp_f32 v131, v11, v9
	global_load_b128 v[8:11], v[32:33], off
	v_fmac_f32_e32 v19, 0x32a5705f, v118
	v_dual_add_f32 v125, v20, v146 :: v_dual_sub_f32 v20, v126, v145
	s_wait_xcnt 0x0
	v_cvt_i32_f32_e32 v32, v154
	v_cvt_i32_f32_e32 v33, v155
	v_exp_f32_e32 v128, v128
	v_exp_f32_e32 v138, v138
	v_add_f32_e32 v126, v20, v19
	v_add_nc_u64_e32 v[18:19], s[2:3], v[62:63]
	v_add_nc_u64_e32 v[20:21], v[14:15], v[56:57]
	;; [unrolled: 1-line block ×3, first 2 shown]
	v_cvt_i32_f32_e32 v16, v151
	v_cvt_i32_f32_e32 v17, v152
	v_exp_f32_e32 v119, v119
	v_exp_f32_e32 v120, v120
	v_add_nc_u64_e32 v[12:13], v[18:19], v[56:57]
	v_exp_f32_e32 v18, v133
	v_exp_f32_e32 v19, v134
	v_exp_f32_e32 v121, v121
	v_exp_f32_e32 v122, v122
	v_exp_f32_e32 v124, v124
	v_exp_f32_e32 v126, v126
	v_exp_f32_e32 v135, v135
	v_ldexp_f32 v132, v18, v16
	v_ldexp_f32 v133, v19, v17
	global_load_b128 v[16:19], v[34:35], off
	s_wait_xcnt 0x0
	v_exp_f32_e32 v34, v136
	v_exp_f32_e32 v35, v137
	v_nop
	v_cvt_i32_f32_e32 v137, v156
	v_cvt_i32_f32_e32 v146, v157
	;; [unrolled: 1-line block ×5, first 2 shown]
	v_ldexp_f32 v134, v34, v32
	v_ldexp_f32 v136, v35, v33
	global_load_b128 v[32:35], v[36:37], off
	s_wait_xcnt 0x0
	v_cvt_i32_f32_e32 v36, v147
	v_cvt_i32_f32_e32 v147, v158
	;; [unrolled: 1-line block ×4, first 2 shown]
	v_exp_f32_e32 v123, v123
	v_exp_f32_e32 v125, v125
	v_cvt_i32_f32_e32 v141, v141
	v_cvt_i32_f32_e32 v143, v143
	v_cmp_ngt_f32_e64 s2, 0xc2ce8ed0, v103
	v_cmp_ngt_f32_e64 s3, 0xc2ce8ed0, v104
	;; [unrolled: 1-line block ×7, first 2 shown]
	v_ldexp_f32 v137, v138, v137
	v_cmp_ngt_f32_e64 s10, 0xc2ce8ed0, v110
	v_ldexp_f32 v119, v119, v146
	v_cmp_ngt_f32_e64 s11, 0xc2ce8ed0, v111
	;; [unrolled: 2-line block ×6, first 2 shown]
	v_ldexp_f32 v36, v128, v36
	v_ldexp_f32 v126, v126, v145
	v_cmp_ngt_f32_e64 s19, 0xc2ce8ed0, v118
	v_cmp_ngt_f32_e64 s8, 0xc2ce8ed0, v106
	v_ldexp_f32 v37, v135, v37
	v_cmp_ngt_f32_e64 s15, 0xc2ce8ed0, v102
	v_ldexp_f32 v123, v123, v141
	v_cmp_ngt_f32_e64 s16, 0xc2ce8ed0, v115
	v_ldexp_f32 v125, v125, v143
	v_cmp_ngt_f32_e64 s18, 0xc2ce8ed0, v117
	v_cndmask_b32_e64 v128, 0, v36, s20
	v_cmp_nlt_f32_e64 s20, 0x42b17218, v39
	v_cndmask_b32_e32 v39, 0, v127, vcc_lo
	v_cmp_nlt_f32_e32 vcc_lo, 0x42b17218, v101
	v_cndmask_b32_e64 v101, 0, v129, s2
	v_cmp_nlt_f32_e64 s2, 0x42b17218, v103
	v_cndmask_b32_e64 v103, 0, v130, s3
	v_cmp_nlt_f32_e64 s3, 0x42b17218, v104
	;; [unrolled: 2-line block ×4, first 2 shown]
	v_dual_cndmask_b32 v107, 0, v133, s6 :: v_dual_cndmask_b32 v127, 0, v134, s8
	v_cmp_nlt_f32_e64 s6, 0x42b17218, v108
	v_dual_cndmask_b32 v108, 0, v136, s9 :: v_dual_cndmask_b32 v129, 0, v137, s10
	v_cmp_nlt_f32_e64 s9, 0x42b17218, v109
	v_cmp_nlt_f32_e64 s10, 0x42b17218, v110
	v_dual_cndmask_b32 v109, 0, v119, s11 :: v_dual_cndmask_b32 v110, 0, v120, s12
	v_cmp_nlt_f32_e64 s11, 0x42b17218, v111
	;; [unrolled: 3-line block ×3, first 2 shown]
	v_cndmask_b32_e64 v114, 0, v124, s17
	v_cmp_nlt_f32_e64 s17, 0x42b17218, v116
	v_dual_cndmask_b32 v36, 0, v144, s7 :: v_dual_cndmask_b32 v116, 0, v126, s19
	v_cmp_nlt_f32_e64 s19, 0x42b17218, v38
	v_cmp_nlt_f32_e64 s8, 0x42b17218, v106
	;; [unrolled: 1-line block ×3, first 2 shown]
	v_dual_cndmask_b32 v106, 0, v37, s15 :: v_dual_cndmask_b32 v113, 0, v123, s16
	v_cmp_nlt_f32_e64 s15, 0x42b17218, v102
	v_cmp_nlt_f32_e64 s16, 0x42b17218, v115
	v_cndmask_b32_e64 v36, 0x7f800000, v36, s19
	v_cndmask_b32_e32 v37, 0x7f800000, v39, vcc_lo
	v_cndmask_b32_e64 v38, 0x7f800000, v128, s20
	v_cndmask_b32_e64 v39, 0x7f800000, v101, s2
	v_cndmask_b32_e64 v102, 0x7f800000, v103, s3
	v_cndmask_b32_e64 v103, 0x7f800000, v105, s5
	v_cndmask_b32_e64 v104, 0x7f800000, v104, s4
	v_cndmask_b32_e64 v105, 0x7f800000, v107, s6
	v_cndmask_b32_e64 v115, 0, v125, s18
	v_cmp_nlt_f32_e64 s7, 0x42b17218, v117
	v_cmp_nlt_f32_e64 s18, 0x42b17218, v118
	v_cndmask_b32_e64 v106, 0x7f800000, v106, s15
	v_cndmask_b32_e64 v107, 0x7f800000, v108, s9
	;; [unrolled: 1-line block ×9, first 2 shown]
	v_cvt_pk_f16_f32 v111, v102, v103
	v_cvt_pk_f16_f32 v110, v36, v37
	;; [unrolled: 1-line block ×4, first 2 shown]
	v_cndmask_b32_e64 v126, 0x7f800000, v114, s17
	v_cndmask_b32_e64 v128, 0x7f800000, v116, s18
	;; [unrolled: 1-line block ×3, first 2 shown]
	v_cvt_pk_f16_f32 v115, v108, v109
	v_cvt_pk_f16_f32 v114, v106, v107
	;; [unrolled: 1-line block ×4, first 2 shown]
	ds_store_2addr_b64 v93, v[110:111], v[112:113] offset1:32
	ds_store_2addr_b64 v93, v[114:115], v[116:117] offset0:64 offset1:96
	s_wait_loadcnt 0x3
	ds_store_b128 v87, v[4:7]
	s_wait_loadcnt 0x2
	ds_store_b128 v90, v[8:11]
	;; [unrolled: 2-line block ×4, first 2 shown]
	s_wait_dscnt 0x0
	s_barrier_signal -1
	s_barrier_wait -1
	ds_load_b128 v[8:11], v89
	ds_load_b128 v[16:19], v89 offset:16
	v_pk_add_f32 v[36:37], v[36:37], v[38:39]
	v_pk_add_f32 v[38:39], v[102:103], v[104:105]
	v_cvt_f16_f32_e32 v104, v127
	v_cvt_f16_f32_e64 v101, v128
	ds_load_2addr_b64 v[32:35], v72 offset1:32
	v_pk_add_f32 v[130:131], v[106:107], v[36:37]
	v_pk_add_f32 v[132:133], v[108:109], v[38:39]
	v_and_b32_e32 v136, 0xffff, v104
	v_and_b32_e32 v101, 0xffff, v101
	v_cvt_f16_f32_e64 v102, v129
	v_pk_add_f32 v[124:125], v[124:125], v[130:131]
	v_pk_add_f32 v[122:123], v[122:123], v[132:133]
	v_mul_u32_u24_e32 v130, 0x10001, v136
	v_cvt_f16_f32_e32 v103, v126
	v_and_b32_e32 v134, 0xffff, v102
	v_pk_fma_f32 v[46:47], v[46:47], v[128:129], v[124:125]
	v_pk_fma_f32 v[42:43], v[42:43], v[126:127], v[122:123]
	v_pk_mul_f16 v26, v26, v130
	v_pk_mul_f16 v27, v27, v130
	s_wait_dscnt 0x2
	v_dual_lshrrev_b32 v123, 16, v9 :: v_dual_lshrrev_b32 v127, 16, v11
	s_wait_dscnt 0x1
	v_dual_lshrrev_b32 v130, 16, v16 :: v_dual_lshrrev_b32 v131, 16, v17
	v_and_b32_e32 v132, 0xffff, v16
	v_mul_u32_u24_e32 v16, 0x10001, v101
	v_and_b32_e32 v135, 0xffff, v103
	v_and_b32_e32 v124, 0xffff, v8
	v_dual_lshrrev_b32 v136, 16, v18 :: v_dual_lshrrev_b32 v137, 16, v19
	v_and_b32_e32 v138, 0xffff, v18
	v_pk_mul_f16 v18, v31, v16
	v_mul_u32_u24_e32 v31, 0x10001, v123
	v_lshrrev_b32_e32 v122, 16, v8
	v_and_b32_e32 v125, 0xffff, v9
	v_and_b32_e32 v133, 0xffff, v17
	;; [unrolled: 1-line block ×3, first 2 shown]
	v_mul_u32_u24_e32 v17, 0x10001, v134
	v_mul_u32_u24_e32 v19, 0x10001, v124
	s_wait_dscnt 0x0
	v_pk_fma_f16 v26, v32, v31, v26
	v_pk_fma_f16 v27, v33, v31, v27
	v_mul_u32_u24_e32 v31, 0x10001, v135
	v_and_b32_e32 v128, 0xffff, v10
	v_pk_mul_f16 v29, v29, v17
	v_mul_u32_u24_e32 v101, 0x10001, v122
	v_pk_fma_f16 v122, v33, v19, v18
	v_pk_mul_f16 v18, v32, v19
	v_pk_mul_f16 v25, v25, v31
	v_mul_u32_u24_e32 v123, 0x10001, v125
	v_lshrrev_b32_e32 v126, 16, v10
	v_pk_mul_f16 v19, v32, v101
	v_pk_fma_f16 v30, v30, v16, v18
	v_pk_fma_f16 v29, v33, v101, v29
	v_pk_mul_f16 v32, v32, v123
	v_pk_fma_f16 v33, v33, v123, v25
	v_mul_u32_u24_e32 v123, 0x10001, v128
	v_and_b32_e32 v129, 0xffff, v11
	v_pk_fma_f16 v28, v28, v17, v19
	v_mul_u32_u24_e32 v124, 0x10001, v127
	ds_load_2addr_b64 v[36:39], v72 offset0:64 offset1:96
	ds_load_b128 v[102:105], v89 offset:32
	ds_load_b128 v[106:109], v89 offset:48
	ds_load_2addr_b64 v[110:113], v72 offset0:128 offset1:160
	ds_load_2addr_b64 v[4:7], v72 offset0:192 offset1:224
	ds_load_b128 v[114:117], v89 offset:64
	ds_load_b128 v[118:121], v89 offset:80
	v_pk_fma_f16 v122, v35, v123, v122
	v_pk_fma_f16 v123, v34, v123, v30
	v_mul_u32_u24_e32 v30, 0x10001, v126
	v_pk_fma_f16 v31, v24, v31, v32
	v_pk_fma_f16 v32, v34, v124, v26
	;; [unrolled: 1-line block ×3, first 2 shown]
	ds_load_b128 v[24:27], v89 offset:96
	v_pk_fma_f16 v126, v34, v30, v28
	v_mul_u32_u24_e32 v28, 0x10001, v129
	v_pk_fma_f16 v125, v35, v30, v29
	v_mul_u32_u24_e32 v130, 0x10001, v130
	ds_load_2addr_b64 v[8:11], v94 offset1:32
	ds_load_2addr_b64 v[16:19], v94 offset0:64 offset1:96
	v_pk_fma_f16 v33, v35, v28, v33
	v_pk_fma_f16 v34, v34, v28, v31
	v_mul_u32_u24_e32 v28, 0x10001, v131
	v_mul_u32_u24_e32 v131, 0x10001, v133
	s_wait_dscnt 0x8
	v_dual_lshrrev_b32 v140, 16, v102 :: v_dual_lshrrev_b32 v141, 16, v103
	v_and_b32_e32 v102, 0xffff, v102
	v_pk_fma_f16 v35, v37, v28, v101
	v_mul_u32_u24_e32 v101, 0x10001, v132
	v_pk_fma_f16 v32, v36, v28, v32
	v_mul_u32_u24_e32 v132, 0x10001, v137
	v_pk_fma_f16 v125, v37, v130, v125
	v_mul_u32_u24_e32 v133, 0x10001, v139
	v_pk_fma_f16 v122, v37, v101, v122
	v_pk_fma_f16 v37, v37, v131, v33
	;; [unrolled: 1-line block ×5, first 2 shown]
	v_mul_u32_u24_e32 v131, 0x10001, v138
	v_dual_lshrrev_b32 v142, 16, v104 :: v_dual_lshrrev_b32 v143, 16, v105
	v_and_b32_e32 v104, 0xffff, v104
	ds_load_b128 v[28:31], v89 offset:112
	v_pk_fma_f16 v126, v38, v132, v32
	v_pk_fma_f16 v130, v39, v132, v35
	;; [unrolled: 1-line block ×4, first 2 shown]
	s_wait_dscnt 0x3
	v_lshrrev_b32_e32 v131, 16, v24
	v_mul_u32_u24_e32 v132, 0x10001, v136
	v_pk_fma_f16 v37, v39, v133, v37
	v_pk_fma_f16 v36, v38, v133, v36
	v_and_b32_e32 v133, 0xffff, v24
	v_mul_u32_u24_e32 v24, 0x10001, v141
	v_mul_u32_u24_e32 v102, 0x10001, v102
	v_and_b32_e32 v103, 0xffff, v103
	v_pk_fma_f16 v125, v39, v132, v125
	v_pk_fma_f16 v123, v38, v132, v123
	;; [unrolled: 1-line block ×3, first 2 shown]
	v_mul_u32_u24_e32 v126, 0x10001, v140
	v_pk_fma_f16 v122, v111, v102, v122
	v_pk_fma_f16 v101, v110, v102, v101
	v_mul_u32_u24_e32 v104, 0x10001, v104
	v_and_b32_e32 v105, 0xffff, v105
	v_mul_u32_u24_e32 v103, 0x10001, v103
	v_pk_fma_f16 v125, v111, v126, v125
	v_pk_fma_f16 v102, v110, v126, v123
	;; [unrolled: 1-line block ×4, first 2 shown]
	v_mul_u32_u24_e32 v104, 0x10001, v142
	v_dual_lshrrev_b32 v144, 16, v106 :: v_dual_lshrrev_b32 v145, 16, v107
	v_pk_fma_f16 v39, v111, v24, v130
	v_mul_u32_u24_e32 v130, 0x10001, v143
	v_pk_fma_f16 v111, v111, v103, v37
	v_pk_fma_f16 v125, v113, v104, v125
	;; [unrolled: 1-line block ×3, first 2 shown]
	v_mul_u32_u24_e32 v104, 0x10001, v105
	v_and_b32_e32 v106, 0xffff, v106
	v_and_b32_e32 v107, 0xffff, v107
	v_pk_fma_f16 v103, v110, v103, v36
	v_pk_fma_f16 v110, v112, v130, v38
	;; [unrolled: 1-line block ×3, first 2 shown]
	ds_load_b128 v[36:39], v89 offset:128
	s_wait_dscnt 0x1
	v_dual_lshrrev_b32 v126, 16, v28 :: v_dual_lshrrev_b32 v130, 16, v29
	v_pk_fma_f16 v105, v113, v104, v111
	v_and_b32_e32 v111, 0xffff, v28
	v_mul_u32_u24_e32 v28, 0x10001, v145
	v_dual_lshrrev_b32 v146, 16, v108 :: v_dual_lshrrev_b32 v147, 16, v109
	v_and_b32_e32 v109, 0xffff, v109
	v_pk_fma_f16 v103, v112, v104, v103
	s_delay_alu instid0(VALU_DEP_4)
	v_pk_fma_f16 v104, v4, v28, v110
	v_pk_fma_f16 v110, v5, v28, v123
	v_mul_u32_u24_e32 v106, 0x10001, v106
	v_mul_u32_u24_e32 v123, 0x10001, v144
	;; [unrolled: 1-line block ×3, first 2 shown]
	v_and_b32_e32 v108, 0xffff, v108
	v_dual_lshrrev_b32 v148, 16, v114 :: v_dual_lshrrev_b32 v149, 16, v115
	v_mul_u32_u24_e32 v142, 0x10001, v147
	v_pk_fma_f16 v122, v5, v106, v122
	v_pk_fma_f16 v125, v5, v123, v125
	;; [unrolled: 1-line block ×6, first 2 shown]
	v_mul_u32_u24_e32 v109, 0x10001, v109
	v_and_b32_e32 v114, 0xffff, v114
	v_and_b32_e32 v115, 0xffff, v115
	v_and_b32_e32 v112, 0xffff, v29
	v_dual_lshrrev_b32 v113, 16, v30 :: v_dual_lshrrev_b32 v139, 16, v31
	v_and_b32_e32 v140, 0xffff, v30
	v_and_b32_e32 v141, 0xffff, v31
	ds_load_b128 v[28:31], v89 offset:144
	v_pk_fma_f16 v107, v6, v142, v104
	v_pk_fma_f16 v110, v7, v142, v110
	v_mul_u32_u24_e32 v108, 0x10001, v108
	v_mul_u32_u24_e32 v123, 0x10001, v146
	v_pk_fma_f16 v142, v7, v109, v5
	v_pk_fma_f16 v109, v6, v109, v4
	v_mul_u32_u24_e32 v4, 0x10001, v149
	v_dual_lshrrev_b32 v150, 16, v116 :: v_dual_lshrrev_b32 v151, 16, v117
	v_and_b32_e32 v117, 0xffff, v117
	v_pk_fma_f16 v122, v7, v108, v122
	v_pk_fma_f16 v101, v6, v108, v101
	s_wait_dscnt 0x1
	v_lshrrev_b32_e32 v108, 16, v36
	v_pk_fma_f16 v125, v7, v123, v125
	v_pk_fma_f16 v106, v6, v123, v106
	v_and_b32_e32 v143, 0xffff, v36
	v_dual_lshrrev_b32 v145, 16, v38 :: v_dual_lshrrev_b32 v146, 16, v39
	v_and_b32_e32 v147, 0xffff, v38
	v_and_b32_e32 v152, 0xffff, v39
	v_pk_fma_f16 v36, v8, v4, v107
	v_mul_u32_u24_e32 v38, 0x10001, v114
	v_mul_u32_u24_e32 v39, 0x10001, v148
	;; [unrolled: 1-line block ×3, first 2 shown]
	v_and_b32_e32 v116, 0xffff, v116
	v_dual_lshrrev_b32 v124, 16, v118 :: v_dual_lshrrev_b32 v127, 16, v119
	v_lshrrev_b32_e32 v123, 16, v37
	v_and_b32_e32 v144, 0xffff, v37
	v_pk_fma_f16 v37, v9, v4, v110
	v_mul_u32_u24_e32 v110, 0x10001, v151
	v_pk_fma_f16 v114, v9, v38, v122
	v_pk_fma_f16 v115, v9, v39, v125
	;; [unrolled: 1-line block ×6, first 2 shown]
	v_mul_u32_u24_e32 v117, 0x10001, v117
	v_and_b32_e32 v118, 0xffff, v118
	v_and_b32_e32 v119, 0xffff, v119
	ds_load_2addr_b64 v[32:35], v94 offset0:128 offset1:160
	v_pk_fma_f16 v107, v10, v110, v36
	v_pk_fma_f16 v109, v11, v110, v37
	ds_load_b128 v[36:39], v89 offset:160
	v_mul_u32_u24_e32 v110, 0x10001, v116
	v_mul_u32_u24_e32 v116, 0x10001, v150
	v_pk_fma_f16 v122, v11, v117, v9
	v_pk_fma_f16 v117, v10, v117, v8
	v_mul_u32_u24_e32 v8, 0x10001, v127
	v_dual_lshrrev_b32 v128, 16, v120 :: v_dual_lshrrev_b32 v129, 16, v121
	v_and_b32_e32 v121, 0xffff, v121
	v_pk_fma_f16 v114, v11, v110, v114
	v_pk_fma_f16 v101, v10, v110, v101
	s_wait_dscnt 0x2
	v_lshrrev_b32_e32 v110, 16, v28
	v_pk_fma_f16 v115, v11, v116, v115
	v_pk_fma_f16 v106, v10, v116, v106
	v_and_b32_e32 v125, 0xffff, v28
	v_dual_lshrrev_b32 v148, 16, v30 :: v_dual_lshrrev_b32 v149, 16, v31
	v_and_b32_e32 v150, 0xffff, v30
	v_and_b32_e32 v151, 0xffff, v31
	v_pk_fma_f16 v28, v16, v8, v107
	v_mul_u32_u24_e32 v30, 0x10001, v118
	v_mul_u32_u24_e32 v31, 0x10001, v124
	;; [unrolled: 1-line block ×3, first 2 shown]
	v_and_b32_e32 v120, 0xffff, v120
	v_lshrrev_b32_e32 v132, 16, v25
	v_lshrrev_b32_e32 v116, 16, v29
	v_and_b32_e32 v142, 0xffff, v29
	v_pk_fma_f16 v29, v17, v8, v109
	ds_load_b128 v[8:11], v89 offset:176
	v_mul_u32_u24_e32 v109, 0x10001, v129
	v_pk_fma_f16 v114, v17, v30, v114
	v_pk_fma_f16 v115, v17, v31, v115
	;; [unrolled: 1-line block ×6, first 2 shown]
	v_mul_u32_u24_e32 v119, 0x10001, v121
	v_and_b32_e32 v134, 0xffff, v25
	v_dual_lshrrev_b32 v135, 16, v26 :: v_dual_lshrrev_b32 v136, 16, v27
	v_and_b32_e32 v137, 0xffff, v26
	v_and_b32_e32 v138, 0xffff, v27
	ds_load_2addr_b64 v[24:27], v94 offset0:192 offset1:224
	v_pk_fma_f16 v107, v18, v109, v28
	v_mul_u32_u24_e32 v117, 0x10001, v120
	v_mul_u32_u24_e32 v118, 0x10001, v128
	v_pk_fma_f16 v120, v19, v119, v17
	v_pk_fma_f16 v119, v18, v119, v16
	v_mul_u32_u24_e32 v16, 0x10001, v132
	v_pk_fma_f16 v109, v19, v109, v29
	v_pk_fma_f16 v114, v19, v117, v114
	v_pk_fma_f16 v101, v18, v117, v101
	s_wait_dscnt 0x2
	v_lshrrev_b32_e32 v117, 16, v36
	v_pk_fma_f16 v115, v19, v118, v115
	v_pk_fma_f16 v106, v18, v118, v106
	v_and_b32_e32 v121, 0xffff, v36
	v_dual_lshrrev_b32 v124, 16, v38 :: v_dual_lshrrev_b32 v127, 16, v39
	v_and_b32_e32 v128, 0xffff, v38
	v_and_b32_e32 v129, 0xffff, v39
	v_pk_fma_f16 v36, v32, v16, v107
	v_mul_u32_u24_e32 v38, 0x10001, v133
	v_mul_u32_u24_e32 v39, 0x10001, v131
	;; [unrolled: 1-line block ×3, first 2 shown]
	v_lshrrev_b32_e32 v118, 16, v37
	v_and_b32_e32 v122, 0xffff, v37
	v_pk_fma_f16 v37, v33, v16, v109
	v_mul_u32_u24_e32 v109, 0x10001, v136
	v_pk_fma_f16 v114, v33, v38, v114
	v_pk_fma_f16 v115, v33, v39, v115
	;; [unrolled: 1-line block ×6, first 2 shown]
	v_mul_u32_u24_e32 v119, 0x10001, v137
	v_mul_u32_u24_e32 v131, 0x10001, v138
	v_pk_fma_f16 v107, v34, v109, v36
	v_pk_fma_f16 v109, v35, v109, v37
	v_mul_u32_u24_e32 v120, 0x10001, v135
	v_pk_fma_f16 v114, v35, v119, v114
	v_pk_fma_f16 v101, v34, v119, v101
	s_wait_dscnt 0x1
	v_lshrrev_b32_e32 v119, 16, v8
	v_pk_fma_f16 v33, v35, v131, v33
	v_pk_fma_f16 v32, v34, v131, v32
	v_and_b32_e32 v131, 0xffff, v8
	v_mul_u32_u24_e32 v8, 0x10001, v130
	ds_load_2addr_b64 v[102:105], v95 offset1:32
	ds_load_b128 v[36:39], v89 offset:192
	v_pk_fma_f16 v115, v35, v120, v115
	v_pk_fma_f16 v106, v34, v120, v106
	s_wait_dscnt 0x2
	v_pk_fma_f16 v34, v24, v8, v107
	v_pk_fma_f16 v35, v25, v8, v109
	v_mul_u32_u24_e32 v107, 0x10001, v111
	v_mul_u32_u24_e32 v109, 0x10001, v126
	;; [unrolled: 1-line block ×5, first 2 shown]
	v_pk_fma_f16 v114, v25, v107, v114
	v_pk_fma_f16 v115, v25, v109, v115
	;; [unrolled: 1-line block ×6, first 2 shown]
	v_mul_u32_u24_e32 v111, 0x10001, v140
	v_lshrrev_b32_e32 v120, 16, v9
	v_and_b32_e32 v132, 0xffff, v9
	v_dual_lshrrev_b32 v133, 16, v10 :: v_dual_lshrrev_b32 v134, 16, v11
	v_and_b32_e32 v135, 0xffff, v10
	v_and_b32_e32 v136, 0xffff, v11
	ds_load_b128 v[8:11], v89 offset:208
	v_pk_fma_f16 v107, v26, v112, v34
	v_pk_fma_f16 v109, v27, v112, v35
	;; [unrolled: 1-line block ×4, first 2 shown]
	v_mul_u32_u24_e32 v115, 0x10001, v141
	ds_load_2addr_b64 v[4:7], v95 offset0:64 offset1:96
	v_pk_fma_f16 v101, v26, v111, v101
	s_wait_dscnt 0x2
	v_lshrrev_b32_e32 v111, 16, v36
	v_pk_fma_f16 v106, v26, v113, v106
	v_pk_fma_f16 v126, v27, v115, v25
	;; [unrolled: 1-line block ×3, first 2 shown]
	v_mul_u32_u24_e32 v24, 0x10001, v123
	v_and_b32_e32 v130, 0xffff, v36
	v_dual_lshrrev_b32 v138, 16, v38 :: v_dual_lshrrev_b32 v139, 16, v39
	v_and_b32_e32 v140, 0xffff, v38
	v_and_b32_e32 v141, 0xffff, v39
	v_pk_fma_f16 v36, v102, v24, v107
	v_mul_u32_u24_e32 v38, 0x10001, v143
	v_mul_u32_u24_e32 v39, 0x10001, v108
	;; [unrolled: 1-line block ×3, first 2 shown]
	v_lshrrev_b32_e32 v113, 16, v37
	v_and_b32_e32 v137, 0xffff, v37
	v_pk_fma_f16 v37, v103, v24, v109
	v_mul_u32_u24_e32 v108, 0x10001, v146
	v_pk_fma_f16 v109, v103, v38, v112
	v_pk_fma_f16 v112, v103, v39, v114
	;; [unrolled: 1-line block ×6, first 2 shown]
	v_mul_u32_u24_e32 v114, 0x10001, v147
	v_mul_u32_u24_e32 v123, 0x10001, v152
	ds_load_2addr_b64 v[28:31], v95 offset0:128 offset1:160
	v_pk_fma_f16 v107, v104, v108, v36
	v_pk_fma_f16 v108, v105, v108, v37
	ds_load_b128 v[36:39], v89 offset:224
	v_pk_fma_f16 v109, v105, v114, v109
	v_pk_fma_f16 v101, v104, v114, v101
	s_wait_dscnt 0x3
	v_lshrrev_b32_e32 v114, 16, v8
	v_mul_u32_u24_e32 v115, 0x10001, v145
	v_pk_fma_f16 v103, v105, v123, v103
	v_pk_fma_f16 v102, v104, v123, v102
	v_and_b32_e32 v123, 0xffff, v8
	v_mul_u32_u24_e32 v8, 0x10001, v116
	v_pk_fma_f16 v112, v105, v115, v112
	v_pk_fma_f16 v106, v104, v115, v106
	v_lshrrev_b32_e32 v115, 16, v9
	v_and_b32_e32 v126, 0xffff, v9
	s_wait_dscnt 0x2
	v_pk_fma_f16 v104, v4, v8, v107
	v_pk_fma_f16 v105, v5, v8, v108
	v_mul_u32_u24_e32 v107, 0x10001, v125
	v_mul_u32_u24_e32 v108, 0x10001, v110
	;; [unrolled: 1-line block ×3, first 2 shown]
	v_dual_lshrrev_b32 v143, 16, v10 :: v_dual_lshrrev_b32 v144, 16, v11
	v_and_b32_e32 v145, 0xffff, v10
	v_and_b32_e32 v146, 0xffff, v11
	ds_load_b128 v[8:11], v89 offset:240
	v_mul_u32_u24_e32 v116, 0x10001, v149
	v_pk_fma_f16 v109, v5, v107, v109
	v_pk_fma_f16 v112, v5, v108, v112
	;; [unrolled: 1-line block ×6, first 2 shown]
	v_mul_u32_u24_e32 v125, 0x10001, v151
	ds_load_2addr_b64 v[16:19], v95 offset0:192 offset1:224
	v_pk_fma_f16 v107, v6, v116, v104
	v_pk_fma_f16 v108, v7, v116, v105
	v_mul_u32_u24_e32 v110, 0x10001, v150
	v_mul_u32_u24_e32 v116, 0x10001, v148
	v_pk_fma_f16 v142, v7, v125, v5
	v_pk_fma_f16 v125, v6, v125, v4
	v_mul_u32_u24_e32 v4, 0x10001, v118
	v_pk_fma_f16 v109, v7, v110, v109
	v_pk_fma_f16 v101, v6, v110, v101
	s_wait_dscnt 0x2
	v_lshrrev_b32_e32 v110, 16, v36
	v_pk_fma_f16 v112, v7, v116, v112
	v_pk_fma_f16 v106, v6, v116, v106
	v_and_b32_e32 v147, 0xffff, v36
	v_dual_lshrrev_b32 v149, 16, v38 :: v_dual_lshrrev_b32 v150, 16, v39
	v_and_b32_e32 v151, 0xffff, v38
	v_and_b32_e32 v152, 0xffff, v39
	v_pk_fma_f16 v36, v28, v4, v107
	v_mul_u32_u24_e32 v38, 0x10001, v121
	v_mul_u32_u24_e32 v39, 0x10001, v117
	;; [unrolled: 1-line block ×3, first 2 shown]
	v_lshrrev_b32_e32 v116, 16, v37
	v_and_b32_e32 v148, 0xffff, v37
	v_pk_fma_f16 v37, v29, v4, v108
	v_mul_u32_u24_e32 v108, 0x10001, v127
	v_pk_fma_f16 v109, v29, v38, v109
	v_pk_fma_f16 v112, v29, v39, v112
	;; [unrolled: 1-line block ×6, first 2 shown]
	v_mul_u32_u24_e32 v117, 0x10001, v128
	v_mul_u32_u24_e32 v121, 0x10001, v129
	ds_load_2addr_b64 v[32:35], v96 offset1:32
	v_pk_fma_f16 v107, v30, v108, v36
	v_pk_fma_f16 v108, v31, v108, v37
	ds_load_b128 v[36:39], v89 offset:256
	v_pk_fma_f16 v109, v31, v117, v109
	v_pk_fma_f16 v101, v30, v117, v101
	s_wait_dscnt 0x3
	v_lshrrev_b32_e32 v117, 16, v8
	v_mul_u32_u24_e32 v118, 0x10001, v124
	v_pk_fma_f16 v29, v31, v121, v29
	v_pk_fma_f16 v28, v30, v121, v28
	v_and_b32_e32 v121, 0xffff, v8
	v_mul_u32_u24_e32 v8, 0x10001, v120
	v_pk_fma_f16 v112, v31, v118, v112
	v_pk_fma_f16 v106, v30, v118, v106
	v_lshrrev_b32_e32 v118, 16, v9
	v_and_b32_e32 v122, 0xffff, v9
	s_wait_dscnt 0x2
	v_pk_fma_f16 v30, v16, v8, v107
	v_pk_fma_f16 v31, v17, v8, v108
	v_mul_u32_u24_e32 v107, 0x10001, v131
	v_mul_u32_u24_e32 v108, 0x10001, v119
	;; [unrolled: 1-line block ×3, first 2 shown]
	v_dual_lshrrev_b32 v124, 16, v10 :: v_dual_lshrrev_b32 v125, 16, v11
	v_and_b32_e32 v127, 0xffff, v10
	v_and_b32_e32 v128, 0xffff, v11
	ds_load_b128 v[8:11], v89 offset:272
	v_mul_u32_u24_e32 v120, 0x10001, v134
	v_pk_fma_f16 v109, v17, v107, v109
	v_pk_fma_f16 v112, v17, v108, v112
	;; [unrolled: 1-line block ×6, first 2 shown]
	v_mul_u32_u24_e32 v129, 0x10001, v136
	ds_load_2addr_b64 v[24:27], v96 offset0:64 offset1:96
	v_pk_fma_f16 v107, v18, v120, v30
	v_pk_fma_f16 v108, v19, v120, v31
	v_mul_u32_u24_e32 v119, 0x10001, v135
	v_mul_u32_u24_e32 v120, 0x10001, v133
	v_pk_fma_f16 v131, v19, v129, v17
	v_pk_fma_f16 v129, v18, v129, v16
	v_mul_u32_u24_e32 v16, 0x10001, v113
	v_pk_fma_f16 v109, v19, v119, v109
	v_pk_fma_f16 v101, v18, v119, v101
	s_wait_dscnt 0x2
	v_lshrrev_b32_e32 v119, 16, v36
	v_pk_fma_f16 v112, v19, v120, v112
	v_pk_fma_f16 v106, v18, v120, v106
	v_and_b32_e32 v132, 0xffff, v36
	v_dual_lshrrev_b32 v134, 16, v38 :: v_dual_lshrrev_b32 v135, 16, v39
	v_and_b32_e32 v136, 0xffff, v38
	v_and_b32_e32 v142, 0xffff, v39
	v_pk_fma_f16 v36, v32, v16, v107
	v_mul_u32_u24_e32 v38, 0x10001, v130
	v_mul_u32_u24_e32 v39, 0x10001, v111
	;; [unrolled: 1-line block ×3, first 2 shown]
	v_lshrrev_b32_e32 v120, 16, v37
	v_and_b32_e32 v133, 0xffff, v37
	v_pk_fma_f16 v37, v33, v16, v108
	v_mul_u32_u24_e32 v108, 0x10001, v139
	v_pk_fma_f16 v109, v33, v38, v109
	v_pk_fma_f16 v111, v33, v39, v112
	;; [unrolled: 1-line block ×6, first 2 shown]
	v_mul_u32_u24_e32 v112, 0x10001, v140
	v_mul_u32_u24_e32 v129, 0x10001, v141
	ds_load_2addr_b64 v[102:105], v96 offset0:128 offset1:160
	v_pk_fma_f16 v107, v34, v108, v36
	v_pk_fma_f16 v108, v35, v108, v37
	ds_load_b128 v[36:39], v89 offset:288
	v_pk_fma_f16 v109, v35, v112, v109
	v_pk_fma_f16 v101, v34, v112, v101
	s_wait_dscnt 0x3
	v_lshrrev_b32_e32 v112, 16, v8
	v_mul_u32_u24_e32 v113, 0x10001, v138
	v_pk_fma_f16 v33, v35, v129, v33
	v_pk_fma_f16 v32, v34, v129, v32
	v_and_b32_e32 v129, 0xffff, v8
	v_mul_u32_u24_e32 v8, 0x10001, v115
	v_pk_fma_f16 v111, v35, v113, v111
	v_pk_fma_f16 v106, v34, v113, v106
	v_lshrrev_b32_e32 v113, 16, v9
	v_and_b32_e32 v130, 0xffff, v9
	s_wait_dscnt 0x2
	v_pk_fma_f16 v34, v24, v8, v107
	v_pk_fma_f16 v35, v25, v8, v108
	v_mul_u32_u24_e32 v107, 0x10001, v123
	v_mul_u32_u24_e32 v108, 0x10001, v114
	;; [unrolled: 1-line block ×3, first 2 shown]
	v_dual_lshrrev_b32 v131, 16, v10 :: v_dual_lshrrev_b32 v137, 16, v11
	v_and_b32_e32 v138, 0xffff, v10
	v_and_b32_e32 v139, 0xffff, v11
	ds_load_b128 v[8:11], v89 offset:304
	v_mul_u32_u24_e32 v115, 0x10001, v144
	v_pk_fma_f16 v109, v25, v107, v109
	v_pk_fma_f16 v111, v25, v108, v111
	;; [unrolled: 1-line block ×6, first 2 shown]
	v_mul_u32_u24_e32 v123, 0x10001, v146
	ds_load_2addr_b64 v[4:7], v96 offset0:192 offset1:224
	v_pk_fma_f16 v107, v26, v115, v34
	v_pk_fma_f16 v108, v27, v115, v35
	v_mul_u32_u24_e32 v114, 0x10001, v145
	v_mul_u32_u24_e32 v115, 0x10001, v143
	v_pk_fma_f16 v126, v27, v123, v25
	v_pk_fma_f16 v123, v26, v123, v24
	v_mul_u32_u24_e32 v24, 0x10001, v116
	v_pk_fma_f16 v109, v27, v114, v109
	v_pk_fma_f16 v101, v26, v114, v101
	s_wait_dscnt 0x2
	v_lshrrev_b32_e32 v114, 16, v36
	v_pk_fma_f16 v111, v27, v115, v111
	v_pk_fma_f16 v106, v26, v115, v106
	v_and_b32_e32 v140, 0xffff, v36
	v_dual_lshrrev_b32 v143, 16, v38 :: v_dual_lshrrev_b32 v144, 16, v39
	v_and_b32_e32 v145, 0xffff, v38
	v_and_b32_e32 v146, 0xffff, v39
	v_pk_fma_f16 v36, v102, v24, v107
	v_mul_u32_u24_e32 v38, 0x10001, v147
	v_mul_u32_u24_e32 v39, 0x10001, v110
	;; [unrolled: 1-line block ×3, first 2 shown]
	v_lshrrev_b32_e32 v115, 16, v37
	v_and_b32_e32 v141, 0xffff, v37
	v_pk_fma_f16 v37, v103, v24, v108
	v_mul_u32_u24_e32 v108, 0x10001, v150
	v_pk_fma_f16 v109, v103, v38, v109
	v_pk_fma_f16 v110, v103, v39, v111
	;; [unrolled: 1-line block ×6, first 2 shown]
	v_mul_u32_u24_e32 v111, 0x10001, v151
	v_mul_u32_u24_e32 v123, 0x10001, v152
	ds_load_2addr_b64 v[28:31], v97 offset1:32
	v_pk_fma_f16 v107, v104, v108, v36
	v_pk_fma_f16 v108, v105, v108, v37
	ds_load_b128 v[36:39], v89 offset:320
	v_pk_fma_f16 v109, v105, v111, v109
	v_pk_fma_f16 v101, v104, v111, v101
	s_wait_dscnt 0x3
	v_lshrrev_b32_e32 v111, 16, v8
	v_mul_u32_u24_e32 v116, 0x10001, v149
	v_pk_fma_f16 v103, v105, v123, v103
	v_pk_fma_f16 v102, v104, v123, v102
	v_and_b32_e32 v123, 0xffff, v8
	v_mul_u32_u24_e32 v8, 0x10001, v118
	v_pk_fma_f16 v110, v105, v116, v110
	v_pk_fma_f16 v106, v104, v116, v106
	v_lshrrev_b32_e32 v116, 16, v9
	v_and_b32_e32 v126, 0xffff, v9
	s_wait_dscnt 0x2
	v_pk_fma_f16 v104, v4, v8, v107
	v_pk_fma_f16 v105, v5, v8, v108
	v_mul_u32_u24_e32 v107, 0x10001, v121
	v_mul_u32_u24_e32 v108, 0x10001, v117
	;; [unrolled: 1-line block ×3, first 2 shown]
	v_dual_lshrrev_b32 v147, 16, v10 :: v_dual_lshrrev_b32 v148, 16, v11
	v_and_b32_e32 v149, 0xffff, v10
	v_and_b32_e32 v150, 0xffff, v11
	ds_load_b128 v[8:11], v89 offset:336
	v_mul_u32_u24_e32 v118, 0x10001, v125
	v_pk_fma_f16 v109, v5, v107, v109
	v_pk_fma_f16 v110, v5, v108, v110
	;; [unrolled: 1-line block ×6, first 2 shown]
	v_mul_u32_u24_e32 v121, 0x10001, v128
	ds_load_2addr_b64 v[16:19], v97 offset0:64 offset1:96
	v_pk_fma_f16 v107, v6, v118, v104
	v_pk_fma_f16 v108, v7, v118, v105
	v_mul_u32_u24_e32 v117, 0x10001, v127
	v_mul_u32_u24_e32 v118, 0x10001, v124
	v_pk_fma_f16 v122, v7, v121, v5
	v_pk_fma_f16 v121, v6, v121, v4
	v_mul_u32_u24_e32 v4, 0x10001, v120
	v_pk_fma_f16 v109, v7, v117, v109
	v_pk_fma_f16 v101, v6, v117, v101
	s_wait_dscnt 0x2
	v_lshrrev_b32_e32 v117, 16, v36
	v_pk_fma_f16 v110, v7, v118, v110
	v_pk_fma_f16 v106, v6, v118, v106
	v_and_b32_e32 v124, 0xffff, v36
	v_dual_lshrrev_b32 v127, 16, v38 :: v_dual_lshrrev_b32 v128, 16, v39
	v_and_b32_e32 v151, 0xffff, v38
	v_and_b32_e32 v152, 0xffff, v39
	v_pk_fma_f16 v36, v28, v4, v107
	v_mul_u32_u24_e32 v38, 0x10001, v132
	v_mul_u32_u24_e32 v39, 0x10001, v119
	;; [unrolled: 1-line block ×3, first 2 shown]
	v_lshrrev_b32_e32 v118, 16, v37
	v_and_b32_e32 v125, 0xffff, v37
	v_pk_fma_f16 v37, v29, v4, v108
	v_mul_u32_u24_e32 v108, 0x10001, v135
	v_pk_fma_f16 v109, v29, v38, v109
	v_pk_fma_f16 v110, v29, v39, v110
	;; [unrolled: 1-line block ×6, first 2 shown]
	v_mul_u32_u24_e32 v119, 0x10001, v136
	v_mul_u32_u24_e32 v121, 0x10001, v142
	ds_load_2addr_b64 v[32:35], v97 offset0:128 offset1:160
	v_pk_fma_f16 v107, v30, v108, v36
	v_pk_fma_f16 v108, v31, v108, v37
	ds_load_b128 v[36:39], v89 offset:352
	v_pk_fma_f16 v109, v31, v119, v109
	v_pk_fma_f16 v101, v30, v119, v101
	s_wait_dscnt 0x3
	v_lshrrev_b32_e32 v119, 16, v8
	v_mul_u32_u24_e32 v120, 0x10001, v134
	v_pk_fma_f16 v29, v31, v121, v29
	v_pk_fma_f16 v28, v30, v121, v28
	v_and_b32_e32 v121, 0xffff, v8
	v_mul_u32_u24_e32 v8, 0x10001, v113
	v_pk_fma_f16 v110, v31, v120, v110
	v_pk_fma_f16 v106, v30, v120, v106
	v_lshrrev_b32_e32 v120, 16, v9
	v_and_b32_e32 v122, 0xffff, v9
	s_wait_dscnt 0x2
	v_pk_fma_f16 v30, v16, v8, v107
	v_pk_fma_f16 v31, v17, v8, v108
	v_mul_u32_u24_e32 v107, 0x10001, v129
	v_mul_u32_u24_e32 v108, 0x10001, v112
	;; [unrolled: 1-line block ×3, first 2 shown]
	v_dual_lshrrev_b32 v132, 16, v10 :: v_dual_lshrrev_b32 v133, 16, v11
	v_and_b32_e32 v134, 0xffff, v10
	v_and_b32_e32 v135, 0xffff, v11
	ds_load_b128 v[8:11], v89 offset:368
	v_mul_u32_u24_e32 v113, 0x10001, v137
	v_pk_fma_f16 v109, v17, v107, v109
	v_pk_fma_f16 v110, v17, v108, v110
	;; [unrolled: 1-line block ×6, first 2 shown]
	v_mul_u32_u24_e32 v129, 0x10001, v139
	ds_load_2addr_b64 v[24:27], v97 offset0:192 offset1:224
	v_pk_fma_f16 v107, v18, v113, v30
	v_pk_fma_f16 v108, v19, v113, v31
	v_mul_u32_u24_e32 v112, 0x10001, v138
	v_mul_u32_u24_e32 v113, 0x10001, v131
	v_pk_fma_f16 v130, v19, v129, v17
	v_pk_fma_f16 v129, v18, v129, v16
	v_mul_u32_u24_e32 v16, 0x10001, v115
	v_pk_fma_f16 v109, v19, v112, v109
	v_pk_fma_f16 v101, v18, v112, v101
	s_wait_dscnt 0x2
	v_lshrrev_b32_e32 v112, 16, v36
	v_pk_fma_f16 v110, v19, v113, v110
	v_pk_fma_f16 v106, v18, v113, v106
	v_and_b32_e32 v131, 0xffff, v36
	v_dual_lshrrev_b32 v137, 16, v38 :: v_dual_lshrrev_b32 v138, 16, v39
	v_and_b32_e32 v139, 0xffff, v38
	v_and_b32_e32 v142, 0xffff, v39
	v_pk_fma_f16 v36, v32, v16, v107
	v_mul_u32_u24_e32 v38, 0x10001, v140
	v_mul_u32_u24_e32 v39, 0x10001, v114
	;; [unrolled: 1-line block ×3, first 2 shown]
	v_lshrrev_b32_e32 v113, 16, v37
	v_and_b32_e32 v136, 0xffff, v37
	v_pk_fma_f16 v37, v33, v16, v108
	v_mul_u32_u24_e32 v108, 0x10001, v144
	v_pk_fma_f16 v109, v33, v38, v109
	v_pk_fma_f16 v110, v33, v39, v110
	;; [unrolled: 1-line block ×6, first 2 shown]
	v_mul_u32_u24_e32 v114, 0x10001, v145
	v_mul_u32_u24_e32 v129, 0x10001, v146
	ds_load_2addr_b64 v[102:105], v98 offset1:32
	v_pk_fma_f16 v107, v34, v108, v36
	v_pk_fma_f16 v108, v35, v108, v37
	ds_load_b128 v[36:39], v89 offset:384
	v_pk_fma_f16 v109, v35, v114, v109
	v_pk_fma_f16 v101, v34, v114, v101
	s_wait_dscnt 0x3
	v_lshrrev_b32_e32 v114, 16, v8
	v_mul_u32_u24_e32 v115, 0x10001, v143
	v_pk_fma_f16 v33, v35, v129, v33
	v_pk_fma_f16 v32, v34, v129, v32
	v_and_b32_e32 v129, 0xffff, v8
	v_mul_u32_u24_e32 v8, 0x10001, v116
	v_pk_fma_f16 v110, v35, v115, v110
	v_pk_fma_f16 v106, v34, v115, v106
	v_lshrrev_b32_e32 v115, 16, v9
	v_and_b32_e32 v130, 0xffff, v9
	s_wait_dscnt 0x2
	v_pk_fma_f16 v34, v24, v8, v107
	v_pk_fma_f16 v35, v25, v8, v108
	v_mul_u32_u24_e32 v107, 0x10001, v123
	v_mul_u32_u24_e32 v108, 0x10001, v111
	;; [unrolled: 1-line block ×3, first 2 shown]
	v_dual_lshrrev_b32 v140, 16, v10 :: v_dual_lshrrev_b32 v141, 16, v11
	v_and_b32_e32 v143, 0xffff, v10
	v_and_b32_e32 v144, 0xffff, v11
	ds_load_b128 v[8:11], v89 offset:400
	v_mul_u32_u24_e32 v116, 0x10001, v148
	v_pk_fma_f16 v109, v25, v107, v109
	v_pk_fma_f16 v110, v25, v108, v110
	;; [unrolled: 1-line block ×6, first 2 shown]
	v_mul_u32_u24_e32 v123, 0x10001, v150
	ds_load_2addr_b64 v[4:7], v98 offset0:64 offset1:96
	v_pk_fma_f16 v107, v26, v116, v34
	v_pk_fma_f16 v108, v27, v116, v35
	v_mul_u32_u24_e32 v111, 0x10001, v149
	v_mul_u32_u24_e32 v116, 0x10001, v147
	v_pk_fma_f16 v126, v27, v123, v25
	v_pk_fma_f16 v123, v26, v123, v24
	v_mul_u32_u24_e32 v24, 0x10001, v118
	v_pk_fma_f16 v109, v27, v111, v109
	v_pk_fma_f16 v101, v26, v111, v101
	s_wait_dscnt 0x2
	v_lshrrev_b32_e32 v111, 16, v36
	v_pk_fma_f16 v110, v27, v116, v110
	v_pk_fma_f16 v106, v26, v116, v106
	v_and_b32_e32 v145, 0xffff, v36
	v_dual_lshrrev_b32 v147, 16, v38 :: v_dual_lshrrev_b32 v148, 16, v39
	v_and_b32_e32 v149, 0xffff, v38
	v_and_b32_e32 v150, 0xffff, v39
	v_pk_fma_f16 v36, v102, v24, v107
	v_mul_u32_u24_e32 v38, 0x10001, v124
	v_mul_u32_u24_e32 v39, 0x10001, v117
	;; [unrolled: 1-line block ×3, first 2 shown]
	v_lshrrev_b32_e32 v116, 16, v37
	v_and_b32_e32 v146, 0xffff, v37
	v_pk_fma_f16 v37, v103, v24, v108
	v_mul_u32_u24_e32 v108, 0x10001, v128
	v_pk_fma_f16 v109, v103, v38, v109
	v_pk_fma_f16 v110, v103, v39, v110
	;; [unrolled: 1-line block ×6, first 2 shown]
	v_mul_u32_u24_e32 v117, 0x10001, v151
	v_mul_u32_u24_e32 v123, 0x10001, v152
	ds_load_2addr_b64 v[28:31], v98 offset0:128 offset1:160
	v_pk_fma_f16 v107, v104, v108, v36
	v_pk_fma_f16 v108, v105, v108, v37
	ds_load_b128 v[36:39], v89 offset:416
	v_pk_fma_f16 v109, v105, v117, v109
	v_pk_fma_f16 v101, v104, v117, v101
	s_wait_dscnt 0x3
	v_lshrrev_b32_e32 v117, 16, v8
	v_mul_u32_u24_e32 v118, 0x10001, v127
	v_pk_fma_f16 v103, v105, v123, v103
	v_pk_fma_f16 v102, v104, v123, v102
	v_and_b32_e32 v123, 0xffff, v8
	v_mul_u32_u24_e32 v8, 0x10001, v120
	v_pk_fma_f16 v110, v105, v118, v110
	v_pk_fma_f16 v106, v104, v118, v106
	v_lshrrev_b32_e32 v118, 16, v9
	v_and_b32_e32 v124, 0xffff, v9
	s_wait_dscnt 0x2
	v_pk_fma_f16 v104, v4, v8, v107
	v_pk_fma_f16 v105, v5, v8, v108
	v_mul_u32_u24_e32 v107, 0x10001, v121
	v_mul_u32_u24_e32 v108, 0x10001, v119
	;; [unrolled: 1-line block ×3, first 2 shown]
	v_dual_lshrrev_b32 v125, 16, v10 :: v_dual_lshrrev_b32 v126, 16, v11
	v_and_b32_e32 v127, 0xffff, v10
	v_and_b32_e32 v128, 0xffff, v11
	ds_load_b128 v[8:11], v89 offset:432
	v_mul_u32_u24_e32 v120, 0x10001, v133
	v_pk_fma_f16 v109, v5, v107, v109
	v_pk_fma_f16 v110, v5, v108, v110
	;; [unrolled: 1-line block ×6, first 2 shown]
	v_mul_u32_u24_e32 v121, 0x10001, v135
	ds_load_2addr_b64 v[16:19], v98 offset0:192 offset1:224
	v_pk_fma_f16 v107, v6, v120, v104
	v_pk_fma_f16 v108, v7, v120, v105
	v_mul_u32_u24_e32 v119, 0x10001, v134
	v_mul_u32_u24_e32 v120, 0x10001, v132
	v_pk_fma_f16 v122, v7, v121, v5
	v_pk_fma_f16 v121, v6, v121, v4
	v_mul_u32_u24_e32 v4, 0x10001, v113
	v_pk_fma_f16 v109, v7, v119, v109
	v_pk_fma_f16 v101, v6, v119, v101
	s_wait_dscnt 0x2
	v_lshrrev_b32_e32 v119, 16, v36
	v_pk_fma_f16 v110, v7, v120, v110
	v_pk_fma_f16 v106, v6, v120, v106
	v_lshrrev_b32_e32 v120, 16, v37
	v_and_b32_e32 v132, 0xffff, v36
	v_and_b32_e32 v133, 0xffff, v37
	v_dual_lshrrev_b32 v134, 16, v38 :: v_dual_lshrrev_b32 v135, 16, v39
	v_and_b32_e32 v151, 0xffff, v38
	v_and_b32_e32 v152, 0xffff, v39
	v_pk_fma_f16 v36, v28, v4, v107
	v_pk_fma_f16 v37, v29, v4, v108
	v_mul_u32_u24_e32 v38, 0x10001, v131
	v_mul_u32_u24_e32 v39, 0x10001, v112
	;; [unrolled: 1-line block ×5, first 2 shown]
	v_pk_fma_f16 v109, v29, v38, v109
	v_pk_fma_f16 v110, v29, v39, v110
	;; [unrolled: 1-line block ×8, first 2 shown]
	ds_load_b128 v[36:39], v89 offset:448
	v_mul_u32_u24_e32 v121, 0x10001, v142
	ds_load_2addr_b64 v[32:35], v99 offset1:32
	v_pk_fma_f16 v109, v31, v112, v109
	v_pk_fma_f16 v101, v30, v112, v101
	s_wait_dscnt 0x3
	v_lshrrev_b32_e32 v112, 16, v8
	v_mul_u32_u24_e32 v113, 0x10001, v137
	v_pk_fma_f16 v29, v31, v121, v29
	v_pk_fma_f16 v28, v30, v121, v28
	v_and_b32_e32 v121, 0xffff, v8
	v_mul_u32_u24_e32 v8, 0x10001, v115
	v_pk_fma_f16 v110, v31, v113, v110
	v_pk_fma_f16 v106, v30, v113, v106
	v_lshrrev_b32_e32 v113, 16, v9
	v_and_b32_e32 v122, 0xffff, v9
	v_dual_lshrrev_b32 v131, 16, v10 :: v_dual_lshrrev_b32 v136, 16, v11
	v_and_b32_e32 v137, 0xffff, v10
	v_and_b32_e32 v138, 0xffff, v11
	s_wait_dscnt 0x2
	v_pk_fma_f16 v30, v16, v8, v107
	v_pk_fma_f16 v31, v17, v8, v108
	ds_load_b128 v[8:11], v89 offset:464
	v_mul_u32_u24_e32 v107, 0x10001, v129
	v_mul_u32_u24_e32 v108, 0x10001, v114
	;; [unrolled: 1-line block ×4, first 2 shown]
	ds_load_2addr_b64 v[24:27], v99 offset0:64 offset1:96
	v_pk_fma_f16 v129, v17, v107, v109
	v_pk_fma_f16 v110, v17, v108, v110
	v_pk_fma_f16 v17, v17, v114, v29
	v_pk_fma_f16 v29, v16, v107, v101
	v_pk_fma_f16 v101, v16, v108, v106
	v_pk_fma_f16 v16, v16, v114, v28
	v_pk_fma_f16 v28, v18, v115, v30
	v_pk_fma_f16 v30, v19, v115, v31
	v_mul_u32_u24_e32 v31, 0x10001, v143
	s_wait_dscnt 0x3
	v_lshrrev_b32_e32 v115, 16, v36
	v_and_b32_e32 v139, 0xffff, v36
	v_mul_u32_u24_e32 v36, 0x10001, v145
	v_dual_lshrrev_b32 v141, 16, v38 :: v_dual_lshrrev_b32 v142, 16, v39
	v_pk_fma_f16 v114, v19, v31, v129
	v_pk_fma_f16 v29, v18, v31, v29
	v_mul_u32_u24_e32 v31, 0x10001, v140
	v_mul_u32_u24_e32 v129, 0x10001, v144
	v_and_b32_e32 v140, 0xffff, v37
	v_and_b32_e32 v143, 0xffff, v38
	s_wait_dscnt 0x2
	v_pk_fma_f16 v29, v32, v36, v29
	v_pk_fma_f16 v110, v19, v31, v110
	;; [unrolled: 1-line block ×3, first 2 shown]
	v_lshrrev_b32_e32 v101, 16, v37
	v_pk_fma_f16 v130, v19, v129, v17
	v_pk_fma_f16 v129, v18, v129, v16
	v_mul_u32_u24_e32 v16, 0x10001, v116
	v_mul_u32_u24_e32 v37, 0x10001, v111
	v_pk_fma_f16 v111, v33, v36, v114
	v_mul_u32_u24_e32 v114, 0x10001, v149
	v_and_b32_e32 v144, 0xffff, v39
	v_pk_fma_f16 v28, v32, v16, v28
	v_pk_fma_f16 v30, v33, v16, v30
	v_mul_u32_u24_e32 v38, 0x10001, v146
	v_mul_u32_u24_e32 v39, 0x10001, v148
	v_pk_fma_f16 v110, v33, v37, v110
	v_pk_fma_f16 v31, v32, v37, v31
	;; [unrolled: 1-line block ×4, first 2 shown]
	v_mul_u32_u24_e32 v116, 0x10001, v147
	s_wait_dscnt 0x1
	v_dual_lshrrev_b32 v147, 16, v10 :: v_dual_lshrrev_b32 v148, 16, v11
	v_and_b32_e32 v149, 0xffff, v10
	v_mul_u32_u24_e32 v10, 0x10001, v123
	ds_load_2addr_b64 v[102:105], v99 offset0:128 offset1:160
	v_pk_fma_f16 v33, v33, v38, v130
	v_pk_fma_f16 v32, v32, v38, v129
	;; [unrolled: 1-line block ×4, first 2 shown]
	ds_load_b128 v[36:39], v89 offset:480
	v_lshrrev_b32_e32 v114, 16, v8
	v_pk_fma_f16 v110, v35, v116, v110
	v_pk_fma_f16 v31, v34, v116, v31
	v_mul_u32_u24_e32 v129, 0x10001, v150
	v_and_b32_e32 v145, 0xffff, v8
	v_and_b32_e32 v150, 0xffff, v11
	v_mul_u32_u24_e32 v8, 0x10001, v118
	v_mul_u32_u24_e32 v11, 0x10001, v117
	s_wait_dscnt 0x2
	v_pk_fma_f16 v111, v25, v10, v111
	v_pk_fma_f16 v10, v24, v10, v29
	v_mul_u32_u24_e32 v117, 0x10001, v127
	v_lshrrev_b32_e32 v116, 16, v9
	v_pk_fma_f16 v130, v35, v129, v33
	v_pk_fma_f16 v129, v34, v129, v32
	v_and_b32_e32 v146, 0xffff, v9
	v_pk_fma_f16 v9, v24, v8, v28
	v_mul_u32_u24_e32 v28, 0x10001, v124
	v_pk_fma_f16 v110, v25, v11, v110
	v_pk_fma_f16 v11, v24, v11, v31
	;; [unrolled: 1-line block ×4, first 2 shown]
	v_mul_u32_u24_e32 v10, 0x10001, v125
	v_pk_fma_f16 v8, v25, v8, v30
	v_mul_u32_u24_e32 v30, 0x10001, v126
	v_pk_fma_f16 v25, v25, v28, v130
	v_pk_fma_f16 v24, v24, v28, v129
	;; [unrolled: 1-line block ×4, first 2 shown]
	v_mul_u32_u24_e32 v10, 0x10001, v128
	ds_load_b128 v[32:35], v89 offset:496
	v_pk_fma_f16 v9, v26, v30, v9
	v_pk_fma_f16 v8, v27, v30, v8
	ds_load_2addr_b64 v[4:7], v99 offset0:192 offset1:224
	v_pk_fma_f16 v27, v27, v10, v25
	v_pk_fma_f16 v26, v26, v10, v24
	v_mul_u32_u24_e32 v10, 0x10001, v120
	s_wait_dscnt 0x2
	v_dual_lshrrev_b32 v118, 16, v36 :: v_dual_lshrrev_b32 v124, 16, v37
	v_and_b32_e32 v125, 0xffff, v36
	v_and_b32_e32 v126, 0xffff, v37
	v_dual_lshrrev_b32 v127, 16, v38 :: v_dual_lshrrev_b32 v128, 16, v39
	v_and_b32_e32 v129, 0xffff, v38
	v_and_b32_e32 v130, 0xffff, v39
	v_pk_fma_f16 v36, v102, v10, v9
	v_pk_fma_f16 v37, v103, v10, v8
	v_mul_u32_u24_e32 v24, 0x10001, v132
	v_mul_u32_u24_e32 v25, 0x10001, v119
	;; [unrolled: 1-line block ×4, first 2 shown]
	ds_load_2addr_b64 v[106:109], v100 offset1:32
	ds_load_2addr_b64 v[16:19], v100 offset0:64 offset1:96
	ds_load_2addr_b64 v[28:31], v100 offset0:128 offset1:160
	;; [unrolled: 1-line block ×3, first 2 shown]
	s_wait_dscnt 0x0
	s_barrier_signal -1
	s_barrier_wait -1
	v_pk_fma_f16 v111, v103, v24, v111
	v_pk_fma_f16 v110, v103, v25, v110
	;; [unrolled: 1-line block ×8, first 2 shown]
	global_load_b128 v[36:39], v[20:21], off
	s_wait_xcnt 0x0
	v_mul_u32_u24_e32 v20, 0x10001, v151
	v_mul_u32_u24_e32 v120, 0x10001, v152
	v_lshrrev_b32_e32 v123, 16, v35
	v_and_b32_e32 v132, 0xffff, v34
	v_and_b32_e32 v133, 0xffff, v35
	v_pk_fma_f16 v21, v105, v20, v111
	v_pk_fma_f16 v20, v104, v20, v117
	v_mul_u32_u24_e32 v117, 0x10001, v134
	v_lshrrev_b32_e32 v111, 16, v32
	v_pk_fma_f16 v27, v105, v120, v27
	v_pk_fma_f16 v26, v104, v120, v26
	v_lshrrev_b32_e32 v120, 16, v34
	v_pk_fma_f16 v110, v105, v117, v110
	v_pk_fma_f16 v117, v104, v117, v119
	v_lshrrev_b32_e32 v119, 16, v33
	v_and_b32_e32 v104, 0xffff, v32
	v_and_b32_e32 v105, 0xffff, v33
	global_load_b128 v[32:35], v[14:15], off
	s_wait_xcnt 0x0
	v_mul_u32_u24_e32 v14, 0x10001, v113
	global_load_b128 v[22:25], v[22:23], off
	v_mul_u32_u24_e32 v113, 0x10001, v121
	v_mul_u32_u24_e32 v112, 0x10001, v112
	;; [unrolled: 1-line block ×3, first 2 shown]
	v_pk_fma_f16 v102, v4, v14, v102
	v_pk_fma_f16 v103, v5, v14, v103
	global_load_b128 v[12:15], v[12:13], off
	v_mul_u32_u24_e32 v122, 0x10001, v136
	v_mul_u32_u24_e32 v134, 0x10001, v137
	;; [unrolled: 1-line block ×10, first 2 shown]
	v_pk_fma_f16 v21, v5, v113, v21
	v_pk_fma_f16 v104, v5, v112, v110
	;; [unrolled: 1-line block ×6, first 2 shown]
	v_mul_u32_u24_e32 v101, 0x10001, v101
	v_mul_u32_u24_e32 v136, 0x10001, v139
	;; [unrolled: 1-line block ×3, first 2 shown]
	v_pk_fma_f16 v26, v6, v122, v102
	v_pk_fma_f16 v102, v7, v122, v103
	;; [unrolled: 1-line block ×8, first 2 shown]
	v_mul_u32_u24_e32 v138, 0x10001, v142
	v_mul_u32_u24_e32 v139, 0x10001, v143
	v_pk_fma_f16 v6, v106, v101, v26
	v_pk_fma_f16 v26, v107, v101, v102
	v_pk_fma_f16 v21, v107, v136, v21
	v_pk_fma_f16 v27, v107, v115, v103
	v_pk_fma_f16 v5, v107, v137, v5
	v_pk_fma_f16 v7, v106, v136, v7
	v_pk_fma_f16 v20, v106, v115, v20
	v_pk_fma_f16 v4, v106, v137, v4
	v_mul_u32_u24_e32 v116, 0x10001, v116
	v_mul_u32_u24_e32 v142, 0x10001, v145
	v_mul_u32_u24_e32 v143, 0x10001, v114
	v_pk_fma_f16 v6, v108, v138, v6
	v_pk_fma_f16 v26, v109, v138, v26
	v_pk_fma_f16 v21, v109, v139, v21
	v_pk_fma_f16 v27, v109, v140, v27
	v_pk_fma_f16 v5, v109, v141, v5
	v_pk_fma_f16 v101, v108, v139, v7
	v_pk_fma_f16 v121, v108, v140, v20
	v_pk_fma_f16 v122, v108, v141, v4
	v_mul_u32_u24_e32 v145, 0x10001, v148
	v_mul_u32_u24_e32 v147, 0x10001, v147
	v_mul_u32_u24_e32 v148, 0x10001, v150
	v_pk_fma_f16 v131, v16, v116, v6
	v_pk_fma_f16 v134, v17, v116, v26
	v_pk_fma_f16 v135, v17, v142, v21
	v_pk_fma_f16 v136, v17, v143, v27
	v_pk_fma_f16 v17, v17, v144, v5
	v_pk_fma_f16 v101, v16, v142, v101
	v_pk_fma_f16 v121, v16, v143, v121
	v_pk_fma_f16 v16, v16, v144, v122
	v_mul_u32_u24_e32 v124, 0x10001, v124
	v_mul_u32_u24_e32 v125, 0x10001, v125
	v_mul_u32_u24_e32 v118, 0x10001, v118
	;; [unrolled: 1-line block ×3, first 2 shown]
	v_pk_fma_f16 v122, v18, v145, v131
	v_pk_fma_f16 v131, v19, v145, v134
	;; [unrolled: 1-line block ×8, first 2 shown]
	v_mul_u32_u24_e32 v150, 0x10001, v111
	v_mul_u32_u24_e32 v151, 0x10001, v105
	s_wait_loadcnt 0x1
	ds_store_b128 v87, v[22:25]
	ds_store_b128 v90, v[36:39]
	;; [unrolled: 1-line block ×3, first 2 shown]
	s_wait_loadcnt 0x0
	ds_store_b128 v92, v[12:15]
	s_wait_dscnt 0x0
	s_barrier_signal -1
	s_barrier_wait -1
	ds_load_b128 v[36:39], v89 offset:512
	ds_load_b128 v[32:35], v89 offset:528
	ds_load_2addr_b64 v[20:23], v72 offset1:32
	ds_load_2addr_b64 v[24:27], v72 offset0:64 offset1:96
	ds_load_b128 v[102:105], v89 offset:544
	ds_load_b128 v[106:109], v89 offset:560
	ds_load_2addr_b64 v[12:15], v72 offset0:128 offset1:160
	ds_load_2addr_b64 v[4:7], v72 offset0:192 offset1:224
	ds_load_b128 v[110:113], v89 offset:576
	ds_load_b128 v[114:117], v89 offset:592
	v_mul_u32_u24_e32 v128, 0x10001, v128
	v_mul_u32_u24_e32 v129, 0x10001, v129
	;; [unrolled: 1-line block ×4, first 2 shown]
	v_pk_fma_f16 v18, v28, v124, v122
	v_pk_fma_f16 v121, v29, v124, v131
	;; [unrolled: 1-line block ×8, first 2 shown]
	v_mul_u32_u24_e32 v119, 0x10001, v119
	v_pk_fma_f16 v18, v30, v128, v18
	v_pk_fma_f16 v28, v31, v128, v121
	;; [unrolled: 1-line block ×5, first 2 shown]
	v_mul_u32_u24_e32 v133, 0x10001, v133
	v_mul_u32_u24_e32 v123, 0x10001, v123
	v_pk_fma_f16 v101, v31, v129, v122
	v_pk_fma_f16 v118, v31, v127, v124
	;; [unrolled: 1-line block ×3, first 2 shown]
	s_wait_dscnt 0x9
	v_dual_lshrrev_b32 v122, 16, v36 :: v_dual_lshrrev_b32 v124, 16, v37
	v_dual_lshrrev_b32 v125, 16, v38 :: v_dual_lshrrev_b32 v126, 16, v39
	v_and_b32_e32 v127, 0xffff, v38
	s_wait_dscnt 0x8
	v_dual_lshrrev_b32 v128, 16, v32 :: v_dual_lshrrev_b32 v129, 16, v33
	v_and_b32_e32 v130, 0xffff, v32
	v_dual_lshrrev_b32 v134, 16, v34 :: v_dual_lshrrev_b32 v135, 16, v35
	v_and_b32_e32 v137, 0xffff, v35
	v_pk_fma_f16 v18, v8, v119, v18
	v_pk_fma_f16 v32, v9, v119, v28
	v_pk_fma_f16 v35, v8, v149, v19
	v_pk_fma_f16 v38, v8, v150, v121
	v_pk_fma_f16 v8, v8, v151, v16
	v_mul_u32_u24_e32 v132, 0x10001, v132
	v_mul_u32_u24_e32 v120, 0x10001, v120
	v_and_b32_e32 v131, 0xffff, v33
	v_and_b32_e32 v136, 0xffff, v34
	s_wait_dscnt 0x5
	v_dual_lshrrev_b32 v140, 16, v104 :: v_dual_lshrrev_b32 v141, 16, v105
	v_and_b32_e32 v142, 0xffff, v104
	s_wait_dscnt 0x4
	v_dual_lshrrev_b32 v119, 16, v106 :: v_dual_lshrrev_b32 v144, 16, v107
	v_and_b32_e32 v146, 0xffff, v107
	v_pk_fma_f16 v33, v9, v149, v101
	v_pk_fma_f16 v34, v9, v150, v118
	;; [unrolled: 1-line block ×6, first 2 shown]
	v_mul_u32_u24_e32 v8, 0x10001, v124
	v_and_b32_e32 v36, 0xffff, v36
	v_and_b32_e32 v37, 0xffff, v37
	;; [unrolled: 1-line block ×4, first 2 shown]
	v_pk_fma_f16 v33, v11, v132, v33
	v_pk_fma_f16 v35, v10, v132, v35
	;; [unrolled: 1-line block ×7, first 2 shown]
	ds_load_b128 v[8:11], v89 offset:608
	s_wait_dscnt 0x1
	v_dual_lshrrev_b32 v38, 16, v116 :: v_dual_lshrrev_b32 v121, 16, v117
	v_and_b32_e32 v32, 0xffff, v117
	v_mul_u32_u24_e32 v36, 0x10001, v36
	v_mul_u32_u24_e32 v117, 0x10001, v122
	;; [unrolled: 1-line block ×3, first 2 shown]
	v_and_b32_e32 v39, 0xffff, v39
	v_mul_u32_u24_e32 v122, 0x10001, v126
	v_pk_fma_f16 v33, v21, v36, v33
	v_pk_fma_f16 v123, v21, v117, v34
	;; [unrolled: 1-line block ×6, first 2 shown]
	v_mul_u32_u24_e32 v107, 0x10001, v127
	v_pk_fma_f16 v101, v22, v122, v101
	v_pk_fma_f16 v104, v23, v122, v104
	ds_load_b128 v[34:37], v89 offset:624
	v_dual_lshrrev_b32 v138, 16, v102 :: v_dual_lshrrev_b32 v139, 16, v103
	v_pk_fma_f16 v117, v23, v107, v33
	v_mul_u32_u24_e32 v33, 0x10001, v125
	v_pk_fma_f16 v106, v22, v107, v106
	s_wait_dscnt 0x1
	v_lshrrev_b32_e32 v122, 16, v8
	v_and_b32_e32 v126, 0xffff, v8
	v_mul_u32_u24_e32 v8, 0x10001, v129
	v_pk_fma_f16 v107, v23, v33, v123
	v_pk_fma_f16 v105, v22, v33, v105
	v_mul_u32_u24_e32 v33, 0x10001, v39
	v_lshrrev_b32_e32 v123, 16, v9
	v_and_b32_e32 v127, 0xffff, v9
	v_dual_lshrrev_b32 v39, 16, v10 :: v_dual_lshrrev_b32 v132, 16, v11
	s_delay_alu instid0(VALU_DEP_4)
	v_pk_fma_f16 v124, v23, v33, v21
	v_pk_fma_f16 v125, v22, v33, v20
	v_and_b32_e32 v133, 0xffff, v10
	v_and_b32_e32 v33, 0xffff, v11
	v_pk_fma_f16 v9, v24, v8, v101
	v_mul_u32_u24_e32 v10, 0x10001, v130
	v_mul_u32_u24_e32 v11, 0x10001, v128
	v_mul_u32_u24_e32 v101, 0x10001, v131
	v_pk_fma_f16 v8, v25, v8, v104
	v_mul_u32_u24_e32 v104, 0x10001, v135
	v_pk_fma_f16 v117, v25, v10, v117
	v_pk_fma_f16 v107, v25, v11, v107
	;; [unrolled: 1-line block ×6, first 2 shown]
	v_mul_u32_u24_e32 v101, 0x10001, v136
	v_and_b32_e32 v102, 0xffff, v102
	v_and_b32_e32 v103, 0xffff, v103
	v_pk_fma_f16 v124, v26, v104, v9
	v_pk_fma_f16 v104, v27, v104, v8
	;; [unrolled: 1-line block ×4, first 2 shown]
	v_mul_u32_u24_e32 v101, 0x10001, v134
	s_wait_dscnt 0x0
	v_dual_lshrrev_b32 v125, 16, v34 :: v_dual_lshrrev_b32 v128, 16, v35
	v_and_b32_e32 v131, 0xffff, v34
	v_and_b32_e32 v134, 0xffff, v35
	v_pk_fma_f16 v107, v27, v101, v107
	v_pk_fma_f16 v105, v26, v101, v105
	v_mul_u32_u24_e32 v101, 0x10001, v137
	v_lshrrev_b32_e32 v135, 16, v37
	v_and_b32_e32 v136, 0xffff, v36
	v_and_b32_e32 v34, 0xffff, v37
	v_mul_u32_u24_e32 v37, 0x10001, v102
	v_pk_fma_f16 v130, v26, v101, v24
	v_mul_u32_u24_e32 v24, 0x10001, v139
	v_pk_fma_f16 v129, v27, v101, v25
	v_lshrrev_b32_e32 v101, 16, v36
	v_mul_u32_u24_e32 v102, 0x10001, v138
	v_mul_u32_u24_e32 v103, 0x10001, v103
	v_pk_fma_f16 v35, v12, v24, v124
	v_pk_fma_f16 v36, v13, v24, v104
	v_mul_u32_u24_e32 v104, 0x10001, v141
	v_pk_fma_f16 v117, v13, v37, v117
	v_pk_fma_f16 v124, v13, v102, v107
	;; [unrolled: 1-line block ×7, first 2 shown]
	v_mul_u32_u24_e32 v35, 0x10001, v142
	v_pk_fma_f16 v36, v15, v104, v36
	v_dual_lshrrev_b32 v147, 16, v108 :: v_dual_lshrrev_b32 v148, 16, v109
	v_and_b32_e32 v108, 0xffff, v108
	s_delay_alu instid0(VALU_DEP_4)
	v_pk_fma_f16 v117, v15, v35, v117
	v_pk_fma_f16 v37, v14, v35, v37
	v_mul_u32_u24_e32 v35, 0x10001, v140
	ds_load_2addr_b64 v[28:31], v94 offset1:32
	ds_load_b128 v[24:27], v89 offset:640
	ds_load_b128 v[104:107], v89 offset:656
	v_and_b32_e32 v109, 0xffff, v109
	v_pk_fma_f16 v124, v15, v35, v124
	v_pk_fma_f16 v130, v14, v35, v102
	v_mul_u32_u24_e32 v35, 0x10001, v143
	v_dual_lshrrev_b32 v152, 16, v110 :: v_dual_lshrrev_b32 v153, 16, v111
	v_mul_u32_u24_e32 v142, 0x10001, v148
	v_and_b32_e32 v110, 0xffff, v110
	s_delay_alu instid0(VALU_DEP_4) | instskip(SKIP_4) | instid1(VALU_DEP_4)
	v_pk_fma_f16 v12, v14, v35, v12
	v_mul_u32_u24_e32 v14, 0x10001, v144
	v_pk_fma_f16 v13, v15, v35, v13
	v_dual_lshrrev_b32 v154, 16, v112 :: v_dual_lshrrev_b32 v155, 16, v113
	v_and_b32_e32 v112, 0xffff, v112
	v_pk_fma_f16 v15, v4, v14, v103
	v_pk_fma_f16 v14, v5, v14, v36
	v_mul_u32_u24_e32 v36, 0x10001, v145
	v_mul_u32_u24_e32 v103, 0x10001, v119
	;; [unrolled: 1-line block ×3, first 2 shown]
	s_wait_dscnt 0x0
	v_and_b32_e32 v145, 0xffff, v104
	ds_load_2addr_b64 v[16:19], v94 offset0:64 offset1:96
	v_pk_fma_f16 v117, v5, v36, v117
	v_pk_fma_f16 v124, v5, v103, v124
	;; [unrolled: 1-line block ×4, first 2 shown]
	v_mul_u32_u24_e32 v103, 0x10001, v108
	v_pk_fma_f16 v4, v4, v119, v12
	v_pk_fma_f16 v5, v5, v119, v13
	v_pk_fma_f16 v119, v6, v142, v15
	v_pk_fma_f16 v130, v7, v142, v14
	v_pk_fma_f16 v108, v7, v103, v117
	v_pk_fma_f16 v117, v6, v103, v36
	v_mul_u32_u24_e32 v36, 0x10001, v147
	v_dual_lshrrev_b32 v142, 16, v104 :: v_dual_lshrrev_b32 v143, 16, v105
	v_dual_lshrrev_b32 v103, 16, v106 :: v_dual_lshrrev_b32 v146, 16, v107
	s_delay_alu instid0(VALU_DEP_3)
	v_pk_fma_f16 v124, v7, v36, v124
	v_pk_fma_f16 v37, v6, v36, v37
	v_mul_u32_u24_e32 v36, 0x10001, v109
	v_and_b32_e32 v147, 0xffff, v106
	v_and_b32_e32 v111, 0xffff, v111
	;; [unrolled: 1-line block ×3, first 2 shown]
	v_dual_lshrrev_b32 v118, 16, v114 :: v_dual_lshrrev_b32 v120, 16, v115
	v_pk_fma_f16 v144, v6, v36, v4
	v_mul_u32_u24_e32 v4, 0x10001, v153
	v_pk_fma_f16 v109, v7, v36, v5
	v_and_b32_e32 v36, 0xffff, v107
	v_mul_u32_u24_e32 v107, 0x10001, v110
	v_mul_u32_u24_e32 v110, 0x10001, v152
	v_pk_fma_f16 v104, v28, v4, v119
	v_pk_fma_f16 v106, v29, v4, v130
	ds_load_b128 v[4:7], v89 offset:672
	v_mul_u32_u24_e32 v119, 0x10001, v155
	v_pk_fma_f16 v130, v29, v107, v108
	v_pk_fma_f16 v124, v29, v110, v124
	;; [unrolled: 1-line block ×5, first 2 shown]
	v_mul_u32_u24_e32 v104, 0x10001, v112
	v_mul_u32_u24_e32 v111, 0x10001, v111
	v_and_b32_e32 v114, 0xffff, v114
	v_and_b32_e32 v115, 0xffff, v115
	ds_load_2addr_b64 v[20:23], v94 offset0:128 offset1:160
	v_pk_fma_f16 v112, v31, v104, v130
	v_pk_fma_f16 v117, v30, v104, v117
	v_mul_u32_u24_e32 v104, 0x10001, v154
	v_pk_fma_f16 v29, v29, v111, v109
	v_pk_fma_f16 v28, v28, v111, v144
	;; [unrolled: 1-line block ×3, first 2 shown]
	ds_load_b128 v[106:109], v89 offset:688
	v_pk_fma_f16 v130, v30, v104, v37
	s_wait_dscnt 0x2
	v_dual_lshrrev_b32 v119, 16, v4 :: v_dual_lshrrev_b32 v144, 16, v5
	v_mul_u32_u24_e32 v37, 0x10001, v113
	v_and_b32_e32 v149, 0xffff, v4
	v_mul_u32_u24_e32 v4, 0x10001, v120
	v_pk_fma_f16 v124, v31, v104, v124
	v_and_b32_e32 v150, 0xffff, v5
	v_pk_fma_f16 v113, v31, v37, v29
	v_pk_fma_f16 v148, v30, v37, v28
	v_dual_lshrrev_b32 v104, 16, v6 :: v_dual_lshrrev_b32 v151, 16, v7
	v_and_b32_e32 v152, 0xffff, v6
	v_and_b32_e32 v37, 0xffff, v7
	v_pk_fma_f16 v5, v16, v4, v110
	v_mul_u32_u24_e32 v6, 0x10001, v114
	v_mul_u32_u24_e32 v7, 0x10001, v118
	v_mul_u32_u24_e32 v110, 0x10001, v115
	v_and_b32_e32 v116, 0xffff, v116
	v_pk_fma_f16 v4, v17, v4, v111
	v_mul_u32_u24_e32 v111, 0x10001, v121
	v_pk_fma_f16 v112, v17, v6, v112
	v_pk_fma_f16 v114, v17, v7, v124
	;; [unrolled: 1-line block ×6, first 2 shown]
	v_mul_u32_u24_e32 v32, 0x10001, v32
	v_pk_fma_f16 v110, v18, v111, v5
	v_pk_fma_f16 v111, v19, v111, v4
	v_mul_u32_u24_e32 v116, 0x10001, v116
	v_mul_u32_u24_e32 v38, 0x10001, v38
	v_pk_fma_f16 v120, v18, v32, v16
	v_mul_u32_u24_e32 v16, 0x10001, v123
	s_wait_dscnt 0x0
	v_lshrrev_b32_e32 v117, 16, v107
	v_pk_fma_f16 v112, v19, v116, v112
	v_pk_fma_f16 v113, v18, v116, v113
	v_lshrrev_b32_e32 v116, 16, v106
	v_pk_fma_f16 v114, v19, v38, v114
	v_pk_fma_f16 v115, v18, v38, v115
	;; [unrolled: 1-line block ×3, first 2 shown]
	v_and_b32_e32 v121, 0xffff, v106
	v_and_b32_e32 v124, 0xffff, v107
	v_pk_fma_f16 v106, v20, v16, v110
	v_pk_fma_f16 v107, v21, v16, v111
	ds_load_b128 v[16:19], v89 offset:704
	ds_load_2addr_b64 v[8:11], v94 offset0:192 offset1:224
	v_dual_lshrrev_b32 v38, 16, v108 :: v_dual_lshrrev_b32 v130, 16, v109
	v_and_b32_e32 v148, 0xffff, v108
	v_and_b32_e32 v32, 0xffff, v109
	v_mul_u32_u24_e32 v108, 0x10001, v126
	v_mul_u32_u24_e32 v109, 0x10001, v122
	;; [unrolled: 1-line block ×4, first 2 shown]
	v_dual_lshrrev_b32 v129, 16, v24 :: v_dual_lshrrev_b32 v137, 16, v25
	v_pk_fma_f16 v112, v21, v108, v112
	v_pk_fma_f16 v114, v21, v109, v114
	;; [unrolled: 1-line block ×4, first 2 shown]
	v_mul_u32_u24_e32 v118, 0x10001, v133
	v_and_b32_e32 v138, 0xffff, v24
	v_and_b32_e32 v139, 0xffff, v25
	v_dual_lshrrev_b32 v102, 16, v26 :: v_dual_lshrrev_b32 v140, 16, v27
	v_and_b32_e32 v141, 0xffff, v26
	v_and_b32_e32 v35, 0xffff, v27
	ds_load_2addr_b64 v[24:27], v95 offset1:32
	v_pk_fma_f16 v115, v20, v109, v115
	v_pk_fma_f16 v20, v20, v110, v120
	;; [unrolled: 1-line block ×4, first 2 shown]
	ds_load_b128 v[106:109], v89 offset:720
	v_pk_fma_f16 v112, v23, v118, v112
	v_pk_fma_f16 v113, v22, v118, v113
	s_wait_dscnt 0x3
	v_dual_lshrrev_b32 v118, 16, v16 :: v_dual_lshrrev_b32 v120, 16, v17
	v_mul_u32_u24_e32 v39, 0x10001, v39
	v_mul_u32_u24_e32 v33, 0x10001, v33
	v_and_b32_e32 v126, 0xffff, v16
	v_mul_u32_u24_e32 v16, 0x10001, v128
	v_and_b32_e32 v127, 0xffff, v17
	v_pk_fma_f16 v114, v23, v39, v114
	v_pk_fma_f16 v115, v22, v39, v115
	;; [unrolled: 1-line block ×4, first 2 shown]
	v_dual_lshrrev_b32 v39, 16, v18 :: v_dual_lshrrev_b32 v132, 16, v19
	v_and_b32_e32 v133, 0xffff, v18
	v_and_b32_e32 v33, 0xffff, v19
	s_wait_dscnt 0x2
	v_pk_fma_f16 v17, v8, v16, v110
	v_mul_u32_u24_e32 v18, 0x10001, v131
	v_mul_u32_u24_e32 v19, 0x10001, v125
	;; [unrolled: 1-line block ×3, first 2 shown]
	v_pk_fma_f16 v16, v9, v16, v111
	v_mul_u32_u24_e32 v111, 0x10001, v135
	v_pk_fma_f16 v113, v8, v18, v113
	v_pk_fma_f16 v115, v8, v19, v115
	;; [unrolled: 1-line block ×3, first 2 shown]
	v_mul_u32_u24_e32 v34, 0x10001, v34
	v_pk_fma_f16 v112, v9, v18, v112
	v_pk_fma_f16 v114, v9, v19, v114
	;; [unrolled: 1-line block ×5, first 2 shown]
	v_mul_u32_u24_e32 v122, 0x10001, v136
	v_mul_u32_u24_e32 v101, 0x10001, v101
	v_pk_fma_f16 v128, v10, v34, v8
	v_mul_u32_u24_e32 v8, 0x10001, v137
	s_wait_dscnt 0x0
	v_lshrrev_b32_e32 v123, 16, v107
	v_pk_fma_f16 v112, v11, v122, v112
	v_pk_fma_f16 v113, v10, v122, v113
	v_lshrrev_b32_e32 v122, 16, v106
	v_pk_fma_f16 v114, v11, v101, v114
	v_pk_fma_f16 v115, v10, v101, v115
	;; [unrolled: 1-line block ×3, first 2 shown]
	v_and_b32_e32 v131, 0xffff, v106
	v_and_b32_e32 v134, 0xffff, v107
	v_pk_fma_f16 v106, v24, v8, v110
	v_pk_fma_f16 v107, v25, v8, v111
	ds_load_b128 v[8:11], v89 offset:736
	ds_load_2addr_b64 v[12:15], v95 offset0:64 offset1:96
	v_dual_lshrrev_b32 v101, 16, v108 :: v_dual_lshrrev_b32 v135, 16, v109
	v_and_b32_e32 v136, 0xffff, v108
	v_and_b32_e32 v34, 0xffff, v109
	v_mul_u32_u24_e32 v108, 0x10001, v138
	v_mul_u32_u24_e32 v109, 0x10001, v129
	;; [unrolled: 1-line block ×4, first 2 shown]
	v_and_b32_e32 v105, 0xffff, v105
	ds_load_2addr_b64 v[28:31], v95 offset0:128 offset1:160
	v_pk_fma_f16 v112, v25, v108, v112
	v_pk_fma_f16 v114, v25, v109, v114
	;; [unrolled: 1-line block ×8, first 2 shown]
	ds_load_b128 v[106:109], v89 offset:752
	v_mul_u32_u24_e32 v125, 0x10001, v141
	v_mul_u32_u24_e32 v102, 0x10001, v102
	;; [unrolled: 1-line block ×3, first 2 shown]
	s_wait_dscnt 0x3
	v_and_b32_e32 v138, 0xffff, v8
	v_lshrrev_b32_e32 v140, 16, v11
	v_pk_fma_f16 v112, v27, v125, v112
	v_pk_fma_f16 v113, v26, v125, v113
	v_dual_lshrrev_b32 v125, 16, v8 :: v_dual_lshrrev_b32 v128, 16, v9
	v_pk_fma_f16 v114, v27, v102, v114
	v_pk_fma_f16 v115, v26, v102, v115
	;; [unrolled: 1-line block ×4, first 2 shown]
	v_lshrrev_b32_e32 v102, 16, v10
	v_and_b32_e32 v141, 0xffff, v10
	v_and_b32_e32 v35, 0xffff, v11
	v_mul_u32_u24_e32 v8, 0x10001, v143
	v_mul_u32_u24_e32 v10, 0x10001, v145
	;; [unrolled: 1-line block ×4, first 2 shown]
	v_and_b32_e32 v139, 0xffff, v9
	s_wait_dscnt 0x2
	v_pk_fma_f16 v9, v12, v8, v110
	v_pk_fma_f16 v8, v13, v8, v111
	v_mul_u32_u24_e32 v110, 0x10001, v146
	v_pk_fma_f16 v111, v13, v10, v112
	v_pk_fma_f16 v112, v13, v11, v114
	;; [unrolled: 1-line block ×5, first 2 shown]
	v_mul_u32_u24_e32 v36, 0x10001, v36
	v_pk_fma_f16 v13, v13, v105, v129
	v_pk_fma_f16 v105, v14, v110, v9
	;; [unrolled: 1-line block ×3, first 2 shown]
	v_mul_u32_u24_e32 v115, 0x10001, v147
	v_mul_u32_u24_e32 v103, 0x10001, v103
	v_pk_fma_f16 v142, v14, v36, v12
	v_mul_u32_u24_e32 v12, 0x10001, v144
	v_pk_fma_f16 v137, v15, v36, v13
	v_pk_fma_f16 v111, v15, v115, v111
	;; [unrolled: 1-line block ×3, first 2 shown]
	s_wait_dscnt 0x0
	v_dual_lshrrev_b32 v115, 16, v106 :: v_dual_lshrrev_b32 v129, 16, v107
	v_pk_fma_f16 v112, v15, v103, v112
	v_pk_fma_f16 v114, v14, v103, v114
	v_and_b32_e32 v143, 0xffff, v106
	v_pk_fma_f16 v105, v28, v12, v105
	v_pk_fma_f16 v106, v29, v12, v110
	ds_load_b128 v[12:15], v89 offset:768
	ds_load_2addr_b64 v[4:7], v95 offset0:192 offset1:224
	v_and_b32_e32 v145, 0xffff, v107
	v_mul_u32_u24_e32 v107, 0x10001, v149
	v_dual_lshrrev_b32 v103, 16, v108 :: v_dual_lshrrev_b32 v146, 16, v109
	v_and_b32_e32 v147, 0xffff, v108
	v_and_b32_e32 v36, 0xffff, v109
	v_mul_u32_u24_e32 v108, 0x10001, v119
	v_mul_u32_u24_e32 v109, 0x10001, v150
	v_mul_u32_u24_e32 v110, 0x10001, v151
	v_pk_fma_f16 v111, v29, v107, v111
	v_pk_fma_f16 v113, v28, v107, v113
	v_mul_u32_u24_e32 v119, 0x10001, v152
	ds_load_2addr_b64 v[20:23], v96 offset1:32
	v_pk_fma_f16 v112, v29, v108, v112
	v_pk_fma_f16 v29, v29, v109, v137
	;; [unrolled: 1-line block ×6, first 2 shown]
	ds_load_b128 v[106:109], v89 offset:784
	v_pk_fma_f16 v111, v31, v119, v111
	v_pk_fma_f16 v113, v30, v119, v113
	s_wait_dscnt 0x3
	v_dual_lshrrev_b32 v119, 16, v12 :: v_dual_lshrrev_b32 v137, 16, v13
	v_mul_u32_u24_e32 v104, 0x10001, v104
	v_mul_u32_u24_e32 v37, 0x10001, v37
	v_and_b32_e32 v149, 0xffff, v12
	v_mul_u32_u24_e32 v12, 0x10001, v117
	v_and_b32_e32 v150, 0xffff, v13
	v_pk_fma_f16 v112, v31, v104, v112
	v_pk_fma_f16 v114, v30, v104, v114
	;; [unrolled: 1-line block ×4, first 2 shown]
	v_dual_lshrrev_b32 v104, 16, v14 :: v_dual_lshrrev_b32 v151, 16, v15
	v_and_b32_e32 v152, 0xffff, v14
	v_and_b32_e32 v37, 0xffff, v15
	s_wait_dscnt 0x2
	v_pk_fma_f16 v13, v4, v12, v105
	v_mul_u32_u24_e32 v14, 0x10001, v121
	v_mul_u32_u24_e32 v15, 0x10001, v116
	;; [unrolled: 1-line block ×3, first 2 shown]
	v_pk_fma_f16 v12, v5, v12, v110
	v_mul_u32_u24_e32 v110, 0x10001, v130
	v_pk_fma_f16 v113, v4, v14, v113
	v_pk_fma_f16 v114, v4, v15, v114
	;; [unrolled: 1-line block ×3, first 2 shown]
	v_mul_u32_u24_e32 v32, 0x10001, v32
	v_pk_fma_f16 v111, v5, v14, v111
	v_pk_fma_f16 v112, v5, v15, v112
	;; [unrolled: 1-line block ×5, first 2 shown]
	v_mul_u32_u24_e32 v116, 0x10001, v148
	v_mul_u32_u24_e32 v38, 0x10001, v38
	v_pk_fma_f16 v124, v6, v32, v4
	v_mul_u32_u24_e32 v4, 0x10001, v120
	v_pk_fma_f16 v121, v7, v32, v5
	v_pk_fma_f16 v111, v7, v116, v111
	;; [unrolled: 1-line block ×3, first 2 shown]
	s_wait_dscnt 0x0
	v_dual_lshrrev_b32 v116, 16, v106 :: v_dual_lshrrev_b32 v117, 16, v107
	v_pk_fma_f16 v112, v7, v38, v112
	v_pk_fma_f16 v114, v6, v38, v114
	v_and_b32_e32 v130, 0xffff, v106
	v_pk_fma_f16 v105, v20, v4, v105
	v_pk_fma_f16 v106, v21, v4, v110
	ds_load_b128 v[4:7], v89 offset:800
	ds_load_2addr_b64 v[16:19], v96 offset0:64 offset1:96
	v_and_b32_e32 v142, 0xffff, v107
	v_mul_u32_u24_e32 v107, 0x10001, v126
	v_dual_lshrrev_b32 v38, 16, v108 :: v_dual_lshrrev_b32 v144, 16, v109
	v_and_b32_e32 v148, 0xffff, v108
	v_and_b32_e32 v32, 0xffff, v109
	v_mul_u32_u24_e32 v108, 0x10001, v118
	v_mul_u32_u24_e32 v109, 0x10001, v127
	;; [unrolled: 1-line block ×3, first 2 shown]
	v_pk_fma_f16 v111, v21, v107, v111
	v_pk_fma_f16 v113, v20, v107, v113
	v_mul_u32_u24_e32 v118, 0x10001, v133
	ds_load_2addr_b64 v[24:27], v96 offset0:128 offset1:160
	v_pk_fma_f16 v112, v21, v108, v112
	v_pk_fma_f16 v21, v21, v109, v121
	;; [unrolled: 1-line block ×6, first 2 shown]
	ds_load_b128 v[106:109], v89 offset:816
	v_pk_fma_f16 v111, v23, v118, v111
	v_pk_fma_f16 v113, v22, v118, v113
	s_wait_dscnt 0x3
	v_dual_lshrrev_b32 v118, 16, v4 :: v_dual_lshrrev_b32 v120, 16, v5
	v_mul_u32_u24_e32 v39, 0x10001, v39
	v_mul_u32_u24_e32 v33, 0x10001, v33
	v_and_b32_e32 v121, 0xffff, v4
	v_mul_u32_u24_e32 v4, 0x10001, v123
	v_mul_u32_u24_e32 v123, 0x10001, v135
	v_pk_fma_f16 v112, v23, v39, v112
	v_pk_fma_f16 v114, v22, v39, v114
	;; [unrolled: 1-line block ×4, first 2 shown]
	s_wait_dscnt 0x2
	v_pk_fma_f16 v22, v16, v4, v105
	v_pk_fma_f16 v23, v17, v4, v110
	v_mul_u32_u24_e32 v105, 0x10001, v131
	v_mul_u32_u24_e32 v110, 0x10001, v122
	;; [unrolled: 1-line block ×5, first 2 shown]
	v_pk_fma_f16 v111, v17, v105, v111
	v_pk_fma_f16 v112, v17, v110, v112
	;; [unrolled: 1-line block ×8, first 2 shown]
	v_mul_u32_u24_e32 v122, 0x10001, v136
	v_pk_fma_f16 v132, v18, v34, v16
	v_mul_u32_u24_e32 v16, 0x10001, v128
	v_pk_fma_f16 v112, v19, v101, v112
	v_pk_fma_f16 v110, v18, v101, v110
	;; [unrolled: 1-line block ×4, first 2 shown]
	s_wait_dscnt 0x0
	v_dual_lshrrev_b32 v122, 16, v106 :: v_dual_lshrrev_b32 v123, 16, v107
	v_pk_fma_f16 v131, v19, v34, v17
	v_and_b32_e32 v133, 0xffff, v106
	v_and_b32_e32 v134, 0xffff, v107
	v_pk_fma_f16 v106, v24, v16, v113
	v_pk_fma_f16 v107, v25, v16, v114
	ds_load_b128 v[16:19], v89 offset:832
	ds_load_2addr_b64 v[8:11], v96 offset0:192 offset1:224
	v_dual_lshrrev_b32 v101, 16, v108 :: v_dual_lshrrev_b32 v135, 16, v109
	v_and_b32_e32 v136, 0xffff, v108
	v_mul_u32_u24_e32 v108, 0x10001, v138
	v_and_b32_e32 v34, 0xffff, v109
	v_mul_u32_u24_e32 v109, 0x10001, v125
	v_mul_u32_u24_e32 v113, 0x10001, v139
	;; [unrolled: 1-line block ×3, first 2 shown]
	v_pk_fma_f16 v111, v25, v108, v111
	v_pk_fma_f16 v105, v24, v108, v105
	v_mul_u32_u24_e32 v125, 0x10001, v141
	ds_load_2addr_b64 v[28:31], v97 offset1:32
	v_pk_fma_f16 v112, v25, v109, v112
	v_pk_fma_f16 v25, v25, v113, v131
	;; [unrolled: 1-line block ×6, first 2 shown]
	ds_load_b128 v[106:109], v89 offset:848
	v_pk_fma_f16 v111, v27, v125, v111
	v_pk_fma_f16 v105, v26, v125, v105
	s_wait_dscnt 0x3
	v_dual_lshrrev_b32 v125, 16, v16 :: v_dual_lshrrev_b32 v128, 16, v17
	v_mul_u32_u24_e32 v102, 0x10001, v102
	v_mul_u32_u24_e32 v35, 0x10001, v35
	v_and_b32_e32 v138, 0xffff, v16
	v_mul_u32_u24_e32 v16, 0x10001, v129
	v_and_b32_e32 v139, 0xffff, v17
	v_pk_fma_f16 v112, v27, v102, v112
	v_pk_fma_f16 v110, v26, v102, v110
	;; [unrolled: 1-line block ×4, first 2 shown]
	v_dual_lshrrev_b32 v102, 16, v18 :: v_dual_lshrrev_b32 v140, 16, v19
	v_and_b32_e32 v141, 0xffff, v18
	v_and_b32_e32 v35, 0xffff, v19
	s_wait_dscnt 0x2
	v_pk_fma_f16 v17, v8, v16, v113
	v_mul_u32_u24_e32 v18, 0x10001, v143
	v_mul_u32_u24_e32 v19, 0x10001, v115
	;; [unrolled: 1-line block ×3, first 2 shown]
	v_pk_fma_f16 v16, v9, v16, v114
	v_mul_u32_u24_e32 v114, 0x10001, v146
	v_pk_fma_f16 v105, v8, v18, v105
	v_pk_fma_f16 v110, v8, v19, v110
	;; [unrolled: 1-line block ×3, first 2 shown]
	v_mul_u32_u24_e32 v36, 0x10001, v36
	v_pk_fma_f16 v111, v9, v18, v111
	v_pk_fma_f16 v112, v9, v19, v112
	;; [unrolled: 1-line block ×5, first 2 shown]
	v_mul_u32_u24_e32 v115, 0x10001, v147
	v_mul_u32_u24_e32 v103, 0x10001, v103
	v_pk_fma_f16 v132, v10, v36, v8
	v_mul_u32_u24_e32 v8, 0x10001, v137
	s_wait_dscnt 0x0
	v_lshrrev_b32_e32 v129, 16, v107
	v_pk_fma_f16 v111, v11, v115, v111
	v_pk_fma_f16 v105, v10, v115, v105
	v_lshrrev_b32_e32 v115, 16, v106
	v_pk_fma_f16 v112, v11, v103, v112
	v_pk_fma_f16 v110, v10, v103, v110
	v_pk_fma_f16 v131, v11, v36, v9
	v_and_b32_e32 v143, 0xffff, v106
	v_and_b32_e32 v145, 0xffff, v107
	v_pk_fma_f16 v106, v28, v8, v113
	v_pk_fma_f16 v107, v29, v8, v114
	ds_load_b128 v[8:11], v89 offset:864
	ds_load_2addr_b64 v[12:15], v97 offset0:64 offset1:96
	v_dual_lshrrev_b32 v103, 16, v108 :: v_dual_lshrrev_b32 v146, 16, v109
	v_and_b32_e32 v147, 0xffff, v108
	v_mul_u32_u24_e32 v108, 0x10001, v149
	v_and_b32_e32 v36, 0xffff, v109
	v_mul_u32_u24_e32 v109, 0x10001, v119
	v_mul_u32_u24_e32 v113, 0x10001, v150
	;; [unrolled: 1-line block ×3, first 2 shown]
	v_pk_fma_f16 v111, v29, v108, v111
	v_pk_fma_f16 v105, v28, v108, v105
	v_mul_u32_u24_e32 v119, 0x10001, v152
	v_and_b32_e32 v124, 0xffff, v5
	v_dual_lshrrev_b32 v39, 16, v6 :: v_dual_lshrrev_b32 v126, 16, v7
	v_and_b32_e32 v127, 0xffff, v6
	v_and_b32_e32 v33, 0xffff, v7
	ds_load_2addr_b64 v[4:7], v97 offset0:128 offset1:160
	v_pk_fma_f16 v112, v29, v109, v112
	v_pk_fma_f16 v29, v29, v113, v131
	;; [unrolled: 1-line block ×6, first 2 shown]
	ds_load_b128 v[106:109], v89 offset:880
	v_pk_fma_f16 v111, v31, v119, v111
	v_pk_fma_f16 v105, v30, v119, v105
	s_wait_dscnt 0x3
	v_dual_lshrrev_b32 v119, 16, v8 :: v_dual_lshrrev_b32 v131, 16, v9
	v_mul_u32_u24_e32 v104, 0x10001, v104
	v_mul_u32_u24_e32 v37, 0x10001, v37
	v_and_b32_e32 v149, 0xffff, v8
	v_mul_u32_u24_e32 v8, 0x10001, v117
	v_and_b32_e32 v150, 0xffff, v9
	v_pk_fma_f16 v112, v31, v104, v112
	v_pk_fma_f16 v110, v30, v104, v110
	;; [unrolled: 1-line block ×4, first 2 shown]
	v_dual_lshrrev_b32 v104, 16, v10 :: v_dual_lshrrev_b32 v151, 16, v11
	v_and_b32_e32 v152, 0xffff, v10
	v_and_b32_e32 v37, 0xffff, v11
	s_wait_dscnt 0x2
	v_pk_fma_f16 v9, v12, v8, v113
	v_mul_u32_u24_e32 v10, 0x10001, v130
	v_mul_u32_u24_e32 v11, 0x10001, v116
	;; [unrolled: 1-line block ×3, first 2 shown]
	v_pk_fma_f16 v8, v13, v8, v114
	v_mul_u32_u24_e32 v114, 0x10001, v144
	v_pk_fma_f16 v111, v13, v10, v111
	v_pk_fma_f16 v112, v13, v11, v112
	;; [unrolled: 1-line block ×6, first 2 shown]
	v_mul_u32_u24_e32 v32, 0x10001, v32
	ds_load_2addr_b64 v[20:23], v97 offset0:192 offset1:224
	v_pk_fma_f16 v113, v14, v114, v9
	v_pk_fma_f16 v114, v15, v114, v8
	v_mul_u32_u24_e32 v116, 0x10001, v148
	v_mul_u32_u24_e32 v38, 0x10001, v38
	v_pk_fma_f16 v132, v15, v32, v13
	v_pk_fma_f16 v32, v14, v32, v12
	v_mul_u32_u24_e32 v12, 0x10001, v120
	v_pk_fma_f16 v111, v15, v116, v111
	v_pk_fma_f16 v116, v14, v116, v105
	s_wait_dscnt 0x1
	v_dual_lshrrev_b32 v117, 16, v106 :: v_dual_lshrrev_b32 v130, 16, v107
	v_pk_fma_f16 v112, v15, v38, v112
	v_pk_fma_f16 v110, v14, v38, v110
	v_and_b32_e32 v137, 0xffff, v106
	v_dual_lshrrev_b32 v105, 16, v108 :: v_dual_lshrrev_b32 v142, 16, v109
	v_and_b32_e32 v144, 0xffff, v108
	v_and_b32_e32 v38, 0xffff, v109
	v_pk_fma_f16 v106, v4, v12, v113
	v_pk_fma_f16 v108, v5, v12, v114
	v_mul_u32_u24_e32 v109, 0x10001, v121
	v_mul_u32_u24_e32 v113, 0x10001, v118
	v_mul_u32_u24_e32 v114, 0x10001, v124
	v_mul_u32_u24_e32 v118, 0x10001, v126
	v_mul_u32_u24_e32 v39, 0x10001, v39
	v_pk_fma_f16 v116, v4, v109, v116
	v_pk_fma_f16 v112, v5, v113, v112
	;; [unrolled: 1-line block ×5, first 2 shown]
	v_mul_u32_u24_e32 v106, 0x10001, v127
	v_mul_u32_u24_e32 v33, 0x10001, v33
	v_pk_fma_f16 v120, v5, v109, v111
	v_pk_fma_f16 v5, v5, v114, v132
	v_pk_fma_f16 v113, v6, v39, v113
	v_pk_fma_f16 v116, v6, v106, v116
	v_pk_fma_f16 v4, v6, v33, v4
	v_mul_u32_u24_e32 v6, 0x10001, v123
	v_pk_fma_f16 v114, v7, v118, v108
	v_pk_fma_f16 v118, v7, v106, v120
	;; [unrolled: 1-line block ×4, first 2 shown]
	s_wait_dscnt 0x0
	v_pk_fma_f16 v7, v20, v6, v32
	v_mul_u32_u24_e32 v32, 0x10001, v133
	ds_load_2addr_b64 v[24:27], v98 offset1:32
	ds_load_b128 v[12:15], v89 offset:896
	ds_load_b128 v[108:111], v89 offset:912
	v_mul_u32_u24_e32 v33, 0x10001, v122
	v_pk_fma_f16 v118, v21, v32, v118
	v_pk_fma_f16 v32, v20, v32, v116
	v_mul_u32_u24_e32 v116, 0x10001, v136
	v_pk_fma_f16 v6, v21, v6, v114
	v_mul_u32_u24_e32 v114, 0x10001, v134
	v_pk_fma_f16 v112, v21, v33, v112
	v_pk_fma_f16 v33, v20, v33, v113
	;; [unrolled: 1-line block ×4, first 2 shown]
	v_mul_u32_u24_e32 v32, 0x10001, v101
	v_mul_u32_u24_e32 v122, 0x10001, v135
	v_pk_fma_f16 v20, v20, v114, v4
	v_pk_fma_f16 v21, v21, v114, v5
	ds_load_2addr_b64 v[16:19], v98 offset0:64 offset1:96
	v_pk_fma_f16 v101, v23, v32, v112
	v_pk_fma_f16 v112, v22, v32, v33
	v_mul_u32_u24_e32 v32, 0x10001, v34
	v_pk_fma_f16 v113, v22, v122, v7
	v_pk_fma_f16 v114, v23, v122, v6
	s_wait_dscnt 0x1
	v_dual_lshrrev_b32 v122, 16, v108 :: v_dual_lshrrev_b32 v123, 16, v109
	v_pk_fma_f16 v134, v22, v32, v20
	v_mul_u32_u24_e32 v20, 0x10001, v128
	v_pk_fma_f16 v133, v23, v32, v21
	v_and_b32_e32 v135, 0xffff, v108
	v_and_b32_e32 v136, 0xffff, v109
	v_dual_lshrrev_b32 v33, 16, v110 :: v_dual_lshrrev_b32 v148, 16, v111
	v_pk_fma_f16 v108, v24, v20, v113
	v_pk_fma_f16 v109, v25, v20, v114
	ds_load_b128 v[20:23], v89 offset:928
	v_and_b32_e32 v34, 0xffff, v110
	v_and_b32_e32 v32, 0xffff, v111
	v_mul_u32_u24_e32 v110, 0x10001, v138
	v_mul_u32_u24_e32 v111, 0x10001, v125
	;; [unrolled: 1-line block ×5, first 2 shown]
	v_pk_fma_f16 v118, v25, v110, v118
	v_pk_fma_f16 v101, v25, v111, v101
	;; [unrolled: 1-line block ×6, first 2 shown]
	v_mul_u32_u24_e32 v35, 0x10001, v35
	ds_load_2addr_b64 v[28:31], v98 offset0:128 offset1:160
	v_pk_fma_f16 v113, v26, v114, v108
	v_pk_fma_f16 v114, v27, v114, v109
	ds_load_b128 v[108:111], v89 offset:944
	v_pk_fma_f16 v118, v27, v125, v118
	v_pk_fma_f16 v116, v26, v125, v116
	s_wait_dscnt 0x2
	v_lshrrev_b32_e32 v125, 16, v20
	v_mul_u32_u24_e32 v102, 0x10001, v102
	v_pk_fma_f16 v25, v27, v35, v25
	v_pk_fma_f16 v24, v26, v35, v24
	v_and_b32_e32 v35, 0xffff, v20
	v_mul_u32_u24_e32 v20, 0x10001, v129
	v_pk_fma_f16 v101, v27, v102, v101
	v_pk_fma_f16 v102, v26, v102, v112
	v_mul_u32_u24_e32 v129, 0x10001, v146
	v_mul_u32_u24_e32 v103, 0x10001, v103
	v_pk_fma_f16 v26, v16, v20, v113
	v_pk_fma_f16 v27, v17, v20, v114
	v_mul_u32_u24_e32 v113, 0x10001, v143
	v_mul_u32_u24_e32 v114, 0x10001, v115
	;; [unrolled: 1-line block ×4, first 2 shown]
	ds_load_2addr_b64 v[8:11], v98 offset0:192 offset1:224
	v_pk_fma_f16 v118, v17, v113, v118
	v_pk_fma_f16 v101, v17, v114, v101
	;; [unrolled: 1-line block ×8, first 2 shown]
	v_mul_u32_u24_e32 v116, 0x10001, v147
	v_pk_fma_f16 v101, v19, v103, v101
	v_pk_fma_f16 v102, v18, v103, v102
	v_pk_fma_f16 v103, v19, v36, v17
	v_pk_fma_f16 v36, v18, v36, v16
	v_mul_u32_u24_e32 v16, 0x10001, v131
	v_pk_fma_f16 v118, v19, v116, v118
	v_pk_fma_f16 v113, v18, v116, v113
	s_wait_dscnt 0x1
	v_dual_lshrrev_b32 v116, 16, v108 :: v_dual_lshrrev_b32 v129, 16, v109
	v_and_b32_e32 v140, 0xffff, v108
	v_and_b32_e32 v141, 0xffff, v109
	v_pk_fma_f16 v108, v28, v16, v114
	v_pk_fma_f16 v109, v29, v16, v115
	ds_load_b128 v[16:19], v89 offset:960
	v_dual_lshrrev_b32 v143, 16, v110 :: v_dual_lshrrev_b32 v145, 16, v111
	v_and_b32_e32 v146, 0xffff, v110
	v_and_b32_e32 v147, 0xffff, v111
	v_mul_u32_u24_e32 v110, 0x10001, v149
	v_mul_u32_u24_e32 v111, 0x10001, v119
	;; [unrolled: 1-line block ×5, first 2 shown]
	v_pk_fma_f16 v118, v29, v110, v118
	v_pk_fma_f16 v101, v29, v111, v101
	;; [unrolled: 1-line block ×6, first 2 shown]
	v_mul_u32_u24_e32 v114, 0x10001, v152
	v_and_b32_e32 v107, 0xffff, v107
	v_dual_lshrrev_b32 v120, 16, v12 :: v_dual_lshrrev_b32 v121, 16, v13
	v_and_b32_e32 v124, 0xffff, v12
	v_and_b32_e32 v126, 0xffff, v13
	v_dual_lshrrev_b32 v106, 16, v14 :: v_dual_lshrrev_b32 v127, 16, v15
	v_and_b32_e32 v132, 0xffff, v14
	v_and_b32_e32 v39, 0xffff, v15
	ds_load_2addr_b64 v[12:15], v99 offset1:32
	v_pk_fma_f16 v36, v30, v115, v108
	v_pk_fma_f16 v113, v31, v115, v109
	ds_load_b128 v[108:111], v89 offset:976
	v_pk_fma_f16 v115, v31, v114, v118
	v_pk_fma_f16 v103, v30, v114, v103
	s_wait_dscnt 0x2
	v_dual_lshrrev_b32 v114, 16, v16 :: v_dual_lshrrev_b32 v118, 16, v17
	v_mul_u32_u24_e32 v104, 0x10001, v104
	v_pk_fma_f16 v29, v31, v37, v29
	v_pk_fma_f16 v28, v30, v37, v28
	v_and_b32_e32 v37, 0xffff, v16
	v_mul_u32_u24_e32 v16, 0x10001, v130
	v_pk_fma_f16 v101, v31, v104, v101
	v_pk_fma_f16 v102, v30, v104, v102
	v_mul_u32_u24_e32 v104, 0x10001, v117
	v_mul_u32_u24_e32 v107, 0x10001, v107
	v_pk_fma_f16 v30, v8, v16, v36
	v_mul_u32_u24_e32 v36, 0x10001, v137
	v_pk_fma_f16 v31, v9, v16, v113
	;; [unrolled: 2-line block ×3, first 2 shown]
	v_pk_fma_f16 v102, v8, v104, v102
	v_pk_fma_f16 v115, v9, v36, v115
	;; [unrolled: 1-line block ×5, first 2 shown]
	v_mul_u32_u24_e32 v105, 0x10001, v105
	v_mul_u32_u24_e32 v38, 0x10001, v38
	v_pk_fma_f16 v103, v10, v113, v30
	v_pk_fma_f16 v104, v11, v113, v31
	v_mul_u32_u24_e32 v107, 0x10001, v144
	v_pk_fma_f16 v101, v11, v105, v101
	v_pk_fma_f16 v102, v10, v105, v102
	;; [unrolled: 1-line block ×4, first 2 shown]
	v_mul_u32_u24_e32 v8, 0x10001, v121
	v_pk_fma_f16 v113, v11, v107, v115
	v_pk_fma_f16 v36, v10, v107, v36
	ds_load_2addr_b64 v[4:7], v99 offset0:64 offset1:96
	v_mul_u32_u24_e32 v121, 0x10001, v124
	s_wait_dscnt 0x2
	v_pk_fma_f16 v103, v12, v8, v103
	v_pk_fma_f16 v104, v13, v8, v104
	ds_load_b128 v[8:11], v89 offset:992
	v_mul_u32_u24_e32 v120, 0x10001, v120
	v_mul_u32_u24_e32 v124, 0x10001, v126
	;; [unrolled: 1-line block ×3, first 2 shown]
	v_pk_fma_f16 v113, v13, v121, v113
	v_pk_fma_f16 v36, v12, v121, v36
	v_pk_fma_f16 v101, v13, v120, v101
	v_pk_fma_f16 v13, v13, v124, v105
	v_pk_fma_f16 v120, v12, v120, v102
	v_pk_fma_f16 v12, v12, v124, v38
	v_pk_fma_f16 v38, v14, v126, v103
	v_pk_fma_f16 v121, v15, v126, v104
	ds_load_b128 v[102:105], v89 offset:1008
	v_mul_u32_u24_e32 v124, 0x10001, v132
	v_mul_u32_u24_e32 v39, 0x10001, v39
	v_lshrrev_b32_e32 v112, 16, v21
	v_and_b32_e32 v128, 0xffff, v21
	v_dual_lshrrev_b32 v133, 16, v22 :: v_dual_lshrrev_b32 v134, 16, v23
	v_and_b32_e32 v138, 0xffff, v22
	v_and_b32_e32 v139, 0xffff, v23
	ds_load_2addr_b64 v[20:23], v99 offset0:128 offset1:160
	v_pk_fma_f16 v113, v15, v124, v113
	v_pk_fma_f16 v36, v14, v124, v36
	s_wait_dscnt 0x2
	v_lshrrev_b32_e32 v124, 16, v8
	v_mul_u32_u24_e32 v106, 0x10001, v106
	v_pk_fma_f16 v13, v15, v39, v13
	v_pk_fma_f16 v12, v14, v39, v12
	v_and_b32_e32 v39, 0xffff, v8
	v_mul_u32_u24_e32 v8, 0x10001, v123
	v_pk_fma_f16 v101, v15, v106, v101
	v_pk_fma_f16 v106, v14, v106, v120
	ds_load_2addr_b64 v[24:27], v99 offset0:192 offset1:224
	v_mul_u32_u24_e32 v123, 0x10001, v148
	v_pk_fma_f16 v14, v4, v8, v38
	v_pk_fma_f16 v15, v5, v8, v121
	v_mul_u32_u24_e32 v38, 0x10001, v135
	v_mul_u32_u24_e32 v121, 0x10001, v122
	;; [unrolled: 1-line block ×5, first 2 shown]
	v_pk_fma_f16 v113, v5, v38, v113
	v_pk_fma_f16 v101, v5, v121, v101
	;; [unrolled: 1-line block ×6, first 2 shown]
	v_mul_u32_u24_e32 v32, 0x10001, v32
	v_pk_fma_f16 v106, v6, v123, v14
	v_pk_fma_f16 v121, v7, v123, v15
	;; [unrolled: 1-line block ×4, first 2 shown]
	s_wait_dscnt 0x2
	v_lshrrev_b32_e32 v36, 16, v102
	v_pk_fma_f16 v101, v7, v33, v101
	v_pk_fma_f16 v33, v6, v33, v38
	v_lshrrev_b32_e32 v38, 16, v103
	v_pk_fma_f16 v5, v7, v32, v5
	v_pk_fma_f16 v4, v6, v32, v4
	v_and_b32_e32 v6, 0xffff, v102
	v_and_b32_e32 v7, 0xffff, v103
	v_dual_lshrrev_b32 v32, 16, v104 :: v_dual_lshrrev_b32 v102, 16, v105
	v_and_b32_e32 v103, 0xffff, v104
	v_and_b32_e32 v104, 0xffff, v105
	v_mul_u32_u24_e32 v105, 0x10001, v112
	v_mul_u32_u24_e32 v35, 0x10001, v35
	;; [unrolled: 1-line block ×4, first 2 shown]
	v_and_b32_e32 v119, 0xffff, v17
	v_dual_lshrrev_b32 v131, 16, v18 :: v_dual_lshrrev_b32 v149, 16, v19
	v_and_b32_e32 v150, 0xffff, v18
	v_and_b32_e32 v151, 0xffff, v19
	ds_load_2addr_b64 v[16:19], v100 offset1:32
	v_mul_u32_u24_e32 v123, 0x10001, v134
	v_mul_u32_u24_e32 v125, 0x10001, v138
	;; [unrolled: 1-line block ×4, first 2 shown]
	s_wait_dscnt 0x2
	v_pk_fma_f16 v106, v20, v105, v106
	v_pk_fma_f16 v105, v21, v105, v121
	;; [unrolled: 1-line block ×8, first 2 shown]
	v_mul_u32_u24_e32 v129, 0x10001, v129
	v_mul_u32_u24_e32 v134, 0x10001, v140
	;; [unrolled: 1-line block ×4, first 2 shown]
	v_pk_fma_f16 v20, v22, v123, v106
	v_pk_fma_f16 v34, v23, v123, v105
	;; [unrolled: 1-line block ×8, first 2 shown]
	ds_load_2addr_b64 v[28:31], v100 offset0:64 offset1:96
	v_mul_u32_u24_e32 v136, 0x10001, v145
	v_mul_u32_u24_e32 v138, 0x10001, v146
	;; [unrolled: 1-line block ×4, first 2 shown]
	s_wait_dscnt 0x2
	v_pk_fma_f16 v20, v24, v129, v20
	v_pk_fma_f16 v22, v25, v129, v34
	;; [unrolled: 1-line block ×8, first 2 shown]
	v_mul_u32_u24_e32 v118, 0x10001, v118
	v_mul_u32_u24_e32 v37, 0x10001, v37
	;; [unrolled: 1-line block ×4, first 2 shown]
	v_pk_fma_f16 v20, v26, v136, v20
	v_pk_fma_f16 v22, v27, v136, v22
	;; [unrolled: 1-line block ×8, first 2 shown]
	v_dual_lshrrev_b32 v107, 16, v108 :: v_dual_lshrrev_b32 v115, 16, v109
	v_and_b32_e32 v108, 0xffff, v108
	v_and_b32_e32 v109, 0xffff, v109
	v_lshrrev_b32_e32 v120, 16, v9
	v_and_b32_e32 v126, 0xffff, v9
	v_dual_lshrrev_b32 v127, 16, v10 :: v_dual_lshrrev_b32 v132, 16, v11
	v_and_b32_e32 v137, 0xffff, v10
	v_and_b32_e32 v142, 0xffff, v11
	ds_load_2addr_b64 v[8:11], v100 offset0:128 offset1:160
	v_mul_u32_u24_e32 v141, 0x10001, v149
	v_mul_u32_u24_e32 v143, 0x10001, v150
	;; [unrolled: 1-line block ×4, first 2 shown]
	s_wait_dscnt 0x2
	v_pk_fma_f16 v20, v16, v118, v20
	v_pk_fma_f16 v22, v17, v118, v22
	;; [unrolled: 1-line block ×8, first 2 shown]
	v_dual_lshrrev_b32 v117, 16, v110 :: v_dual_lshrrev_b32 v130, 16, v111
	v_and_b32_e32 v110, 0xffff, v110
	v_and_b32_e32 v111, 0xffff, v111
	v_mul_u32_u24_e32 v115, 0x10001, v115
	v_mul_u32_u24_e32 v108, 0x10001, v108
	;; [unrolled: 1-line block ×4, first 2 shown]
	v_pk_fma_f16 v16, v18, v141, v20
	v_pk_fma_f16 v20, v19, v141, v22
	;; [unrolled: 1-line block ×8, first 2 shown]
	ds_load_2addr_b64 v[12:15], v100 offset0:192 offset1:224
	v_mul_u32_u24_e32 v130, 0x10001, v130
	v_mul_u32_u24_e32 v110, 0x10001, v110
	;; [unrolled: 1-line block ×4, first 2 shown]
	s_wait_dscnt 0x2
	v_pk_fma_f16 v16, v28, v115, v16
	v_pk_fma_f16 v18, v29, v115, v20
	;; [unrolled: 1-line block ×8, first 2 shown]
	s_wait_dscnt 0x0
	s_barrier_signal -1
	s_barrier_wait -1
	s_load_b32 s2, s[50:51], 0x4
	v_mul_u32_u24_e32 v120, 0x10001, v120
	v_mul_u32_u24_e32 v39, 0x10001, v39
	v_mul_u32_u24_e32 v124, 0x10001, v124
	v_mul_u32_u24_e32 v126, 0x10001, v126
	v_pk_fma_f16 v16, v30, v130, v16
	v_pk_fma_f16 v18, v31, v130, v18
	v_pk_fma_f16 v20, v31, v110, v20
	v_pk_fma_f16 v21, v31, v117, v21
	v_pk_fma_f16 v5, v31, v111, v5
	v_pk_fma_f16 v17, v30, v110, v17
	v_pk_fma_f16 v19, v30, v117, v19
	v_pk_fma_f16 v4, v30, v111, v4
	v_mul_u32_u24_e32 v132, 0x10001, v132
	v_mul_u32_u24_e32 v137, 0x10001, v137
	v_mul_u32_u24_e32 v127, 0x10001, v127
	v_mul_u32_u24_e32 v142, 0x10001, v142
	v_pk_fma_f16 v16, v8, v120, v16
	v_pk_fma_f16 v18, v9, v120, v18
	v_pk_fma_f16 v20, v9, v39, v20
	v_pk_fma_f16 v21, v9, v124, v21
	v_pk_fma_f16 v5, v9, v126, v5
	v_pk_fma_f16 v9, v8, v39, v17
	v_pk_fma_f16 v17, v8, v124, v19
	v_pk_fma_f16 v4, v8, v126, v4
	;; [unrolled: 12-line block ×4, first 2 shown]
	s_wait_kmcnt 0x0
	s_lshl_b32 s2, s2, 7
	v_pk_fma_f16 v26, v14, v102, v8
	v_pk_fma_f16 v31, v15, v103, v16
	v_pk_fma_f16 v29, v15, v32, v17
	v_pk_fma_f16 v25, v15, v104, v5
	v_pk_fma_f16 v27, v15, v102, v10
	v_pk_fma_f16 v30, v14, v103, v6
	v_pk_fma_f16 v28, v14, v32, v9
	v_pk_fma_f16 v24, v14, v104, v4
	s_add_co_i32 s22, s2, s22
	s_delay_alu instid0(SALU_CYCLE_1)
	s_cmp_ge_i32 s22, s42
	s_cbranch_scc0 .LBB37_9
; %bb.10:
	v_mov_b32_e32 v4, v73
.LBB37_11:
	v_cmp_lt_i32_e32 vcc_lo, v79, v74
	s_cmp_lg_u64 s[24:25], 0
	s_cselect_b32 s2, -1, 0
	s_cmp_eq_u32 s33, 0
	v_cndmask_b32_e32 v5, v4, v79, vcc_lo
	v_cmp_lt_i32_e32 vcc_lo, v78, v74
	s_cselect_b32 s3, -1, 0
	s_delay_alu instid0(SALU_CYCLE_1) | instskip(NEXT) | instid1(VALU_DEP_2)
	s_and_b32 s2, s3, s2
	v_lshlrev_b32_e32 v5, 2, v5
	ds_bpermute_b32 v6, v5, v46
	ds_bpermute_b32 v7, v5, v47
	;; [unrolled: 1-line block ×4, first 2 shown]
	v_cndmask_b32_e32 v5, v4, v78, vcc_lo
	v_cmp_lt_i32_e32 vcc_lo, v77, v74
	s_delay_alu instid0(VALU_DEP_2)
	v_lshlrev_b32_e32 v5, 2, v5
	s_wait_dscnt 0x2
	v_pk_add_f32 v[6:7], v[46:47], v[6:7]
	s_wait_dscnt 0x0
	v_pk_add_f32 v[8:9], v[42:43], v[8:9]
	ds_bpermute_b32 v10, v5, v6
	ds_bpermute_b32 v11, v5, v7
	;; [unrolled: 1-line block ×4, first 2 shown]
	v_cndmask_b32_e32 v5, v4, v77, vcc_lo
	v_cmp_lt_i32_e32 vcc_lo, v76, v74
	s_delay_alu instid0(VALU_DEP_2)
	v_lshlrev_b32_e32 v5, 2, v5
	s_wait_dscnt 0x2
	v_pk_add_f32 v[6:7], v[6:7], v[10:11]
	s_wait_dscnt 0x0
	v_pk_add_f32 v[8:9], v[8:9], v[12:13]
	ds_bpermute_b32 v10, v5, v6
	ds_bpermute_b32 v11, v5, v7
	;; [unrolled: 1-line block ×4, first 2 shown]
	v_cndmask_b32_e32 v5, v4, v76, vcc_lo
	v_cmp_lt_i32_e32 vcc_lo, v75, v74
	s_delay_alu instid0(VALU_DEP_2) | instskip(SKIP_1) | instid1(VALU_DEP_1)
	v_dual_cndmask_b32 v4, v4, v75 :: v_dual_lshlrev_b32 v5, 2, v5
	s_and_b32 vcc_lo, exec_lo, s2
	v_lshlrev_b32_e32 v14, 2, v4
	s_wait_dscnt 0x2
	v_pk_add_f32 v[6:7], v[6:7], v[10:11]
	s_wait_dscnt 0x0
	v_pk_add_f32 v[8:9], v[8:9], v[12:13]
	ds_bpermute_b32 v10, v5, v6
	ds_bpermute_b32 v11, v5, v7
	;; [unrolled: 1-line block ×4, first 2 shown]
	s_wait_dscnt 0x2
	v_pk_add_f32 v[4:5], v[6:7], v[10:11]
	s_wait_dscnt 0x0
	v_pk_add_f32 v[8:9], v[8:9], v[12:13]
	ds_bpermute_b32 v6, v14, v4
	ds_bpermute_b32 v7, v14, v5
	;; [unrolled: 1-line block ×4, first 2 shown]
	s_wait_dscnt 0x2
	v_pk_add_f32 v[6:7], v[4:5], v[6:7]
	s_wait_dscnt 0x0
	v_pk_add_f32 v[4:5], v[8:9], v[10:11]
	s_cbranch_vccz .LBB37_13
; %bb.12:
	s_ashr_i32 s35, s34, 31
	v_mov_b32_e32 v8, 0
	s_lshl_b64 s[2:3], s[34:35], 2
	v_max_num_f32_e32 v9, v1, v1
	s_add_nc_u64 s[2:3], s[24:25], s[2:3]
	v_max_num_f32_e32 v14, v2, v2
	global_load_b64 v[12:13], v8, s[2:3]
	s_wait_xcnt 0x0
	v_max_num_f32_e32 v8, v0, v0
	s_wait_loadcnt 0x0
	v_dual_max_num_f32 v10, v12, v12 :: v_dual_max_num_f32 v11, v13, v13
	s_delay_alu instid0(VALU_DEP_1) | instskip(NEXT) | instid1(VALU_DEP_2)
	v_dual_max_num_f32 v15, v3, v3 :: v_dual_max_num_f32 v8, v8, v10
	v_dual_max_num_f32 v9, v9, v11 :: v_dual_max_num_f32 v10, v14, v10
	s_delay_alu instid0(VALU_DEP_2) | instskip(NEXT) | instid1(VALU_DEP_2)
	v_dual_max_num_f32 v11, v15, v11 :: v_dual_sub_f32 v0, v0, v8
	v_dual_sub_f32 v14, v12, v8 :: v_dual_sub_f32 v1, v1, v9
	s_delay_alu instid0(VALU_DEP_3) | instskip(NEXT) | instid1(VALU_DEP_3)
	v_dual_sub_f32 v15, v13, v9 :: v_dual_sub_f32 v16, v2, v10
	v_dual_sub_f32 v19, v13, v11 :: v_dual_mul_f32 v2, 0x3fb8aa3b, v0
	v_dual_sub_f32 v17, v12, v10 :: v_dual_sub_f32 v18, v3, v11
	s_delay_alu instid0(VALU_DEP_4) | instskip(NEXT) | instid1(VALU_DEP_4)
	v_dual_mul_f32 v3, 0x3fb8aa3b, v14 :: v_dual_mul_f32 v12, 0x3fb8aa3b, v1
	v_dual_mul_f32 v13, 0x3fb8aa3b, v15 :: v_dual_mul_f32 v20, 0x3fb8aa3b, v16
	s_delay_alu instid0(VALU_DEP_4)
	v_fma_f32 v32, 0x3fb8aa3b, v0, -v2
	v_rndne_f32_e32 v33, v2
	v_mul_f32_e32 v23, 0x3fb8aa3b, v19
	v_fma_f32 v34, 0x3fb8aa3b, v14, -v3
	v_rndne_f32_e32 v35, v3
	v_rndne_f32_e32 v41, v20
	v_fmac_f32_e32 v32, 0x32a5705f, v0
	v_sub_f32_e32 v2, v2, v33
	v_dual_mul_f32 v21, 0x3fb8aa3b, v17 :: v_dual_mul_f32 v22, 0x3fb8aa3b, v18
	v_fma_f32 v36, 0x3fb8aa3b, v1, -v12
	v_rndne_f32_e32 v37, v12
	v_fma_f32 v38, 0x3fb8aa3b, v15, -v13
	v_rndne_f32_e32 v39, v13
	v_fma_f32 v40, 0x3fb8aa3b, v16, -v20
	v_dual_fmac_f32 v34, 0x32a5705f, v14 :: v_dual_sub_f32 v3, v3, v35
	v_dual_sub_f32 v20, v20, v41 :: v_dual_add_f32 v2, v2, v32
	v_fma_f32 v42, 0x3fb8aa3b, v17, -v21
	v_rndne_f32_e32 v43, v21
	v_rndne_f32_e32 v45, v22
	v_fma_f32 v46, 0x3fb8aa3b, v19, -v23
	v_rndne_f32_e32 v47, v23
	s_delay_alu instid0(VALU_DEP_4)
	v_dual_fmac_f32 v36, 0x32a5705f, v1 :: v_dual_sub_f32 v21, v21, v43
	v_dual_sub_f32 v12, v12, v37 :: v_dual_sub_f32 v13, v13, v39
	v_dual_fmac_f32 v38, 0x32a5705f, v15 :: v_dual_add_f32 v3, v3, v34
	v_exp_f32_e32 v2, v2
	v_cvt_i32_f32_e32 v33, v33
	v_fma_f32 v44, 0x3fb8aa3b, v18, -v22
	v_fmac_f32_e32 v46, 0x32a5705f, v19
	v_dual_sub_f32 v23, v23, v47 :: v_dual_fmac_f32 v42, 0x32a5705f, v17
	v_dual_sub_f32 v22, v22, v45 :: v_dual_add_f32 v12, v12, v36
	v_exp_f32_e32 v3, v3
	v_cvt_i32_f32_e32 v35, v35
	v_dual_fmac_f32 v40, 0x32a5705f, v16 :: v_dual_add_f32 v13, v13, v38
	v_ldexp_f32 v2, v2, v33
	v_cmp_ngt_f32_e32 vcc_lo, 0xc2ce8ed0, v0
	v_add_f32_e32 v23, v23, v46
	v_add_f32_e32 v21, v21, v42
	v_exp_f32_e32 v12, v12
	v_cvt_i32_f32_e32 v37, v37
	v_dual_add_f32 v20, v20, v40 :: v_dual_cndmask_b32 v2, 0, v2, vcc_lo
	v_ldexp_f32 v3, v3, v35
	v_cmp_ngt_f32_e32 vcc_lo, 0xc2ce8ed0, v14
	v_exp_f32_e32 v13, v13
	v_exp_f32_e32 v21, v21
	v_cvt_i32_f32_e32 v39, v39
	v_cvt_i32_f32_e32 v43, v43
	v_dual_fmac_f32 v44, 0x32a5705f, v18 :: v_dual_cndmask_b32 v3, 0, v3
	v_ldexp_f32 v12, v12, v37
	v_cmp_ngt_f32_e32 vcc_lo, 0xc2ce8ed0, v1
	v_exp_f32_e32 v20, v20
	v_ldexp_f32 v13, v13, v39
	v_ldexp_f32 v21, v21, v43
	v_cvt_i32_f32_e32 v41, v41
	v_cndmask_b32_e32 v12, 0, v12, vcc_lo
	v_cmp_ngt_f32_e32 vcc_lo, 0xc2ce8ed0, v15
	v_add_f32_e32 v22, v22, v44
	v_cvt_i32_f32_e32 v45, v45
	v_ldexp_f32 v20, v20, v41
	v_exp_f32_e32 v23, v23
	v_cndmask_b32_e32 v13, 0, v13, vcc_lo
	v_exp_f32_e32 v22, v22
	v_cmp_ngt_f32_e32 vcc_lo, 0xc2ce8ed0, v16
	v_cvt_i32_f32_e32 v47, v47
	s_delay_alu instid0(TRANS32_DEP_1) | instskip(SKIP_2) | instid1(VALU_DEP_4)
	v_ldexp_f32 v22, v22, v45
	v_cndmask_b32_e32 v20, 0, v20, vcc_lo
	v_cmp_ngt_f32_e32 vcc_lo, 0xc2ce8ed0, v17
	v_ldexp_f32 v23, v23, v47
	v_cndmask_b32_e32 v21, 0, v21, vcc_lo
	v_cmp_ngt_f32_e32 vcc_lo, 0xc2ce8ed0, v18
	v_cndmask_b32_e32 v22, 0, v22, vcc_lo
	v_cmp_ngt_f32_e32 vcc_lo, 0xc2ce8ed0, v19
	v_cndmask_b32_e32 v23, 0, v23, vcc_lo
	v_cmp_nlt_f32_e32 vcc_lo, 0x42b17218, v0
	v_cndmask_b32_e32 v0, 0x7f800000, v2, vcc_lo
	v_cmp_nlt_f32_e32 vcc_lo, 0x42b17218, v14
	;; [unrolled: 2-line block ×5, first 2 shown]
	v_cvt_f16_f32_e32 v16, v0
	s_delay_alu instid0(VALU_DEP_3)
	v_pk_fma_f32 v[6:7], v[6:7], v[0:1], v[2:3]
	v_cndmask_b32_e32 v12, 0x7f800000, v20, vcc_lo
	v_cmp_nlt_f32_e32 vcc_lo, 0x42b17218, v17
	v_cvt_f16_f32_e32 v17, v1
	v_and_b32_e32 v16, 0xffff, v16
	v_cndmask_b32_e32 v14, 0x7f800000, v21, vcc_lo
	v_cmp_nlt_f32_e32 vcc_lo, 0x42b17218, v18
	v_cvt_f16_f32_e32 v18, v12
	v_and_b32_e32 v0, 0xffff, v17
	v_mul_u32_u24_e32 v3, 0x10001, v16
	v_cndmask_b32_e32 v13, 0x7f800000, v22, vcc_lo
	v_cmp_nlt_f32_e32 vcc_lo, 0x42b17218, v19
	v_and_b32_e32 v1, 0xffff, v18
	v_mul_u32_u24_e32 v0, 0x10001, v0
	v_pk_mul_f16 v30, v30, v3
	v_cvt_f16_f32_e32 v19, v13
	v_cndmask_b32_e32 v15, 0x7f800000, v23, vcc_lo
	v_mul_u32_u24_e32 v1, 0x10001, v1
	v_pk_mul_f16 v31, v31, v3
	v_pk_mul_f16 v28, v28, v0
	v_and_b32_e32 v2, 0xffff, v19
	v_pk_mul_f16 v29, v29, v0
	v_pk_mul_f16 v24, v24, v1
	;; [unrolled: 1-line block ×3, first 2 shown]
	v_pk_fma_f32 v[4:5], v[4:5], v[12:13], v[14:15]
	v_mul_u32_u24_e32 v2, 0x10001, v2
	s_delay_alu instid0(VALU_DEP_1)
	v_pk_mul_f16 v26, v26, v2
	v_pk_mul_f16 v27, v27, v2
	v_mov_b64_e32 v[0:1], v[8:9]
	v_mov_b64_e32 v[2:3], v[10:11]
.LBB37_13:
	s_mov_b32 s2, exec_lo
	v_cmpx_gt_i32_e64 s38, v71
	s_cbranch_execz .LBB37_32
; %bb.14:
	s_load_b32 s0, s[0:1], 0xd4
	v_mov_b32_e32 v8, 1.0
	s_wait_kmcnt 0x0
	s_cmp_lg_u32 s0, 1
	s_cselect_b32 s2, -1, 0
	s_cmp_eq_u32 s0, 1
	s_cselect_b32 s3, -1, 0
	s_and_b32 vcc_lo, exec_lo, s2
	s_cbranch_vccnz .LBB37_16
; %bb.15:
	v_div_scale_f32 v8, null, v6, v6, 1.0
	s_delay_alu instid0(VALU_DEP_1) | instskip(SKIP_1) | instid1(TRANS32_DEP_1)
	v_rcp_f32_e32 v9, v8
	v_nop
	v_fma_f32 v10, -v8, v9, 1.0
	s_delay_alu instid0(VALU_DEP_1) | instskip(SKIP_1) | instid1(VALU_DEP_1)
	v_fmac_f32_e32 v9, v10, v9
	v_div_scale_f32 v10, vcc_lo, 1.0, v6, 1.0
	v_mul_f32_e32 v11, v10, v9
	s_delay_alu instid0(VALU_DEP_1) | instskip(NEXT) | instid1(VALU_DEP_1)
	v_fma_f32 v12, -v8, v11, v10
	v_fmac_f32_e32 v11, v12, v9
	s_delay_alu instid0(VALU_DEP_1) | instskip(NEXT) | instid1(VALU_DEP_1)
	v_fma_f32 v8, -v8, v11, v10
	v_div_fmas_f32 v8, v8, v9, v11
	s_delay_alu instid0(VALU_DEP_1)
	v_div_fixup_f32 v8, v8, v6, 1.0
.LBB37_16:
	s_mul_i32 s1, s40, s38
	v_lshrrev_b32_e32 v17, 16, v31
	s_add_co_i32 s1, s1, s43
	v_cvt_f32_f16_e32 v12, v30
	v_dual_add_nc_u32 v9, s1, v69 :: v_dual_lshrrev_b32 v11, 16, v30
	v_cvt_f32_f16_e32 v16, v31
	v_cvt_f32_f16_e32 v17, v17
	v_cmp_eq_u32_e32 vcc_lo, 0, v70
	s_delay_alu instid0(VALU_DEP_4) | instskip(SKIP_3) | instid1(VALU_DEP_3)
	v_mul_lo_u32 v9, v9, s39
	v_cvt_f32_f16_e32 v13, v11
	v_mov_b32_e32 v15, 0
	s_and_b32 s2, vcc_lo, s2
	v_add_nc_u32_e32 v10, s34, v9
	s_delay_alu instid0(VALU_DEP_3) | instskip(NEXT) | instid1(VALU_DEP_2)
	v_pk_mul_f32 v[12:13], v[8:9], v[12:13] op_sel_hi:[0,1]
	v_mad_u32 v10, s0, v10, s33
	s_delay_alu instid0(VALU_DEP_1) | instskip(NEXT) | instid1(VALU_DEP_1)
	v_lshl_add_u32 v14, v10, 7, v68
	v_lshl_add_u64 v[18:19], v[14:15], 2, s[28:29]
	v_pk_mul_f32 v[14:15], v[8:9], v[16:17] op_sel_hi:[0,1]
	global_store_b128 v[18:19], v[12:15], off
	s_wait_xcnt 0x0
	s_and_saveexec_b32 s4, s2
	s_cbranch_execz .LBB37_18
; %bb.17:
	v_dual_mov_b32 v12, v0 :: v_dual_mov_b32 v13, v6
	global_store_b64 v10, v[12:13], s[30:31] scale_offset
.LBB37_18:
	s_wait_xcnt 0x0
	s_or_b32 exec_lo, exec_lo, s4
	v_cndmask_b32_e64 v8, 0, 1, s3
	v_mov_b32_e32 v0, 1.0
	s_and_not1_b32 vcc_lo, exec_lo, s3
	s_cbranch_vccnz .LBB37_20
; %bb.19:
	v_div_scale_f32 v0, null, v7, v7, 1.0
	s_delay_alu instid0(VALU_DEP_1) | instskip(SKIP_1) | instid1(TRANS32_DEP_1)
	v_rcp_f32_e32 v6, v0
	v_nop
	v_fma_f32 v10, -v0, v6, 1.0
	s_delay_alu instid0(VALU_DEP_1) | instskip(SKIP_1) | instid1(VALU_DEP_1)
	v_fmac_f32_e32 v6, v10, v6
	v_div_scale_f32 v10, vcc_lo, 1.0, v7, 1.0
	v_mul_f32_e32 v11, v10, v6
	s_delay_alu instid0(VALU_DEP_1) | instskip(NEXT) | instid1(VALU_DEP_1)
	v_fma_f32 v12, -v0, v11, v10
	v_fmac_f32_e32 v11, v12, v6
	s_delay_alu instid0(VALU_DEP_1) | instskip(NEXT) | instid1(VALU_DEP_1)
	v_fma_f32 v0, -v0, v11, v10
	v_div_fmas_f32 v0, v0, v6, v11
	s_delay_alu instid0(VALU_DEP_1)
	v_div_fixup_f32 v0, v0, v7, 1.0
.LBB37_20:
	s_add_co_i32 s3, s34, 1
	v_cvt_f32_f16_e32 v10, v28
	v_dual_mov_b32 v13, 0 :: v_dual_add_nc_u32 v6, s3, v9
	v_cvt_f32_f16_e32 v14, v29
	v_lshrrev_b32_e32 v15, 16, v29
	s_delay_alu instid0(VALU_DEP_3) | instskip(SKIP_1) | instid1(VALU_DEP_3)
	v_mad_u32 v9, s0, v6, s33
	v_lshrrev_b32_e32 v6, 16, v28
	v_cvt_f32_f16_e32 v15, v15
	s_delay_alu instid0(VALU_DEP_2) | instskip(NEXT) | instid1(VALU_DEP_1)
	v_cvt_f32_f16_e32 v11, v6
	v_pk_mul_f32 v[10:11], v[0:1], v[10:11] op_sel_hi:[0,1]
	v_lshl_add_u32 v12, v9, 7, v68
	s_delay_alu instid0(VALU_DEP_1)
	v_lshl_add_u64 v[16:17], v[12:13], 2, s[28:29]
	v_pk_mul_f32 v[12:13], v[0:1], v[14:15] op_sel_hi:[0,1]
	global_store_b128 v[16:17], v[10:13], off
	s_wait_xcnt 0x0
	s_and_saveexec_b32 s4, s2
	s_cbranch_execz .LBB37_22
; %bb.21:
	v_mov_b32_e32 v6, v1
	global_store_b64 v9, v[6:7], s[30:31] scale_offset
.LBB37_22:
	s_wait_xcnt 0x0
	s_or_b32 exec_lo, exec_lo, s4
	v_cmp_gt_i32_e32 vcc_lo, s38, v67
	s_and_b32 exec_lo, exec_lo, vcc_lo
	s_cbranch_execz .LBB37_32
; %bb.23:
	v_cmp_ne_u32_e32 vcc_lo, 1, v8
	v_mov_b32_e32 v0, 1.0
	s_cbranch_vccnz .LBB37_25
; %bb.24:
	v_div_scale_f32 v0, null, v4, v4, 1.0
	s_delay_alu instid0(VALU_DEP_1) | instskip(SKIP_1) | instid1(TRANS32_DEP_1)
	v_rcp_f32_e32 v1, v0
	v_nop
	v_fma_f32 v6, -v0, v1, 1.0
	s_delay_alu instid0(VALU_DEP_1) | instskip(SKIP_1) | instid1(VALU_DEP_1)
	v_fmac_f32_e32 v1, v6, v1
	v_div_scale_f32 v6, vcc_lo, 1.0, v4, 1.0
	v_mul_f32_e32 v7, v6, v1
	s_delay_alu instid0(VALU_DEP_1) | instskip(NEXT) | instid1(VALU_DEP_1)
	v_fma_f32 v9, -v0, v7, v6
	v_fmac_f32_e32 v7, v9, v1
	s_delay_alu instid0(VALU_DEP_1) | instskip(NEXT) | instid1(VALU_DEP_1)
	v_fma_f32 v0, -v0, v7, v6
	v_div_fmas_f32 v0, v0, v1, v7
	s_delay_alu instid0(VALU_DEP_1)
	v_div_fixup_f32 v0, v0, v4, 1.0
.LBB37_25:
	v_dual_add_nc_u32 v1, s1, v66 :: v_dual_lshrrev_b32 v6, 16, v24
	v_dual_mov_b32 v7, 0 :: v_dual_lshrrev_b32 v9, 16, v25
	v_cvt_f32_f16_e32 v10, v24
	s_delay_alu instid0(VALU_DEP_3) | instskip(SKIP_3) | instid1(VALU_DEP_4)
	v_mad_u32 v1, v1, s39, s34
	v_cvt_f32_f16_e32 v12, v25
	v_cvt_f32_f16_e32 v11, v6
	;; [unrolled: 1-line block ×3, first 2 shown]
	v_mad_u32 v1, s0, v1, s33
	s_delay_alu instid0(VALU_DEP_1) | instskip(NEXT) | instid1(VALU_DEP_4)
	v_lshl_add_u32 v6, v1, 7, v68
	v_pk_mul_f32 v[10:11], v[0:1], v[10:11] op_sel_hi:[0,1]
	s_delay_alu instid0(VALU_DEP_4) | instskip(NEXT) | instid1(VALU_DEP_3)
	v_pk_mul_f32 v[12:13], v[0:1], v[12:13] op_sel_hi:[0,1]
	v_lshl_add_u64 v[6:7], v[6:7], 2, s[28:29]
	global_store_b128 v[6:7], v[10:13], off
	s_wait_xcnt 0x0
	s_and_saveexec_b32 s4, s2
	s_cbranch_execz .LBB37_27
; %bb.26:
	v_dual_mov_b32 v6, v2 :: v_dual_mov_b32 v7, v4
	global_store_b64 v1, v[6:7], s[30:31] scale_offset
.LBB37_27:
	s_wait_xcnt 0x0
	s_or_b32 exec_lo, exec_lo, s4
	v_cmp_gt_i32_e32 vcc_lo, s38, v65
	s_and_b32 exec_lo, exec_lo, vcc_lo
	s_cbranch_execz .LBB37_32
; %bb.28:
	v_cmp_ne_u32_e32 vcc_lo, 1, v8
	v_mov_b32_e32 v0, 1.0
	s_cbranch_vccnz .LBB37_30
; %bb.29:
	v_div_scale_f32 v0, null, v5, v5, 1.0
	s_delay_alu instid0(VALU_DEP_1) | instskip(SKIP_1) | instid1(TRANS32_DEP_1)
	v_rcp_f32_e32 v1, v0
	v_nop
	v_fma_f32 v2, -v0, v1, 1.0
	s_delay_alu instid0(VALU_DEP_1) | instskip(SKIP_1) | instid1(VALU_DEP_1)
	v_fmac_f32_e32 v1, v2, v1
	v_div_scale_f32 v2, vcc_lo, 1.0, v5, 1.0
	v_mul_f32_e32 v4, v2, v1
	s_delay_alu instid0(VALU_DEP_1) | instskip(NEXT) | instid1(VALU_DEP_1)
	v_fma_f32 v6, -v0, v4, v2
	v_fmac_f32_e32 v4, v6, v1
	s_delay_alu instid0(VALU_DEP_1) | instskip(NEXT) | instid1(VALU_DEP_1)
	v_fma_f32 v0, -v0, v4, v2
	v_div_fmas_f32 v0, v0, v1, v4
	s_delay_alu instid0(VALU_DEP_1)
	v_div_fixup_f32 v0, v0, v5, 1.0
.LBB37_30:
	v_dual_add_nc_u32 v1, s1, v64 :: v_dual_lshrrev_b32 v2, 16, v26
	v_dual_mov_b32 v9, 0 :: v_dual_lshrrev_b32 v4, 16, v27
	v_cvt_f32_f16_e32 v6, v26
	s_delay_alu instid0(VALU_DEP_3) | instskip(SKIP_3) | instid1(VALU_DEP_4)
	v_mad_u32 v1, v1, s39, s3
	v_cvt_f32_f16_e32 v10, v27
	v_cvt_f32_f16_e32 v7, v2
	;; [unrolled: 1-line block ×3, first 2 shown]
	v_mad_u32 v1, s0, v1, s33
	s_delay_alu instid0(VALU_DEP_1) | instskip(NEXT) | instid1(VALU_DEP_4)
	v_lshl_add_u32 v8, v1, 7, v68
	v_pk_mul_f32 v[6:7], v[0:1], v[6:7] op_sel_hi:[0,1]
	s_delay_alu instid0(VALU_DEP_2)
	v_lshl_add_u64 v[12:13], v[8:9], 2, s[28:29]
	v_pk_mul_f32 v[8:9], v[0:1], v[10:11] op_sel_hi:[0,1]
	global_store_b128 v[12:13], v[6:9], off
	s_wait_xcnt 0x0
	s_and_b32 exec_lo, exec_lo, s2
	s_cbranch_execz .LBB37_32
; %bb.31:
	v_mov_b32_e32 v4, v3
	global_store_b64 v1, v[4:5], s[30:31] scale_offset
.LBB37_32:
	s_sendmsg sendmsg(MSG_DEALLOC_VGPRS)
	s_endpgm
	.section	.rodata,"a",@progbits
	.p2align	6, 0x0
	.amdhsa_kernel _ZL15flash_attn_tileILi128ELi128ELi16ELi2ELb0EEvPKcS1_S1_S1_S1_PKiPfP15HIP_vector_typeIfLj2EEffffjfiS5_IjLj3EEiiiiiiiiiiiliiliiiiil
		.amdhsa_group_segment_fixed_size 34816
		.amdhsa_private_segment_fixed_size 0
		.amdhsa_kernarg_size 464
		.amdhsa_user_sgpr_count 2
		.amdhsa_user_sgpr_dispatch_ptr 0
		.amdhsa_user_sgpr_queue_ptr 0
		.amdhsa_user_sgpr_kernarg_segment_ptr 1
		.amdhsa_user_sgpr_dispatch_id 0
		.amdhsa_user_sgpr_kernarg_preload_length 0
		.amdhsa_user_sgpr_kernarg_preload_offset 0
		.amdhsa_user_sgpr_private_segment_size 0
		.amdhsa_wavefront_size32 1
		.amdhsa_uses_dynamic_stack 0
		.amdhsa_enable_private_segment 0
		.amdhsa_system_sgpr_workgroup_id_x 1
		.amdhsa_system_sgpr_workgroup_id_y 1
		.amdhsa_system_sgpr_workgroup_id_z 1
		.amdhsa_system_sgpr_workgroup_info 0
		.amdhsa_system_vgpr_workitem_id 1
		.amdhsa_next_free_vgpr 159
		.amdhsa_next_free_sgpr 52
		.amdhsa_named_barrier_count 0
		.amdhsa_reserve_vcc 1
		.amdhsa_float_round_mode_32 0
		.amdhsa_float_round_mode_16_64 0
		.amdhsa_float_denorm_mode_32 3
		.amdhsa_float_denorm_mode_16_64 3
		.amdhsa_fp16_overflow 0
		.amdhsa_memory_ordered 1
		.amdhsa_forward_progress 1
		.amdhsa_inst_pref_size 216
		.amdhsa_round_robin_scheduling 0
		.amdhsa_exception_fp_ieee_invalid_op 0
		.amdhsa_exception_fp_denorm_src 0
		.amdhsa_exception_fp_ieee_div_zero 0
		.amdhsa_exception_fp_ieee_overflow 0
		.amdhsa_exception_fp_ieee_underflow 0
		.amdhsa_exception_fp_ieee_inexact 0
		.amdhsa_exception_int_div_zero 0
	.end_amdhsa_kernel
	.section	.text._ZL15flash_attn_tileILi128ELi128ELi16ELi2ELb0EEvPKcS1_S1_S1_S1_PKiPfP15HIP_vector_typeIfLj2EEffffjfiS5_IjLj3EEiiiiiiiiiiiliiliiiiil,"axG",@progbits,_ZL15flash_attn_tileILi128ELi128ELi16ELi2ELb0EEvPKcS1_S1_S1_S1_PKiPfP15HIP_vector_typeIfLj2EEffffjfiS5_IjLj3EEiiiiiiiiiiiliiliiiiil,comdat
.Lfunc_end37:
	.size	_ZL15flash_attn_tileILi128ELi128ELi16ELi2ELb0EEvPKcS1_S1_S1_S1_PKiPfP15HIP_vector_typeIfLj2EEffffjfiS5_IjLj3EEiiiiiiiiiiiliiliiiiil, .Lfunc_end37-_ZL15flash_attn_tileILi128ELi128ELi16ELi2ELb0EEvPKcS1_S1_S1_S1_PKiPfP15HIP_vector_typeIfLj2EEffffjfiS5_IjLj3EEiiiiiiiiiiiliiliiiiil
                                        ; -- End function
	.set _ZL15flash_attn_tileILi128ELi128ELi16ELi2ELb0EEvPKcS1_S1_S1_S1_PKiPfP15HIP_vector_typeIfLj2EEffffjfiS5_IjLj3EEiiiiiiiiiiiliiliiiiil.num_vgpr, 159
	.set _ZL15flash_attn_tileILi128ELi128ELi16ELi2ELb0EEvPKcS1_S1_S1_S1_PKiPfP15HIP_vector_typeIfLj2EEffffjfiS5_IjLj3EEiiiiiiiiiiiliiliiiiil.num_agpr, 0
	.set _ZL15flash_attn_tileILi128ELi128ELi16ELi2ELb0EEvPKcS1_S1_S1_S1_PKiPfP15HIP_vector_typeIfLj2EEffffjfiS5_IjLj3EEiiiiiiiiiiiliiliiiiil.numbered_sgpr, 52
	.set _ZL15flash_attn_tileILi128ELi128ELi16ELi2ELb0EEvPKcS1_S1_S1_S1_PKiPfP15HIP_vector_typeIfLj2EEffffjfiS5_IjLj3EEiiiiiiiiiiiliiliiiiil.num_named_barrier, 0
	.set _ZL15flash_attn_tileILi128ELi128ELi16ELi2ELb0EEvPKcS1_S1_S1_S1_PKiPfP15HIP_vector_typeIfLj2EEffffjfiS5_IjLj3EEiiiiiiiiiiiliiliiiiil.private_seg_size, 0
	.set _ZL15flash_attn_tileILi128ELi128ELi16ELi2ELb0EEvPKcS1_S1_S1_S1_PKiPfP15HIP_vector_typeIfLj2EEffffjfiS5_IjLj3EEiiiiiiiiiiiliiliiiiil.uses_vcc, 1
	.set _ZL15flash_attn_tileILi128ELi128ELi16ELi2ELb0EEvPKcS1_S1_S1_S1_PKiPfP15HIP_vector_typeIfLj2EEffffjfiS5_IjLj3EEiiiiiiiiiiiliiliiiiil.uses_flat_scratch, 0
	.set _ZL15flash_attn_tileILi128ELi128ELi16ELi2ELb0EEvPKcS1_S1_S1_S1_PKiPfP15HIP_vector_typeIfLj2EEffffjfiS5_IjLj3EEiiiiiiiiiiiliiliiiiil.has_dyn_sized_stack, 0
	.set _ZL15flash_attn_tileILi128ELi128ELi16ELi2ELb0EEvPKcS1_S1_S1_S1_PKiPfP15HIP_vector_typeIfLj2EEffffjfiS5_IjLj3EEiiiiiiiiiiiliiliiiiil.has_recursion, 0
	.set _ZL15flash_attn_tileILi128ELi128ELi16ELi2ELb0EEvPKcS1_S1_S1_S1_PKiPfP15HIP_vector_typeIfLj2EEffffjfiS5_IjLj3EEiiiiiiiiiiiliiliiiiil.has_indirect_call, 0
	.section	.AMDGPU.csdata,"",@progbits
; Kernel info:
; codeLenInByte = 27532
; TotalNumSgprs: 54
; NumVgprs: 159
; ScratchSize: 0
; MemoryBound: 0
; FloatMode: 240
; IeeeMode: 1
; LDSByteSize: 34816 bytes/workgroup (compile time only)
; SGPRBlocks: 0
; VGPRBlocks: 9
; NumSGPRsForWavesPerEU: 54
; NumVGPRsForWavesPerEU: 159
; NamedBarCnt: 0
; Occupancy: 6
; WaveLimiterHint : 1
; COMPUTE_PGM_RSRC2:SCRATCH_EN: 0
; COMPUTE_PGM_RSRC2:USER_SGPR: 2
; COMPUTE_PGM_RSRC2:TRAP_HANDLER: 0
; COMPUTE_PGM_RSRC2:TGID_X_EN: 1
; COMPUTE_PGM_RSRC2:TGID_Y_EN: 1
; COMPUTE_PGM_RSRC2:TGID_Z_EN: 1
; COMPUTE_PGM_RSRC2:TIDIG_COMP_CNT: 1
	.section	.text._ZL33flash_attn_stream_k_fixup_uniformILi128ELi16ELi2EEvPfPK15HIP_vector_typeIfLj2EEiiiiiiS1_IjLj3EES5_S5_,"axG",@progbits,_ZL33flash_attn_stream_k_fixup_uniformILi128ELi16ELi2EEvPfPK15HIP_vector_typeIfLj2EEiiiiiiS1_IjLj3EES5_S5_,comdat
	.globl	_ZL33flash_attn_stream_k_fixup_uniformILi128ELi16ELi2EEvPfPK15HIP_vector_typeIfLj2EEiiiiiiS1_IjLj3EES5_S5_ ; -- Begin function _ZL33flash_attn_stream_k_fixup_uniformILi128ELi16ELi2EEvPfPK15HIP_vector_typeIfLj2EEiiiiiiS1_IjLj3EES5_S5_
	.p2align	8
	.type	_ZL33flash_attn_stream_k_fixup_uniformILi128ELi16ELi2EEvPfPK15HIP_vector_typeIfLj2EEiiiiiiS1_IjLj3EES5_S5_,@function
_ZL33flash_attn_stream_k_fixup_uniformILi128ELi16ELi2EEvPfPK15HIP_vector_typeIfLj2EEiiiiiiS1_IjLj3EES5_S5_: ; @_ZL33flash_attn_stream_k_fixup_uniformILi128ELi16ELi2EEvPfPK15HIP_vector_typeIfLj2EEiiiiiiS1_IjLj3EES5_S5_
; %bb.0:
	s_load_b256 s[4:11], s[0:1], 0x1c
	s_bfe_u32 s2, ttmp6, 0x40014
	s_lshr_b32 s3, ttmp7, 16
	s_add_co_i32 s2, s2, 1
	s_bfe_u32 s13, ttmp6, 0x40010
	s_mul_i32 s2, s3, s2
	s_bfe_u32 s12, ttmp6, 0x40008
	s_and_b32 s15, ttmp7, 0xffff
	s_add_co_i32 s13, s13, 1
	s_bfe_u32 s14, ttmp6, 0x4000c
	s_add_co_i32 s12, s12, s2
	s_mul_i32 s2, s15, s13
	s_bfe_u32 s13, ttmp6, 0x40004
	s_add_co_i32 s14, s14, 1
	s_add_co_i32 s13, s13, s2
	s_and_b32 s2, ttmp6, 15
	s_mul_i32 s14, ttmp9, s14
	s_getreg_b32 s20, hwreg(HW_REG_IB_STS2, 6, 4)
	s_add_co_i32 s2, s2, s14
	s_load_b128 s[16:19], s[0:1], 0x3c
	s_cmp_eq_u32 s20, 0
	s_cselect_b32 s14, ttmp9, s2
	s_cselect_b32 s13, s15, s13
	s_wait_kmcnt 0x0
	s_mul_hi_u32 s2, s7, s14
	s_cselect_b32 s12, s3, s12
	s_add_co_i32 s2, s14, s2
	s_delay_alu instid0(SALU_CYCLE_1) | instskip(NEXT) | instid1(SALU_CYCLE_1)
	s_lshr_b32 s7, s2, s8
	s_mul_i32 s2, s7, s9
	s_delay_alu instid0(SALU_CYCLE_1) | instskip(NEXT) | instid1(SALU_CYCLE_1)
	s_sub_co_i32 s8, s14, s2
	s_mul_hi_u32 s2, s8, s10
	s_delay_alu instid0(SALU_CYCLE_1) | instskip(SKIP_2) | instid1(SALU_CYCLE_1)
	s_add_co_i32 s9, s8, s2
	s_load_b64 s[2:3], s[0:1], 0x10
	s_lshr_b32 s15, s9, s11
	s_mul_i32 s9, s15, s16
	s_delay_alu instid0(SALU_CYCLE_1) | instskip(NEXT) | instid1(SALU_CYCLE_1)
	s_sub_co_i32 s8, s8, s9
	s_mul_hi_u32 s9, s8, s17
	s_delay_alu instid0(SALU_CYCLE_1) | instskip(NEXT) | instid1(SALU_CYCLE_1)
	s_add_co_i32 s9, s8, s9
	s_lshr_b32 s9, s9, s18
	s_delay_alu instid0(SALU_CYCLE_1) | instskip(SKIP_2) | instid1(SALU_CYCLE_1)
	s_mul_i32 s10, s9, s19
	s_lshl_b32 s17, s9, 1
	s_sub_co_i32 s16, s8, s10
	s_lshl_b32 s8, s16, 4
	s_delay_alu instid0(SALU_CYCLE_1) | instskip(SKIP_4) | instid1(SALU_CYCLE_1)
	s_add_co_i32 s8, s8, s13
	s_wait_kmcnt 0x0
	s_cmp_lt_i32 s8, s2
	s_cselect_b32 s8, -1, 0
	s_add_co_i32 s9, s17, s12
	s_cmp_lt_i32 s9, s5
	s_cselect_b32 s9, -1, 0
	s_delay_alu instid0(SALU_CYCLE_1) | instskip(NEXT) | instid1(SALU_CYCLE_1)
	s_and_b32 s8, s8, s9
	s_and_not1_b32 vcc_lo, exec_lo, s8
	s_cbranch_vccnz .LBB38_6
; %bb.1:
	s_mul_i32 s2, s7, s2
	s_load_b128 s[8:11], s[0:1], 0x0
	s_wait_xcnt 0x0
	s_add_co_i32 s0, s2, s13
	s_mul_i32 s15, s15, s5
	s_mul_i32 s0, s0, s3
	;; [unrolled: 1-line block ×3, first 2 shown]
	s_add_co_i32 s0, s0, s12
	s_lshl_b32 s1, s1, 11
	s_add_co_i32 s0, s0, s15
	s_mul_i32 s7, s6, s14
	s_add_co_i32 s0, s0, s17
	s_lshl_b32 s5, s13, 1
	s_lshl_b32 s0, s0, 7
	s_add_co_i32 s15, s7, s6
	s_add_co_i32 s1, s1, s0
	;; [unrolled: 1-line block ×3, first 2 shown]
	v_or_b32_e32 v4, s1, v0
	s_lshl_b32 s1, s15, 5
	s_add_co_i32 s2, s15, -2
	s_add_co_i32 s0, s0, s1
	s_delay_alu instid0(SALU_CYCLE_1)
	s_sub_co_i32 s0, s0, 32
	s_wait_kmcnt 0x0
	global_load_b32 v3, v4, s[8:9] scale_offset
	s_ashr_i32 s1, s0, 31
	v_ashrrev_i32_e32 v5, 31, v4
	s_lshl_b64 s[0:1], s[0:1], 3
	s_cmp_lt_i32 s2, s7
	s_add_nc_u64 s[0:1], s[10:11], s[0:1]
	s_load_b32 s16, s[0:1], 0x4
	s_cbranch_scc1 .LBB38_4
; %bb.2:
	s_wait_xcnt 0x0
	s_load_b32 s0, s[0:1], 0x0
	s_add_co_i32 s14, s14, 1
	s_lshl_b32 s3, s13, 8
	s_wait_xcnt 0x0
	s_mul_i32 s1, s6, s14
	s_lshl_b32 s6, s12, 7
	s_lshl_b32 s13, s1, 12
	s_add_co_i32 s6, s6, s3
	s_lshl_b32 s1, s1, 5
	s_add_co_i32 s6, s6, s13
	s_lshl_b32 s2, s4, 7
	s_wait_kmcnt 0x0
	v_dual_mov_b32 v2, s16 :: v_dual_bitop2_b32 v0, s6, v0 bitop3:0x54
	s_add_co_i32 s1, s12, s1
	s_lshl_b32 s4, s4, 5
	s_ashr_i32 s3, s2, 31
	s_add_co_i32 s1, s1, s4
	v_add_nc_u32_e32 v0, 0xffffe000, v0
	s_lshl_b64 s[2:3], s[2:3], 2
	s_add_co_i32 s4, s1, s5
	s_add_nc_u64 s[2:3], s[10:11], s[2:3]
	s_add_co_i32 s1, s15, -1
	s_sub_co_i32 s4, s4, 64
.LBB38_3:                               ; =>This Inner Loop Header: Depth=1
	global_load_b32 v7, v0, s[2:3] scale_offset
	s_ashr_i32 s5, s4, 31
	v_max_num_f32_e64 v1, s0, s0
	s_lshl_b64 s[12:13], s[4:5], 3
	s_delay_alu instid0(SALU_CYCLE_1) | instskip(SKIP_1) | instid1(VALU_DEP_1)
	s_add_nc_u64 s[12:13], s[10:11], s[12:13]
	s_load_b64 s[12:13], s[12:13], 0x0
	v_readfirstlane_b32 s5, v1
	v_add_nc_u32_e32 v0, 0xfffff000, v0
	s_wait_kmcnt 0x0
	v_max_num_f32_e64 v1, s12, s12
	s_delay_alu instid0(VALU_DEP_1) | instskip(SKIP_1) | instid1(SALU_CYCLE_3)
	v_readfirstlane_b32 s6, v1
	s_max_num_f32 s5, s5, s6
	s_sub_f32 s0, s0, s5
	s_sub_f32 s6, s12, s5
	s_delay_alu instid0(SALU_CYCLE_2) | instskip(NEXT) | instid1(SALU_CYCLE_2)
	s_mul_f32 s12, s0, 0x3fb8aa3b
	s_mul_f32 s14, s6, 0x3fb8aa3b
	s_delay_alu instid0(SALU_CYCLE_2)
	s_xor_b32 s15, s12, 0x80000000
	s_rndne_f32 s16, s12
	s_fmamk_f32 s15, s0, 0x3fb8aa3b, s15
	s_cmp_nlt_f32 s0, 0xc2ce8ed0
	s_rndne_f32 s17, s14
	s_sub_f32 s12, s12, s16
	s_fmamk_f32 s15, s0, 0x32a5705f, s15
	s_cselect_b32 vcc_lo, -1, 0
	s_cmp_ngt_f32 s0, 0x42b17218
	s_delay_alu instid0(SALU_CYCLE_1) | instskip(SKIP_2) | instid1(SALU_CYCLE_1)
	s_add_f32 s12, s12, s15
	s_cvt_i32_f32 s15, s16
	s_sub_f32 s16, s14, s17
	v_s_exp_f32 s12, s12
	v_nop
	s_delay_alu instid0(TRANS32_DEP_1) | instskip(SKIP_1) | instid1(VALU_DEP_1)
	v_ldexp_f32 v1, s12, s15
	s_cvt_i32_f32 s12, s17
	v_cndmask_b32_e32 v1, 0, v1, vcc_lo
	s_cselect_b32 vcc_lo, -1, 0
	s_cmp_ge_f32 s0, 0xc1a00000
	s_delay_alu instid0(VALU_DEP_1)
	v_cndmask_b32_e32 v1, 0x7f800000, v1, vcc_lo
	s_cselect_b32 vcc_lo, -1, 0
	s_xor_b32 s0, s14, 0x80000000
	s_cmp_nlt_f32 s6, 0xc2ce8ed0
	s_fmamk_f32 s0, s6, 0x3fb8aa3b, s0
	v_cndmask_b32_e32 v10, 0, v1, vcc_lo
	s_delay_alu instid0(SALU_CYCLE_2) | instskip(NEXT) | instid1(SALU_CYCLE_3)
	s_fmamk_f32 s0, s6, 0x32a5705f, s0
	s_add_f32 s0, s16, s0
	s_delay_alu instid0(SALU_CYCLE_3) | instskip(SKIP_1) | instid1(TRANS32_DEP_1)
	v_s_exp_f32 s0, s0
	v_nop
	v_ldexp_f32 v6, s0, s12
	s_cselect_b32 s0, -1, 0
	s_cmp_ngt_f32 s6, 0x42b17218
	s_delay_alu instid0(VALU_DEP_1) | instskip(SKIP_2) | instid1(VALU_DEP_1)
	v_cndmask_b32_e64 v6, 0, v6, s0
	s_cselect_b32 s0, -1, 0
	s_cmp_ge_f32 s6, 0xc1a00000
	v_cndmask_b32_e64 v8, 0x7f800000, v6, s0
	s_cselect_b32 s0, -1, 0
	v_mov_b32_e32 v6, s13
	s_add_co_i32 s1, s1, -1
	s_sub_co_i32 s4, s4, 32
	v_cndmask_b32_e64 v8, 0, v8, s0
	s_cmp_le_i32 s1, s7
	s_mov_b32 s0, s5
	s_wait_loadcnt 0x0
	s_delay_alu instid0(VALU_DEP_1) | instskip(NEXT) | instid1(VALU_DEP_1)
	v_pk_mul_f32 v[6:7], v[6:7], v[8:9] op_sel_hi:[1,0]
	v_pk_fma_f32 v[2:3], v[2:3], v[10:11], v[6:7] op_sel_hi:[1,0,1]
	s_cbranch_scc0 .LBB38_3
	s_branch .LBB38_5
.LBB38_4:
	s_wait_kmcnt 0x0
	v_mov_b32_e32 v2, s16
.LBB38_5:
	v_lshl_add_u64 v[0:1], v[4:5], 2, s[8:9]
	s_wait_loadcnt 0x0
	s_delay_alu instid0(VALU_DEP_2) | instskip(NEXT) | instid1(VALU_DEP_1)
	v_div_scale_f32 v4, null, v2, v2, v3
	v_rcp_f32_e32 v5, v4
	v_nop
	s_delay_alu instid0(TRANS32_DEP_1) | instskip(NEXT) | instid1(VALU_DEP_1)
	v_fma_f32 v6, -v4, v5, 1.0
	v_fmac_f32_e32 v5, v6, v5
	v_div_scale_f32 v6, vcc_lo, v3, v2, v3
	s_delay_alu instid0(VALU_DEP_1) | instskip(NEXT) | instid1(VALU_DEP_1)
	v_mul_f32_e32 v7, v6, v5
	v_fma_f32 v8, -v4, v7, v6
	s_delay_alu instid0(VALU_DEP_1) | instskip(NEXT) | instid1(VALU_DEP_1)
	v_fmac_f32_e32 v7, v8, v5
	v_fma_f32 v4, -v4, v7, v6
	s_delay_alu instid0(VALU_DEP_1) | instskip(NEXT) | instid1(VALU_DEP_1)
	v_div_fmas_f32 v4, v4, v5, v7
	v_div_fixup_f32 v2, v4, v2, v3
	global_store_b32 v[0:1], v2, off
.LBB38_6:
	s_endpgm
	.section	.rodata,"a",@progbits
	.p2align	6, 0x0
	.amdhsa_kernel _ZL33flash_attn_stream_k_fixup_uniformILi128ELi16ELi2EEvPfPK15HIP_vector_typeIfLj2EEiiiiiiS1_IjLj3EES5_S5_
		.amdhsa_group_segment_fixed_size 0
		.amdhsa_private_segment_fixed_size 0
		.amdhsa_kernarg_size 76
		.amdhsa_user_sgpr_count 2
		.amdhsa_user_sgpr_dispatch_ptr 0
		.amdhsa_user_sgpr_queue_ptr 0
		.amdhsa_user_sgpr_kernarg_segment_ptr 1
		.amdhsa_user_sgpr_dispatch_id 0
		.amdhsa_user_sgpr_kernarg_preload_length 0
		.amdhsa_user_sgpr_kernarg_preload_offset 0
		.amdhsa_user_sgpr_private_segment_size 0
		.amdhsa_wavefront_size32 1
		.amdhsa_uses_dynamic_stack 0
		.amdhsa_enable_private_segment 0
		.amdhsa_system_sgpr_workgroup_id_x 1
		.amdhsa_system_sgpr_workgroup_id_y 1
		.amdhsa_system_sgpr_workgroup_id_z 1
		.amdhsa_system_sgpr_workgroup_info 0
		.amdhsa_system_vgpr_workitem_id 0
		.amdhsa_next_free_vgpr 12
		.amdhsa_next_free_sgpr 21
		.amdhsa_named_barrier_count 0
		.amdhsa_reserve_vcc 1
		.amdhsa_float_round_mode_32 0
		.amdhsa_float_round_mode_16_64 0
		.amdhsa_float_denorm_mode_32 3
		.amdhsa_float_denorm_mode_16_64 3
		.amdhsa_fp16_overflow 0
		.amdhsa_memory_ordered 1
		.amdhsa_forward_progress 1
		.amdhsa_inst_pref_size 9
		.amdhsa_round_robin_scheduling 0
		.amdhsa_exception_fp_ieee_invalid_op 0
		.amdhsa_exception_fp_denorm_src 0
		.amdhsa_exception_fp_ieee_div_zero 0
		.amdhsa_exception_fp_ieee_overflow 0
		.amdhsa_exception_fp_ieee_underflow 0
		.amdhsa_exception_fp_ieee_inexact 0
		.amdhsa_exception_int_div_zero 0
	.end_amdhsa_kernel
	.section	.text._ZL33flash_attn_stream_k_fixup_uniformILi128ELi16ELi2EEvPfPK15HIP_vector_typeIfLj2EEiiiiiiS1_IjLj3EES5_S5_,"axG",@progbits,_ZL33flash_attn_stream_k_fixup_uniformILi128ELi16ELi2EEvPfPK15HIP_vector_typeIfLj2EEiiiiiiS1_IjLj3EES5_S5_,comdat
.Lfunc_end38:
	.size	_ZL33flash_attn_stream_k_fixup_uniformILi128ELi16ELi2EEvPfPK15HIP_vector_typeIfLj2EEiiiiiiS1_IjLj3EES5_S5_, .Lfunc_end38-_ZL33flash_attn_stream_k_fixup_uniformILi128ELi16ELi2EEvPfPK15HIP_vector_typeIfLj2EEiiiiiiS1_IjLj3EES5_S5_
                                        ; -- End function
	.set _ZL33flash_attn_stream_k_fixup_uniformILi128ELi16ELi2EEvPfPK15HIP_vector_typeIfLj2EEiiiiiiS1_IjLj3EES5_S5_.num_vgpr, 12
	.set _ZL33flash_attn_stream_k_fixup_uniformILi128ELi16ELi2EEvPfPK15HIP_vector_typeIfLj2EEiiiiiiS1_IjLj3EES5_S5_.num_agpr, 0
	.set _ZL33flash_attn_stream_k_fixup_uniformILi128ELi16ELi2EEvPfPK15HIP_vector_typeIfLj2EEiiiiiiS1_IjLj3EES5_S5_.numbered_sgpr, 21
	.set _ZL33flash_attn_stream_k_fixup_uniformILi128ELi16ELi2EEvPfPK15HIP_vector_typeIfLj2EEiiiiiiS1_IjLj3EES5_S5_.num_named_barrier, 0
	.set _ZL33flash_attn_stream_k_fixup_uniformILi128ELi16ELi2EEvPfPK15HIP_vector_typeIfLj2EEiiiiiiS1_IjLj3EES5_S5_.private_seg_size, 0
	.set _ZL33flash_attn_stream_k_fixup_uniformILi128ELi16ELi2EEvPfPK15HIP_vector_typeIfLj2EEiiiiiiS1_IjLj3EES5_S5_.uses_vcc, 1
	.set _ZL33flash_attn_stream_k_fixup_uniformILi128ELi16ELi2EEvPfPK15HIP_vector_typeIfLj2EEiiiiiiS1_IjLj3EES5_S5_.uses_flat_scratch, 0
	.set _ZL33flash_attn_stream_k_fixup_uniformILi128ELi16ELi2EEvPfPK15HIP_vector_typeIfLj2EEiiiiiiS1_IjLj3EES5_S5_.has_dyn_sized_stack, 0
	.set _ZL33flash_attn_stream_k_fixup_uniformILi128ELi16ELi2EEvPfPK15HIP_vector_typeIfLj2EEiiiiiiS1_IjLj3EES5_S5_.has_recursion, 0
	.set _ZL33flash_attn_stream_k_fixup_uniformILi128ELi16ELi2EEvPfPK15HIP_vector_typeIfLj2EEiiiiiiS1_IjLj3EES5_S5_.has_indirect_call, 0
	.section	.AMDGPU.csdata,"",@progbits
; Kernel info:
; codeLenInByte = 1092
; TotalNumSgprs: 23
; NumVgprs: 12
; ScratchSize: 0
; MemoryBound: 0
; FloatMode: 240
; IeeeMode: 1
; LDSByteSize: 0 bytes/workgroup (compile time only)
; SGPRBlocks: 0
; VGPRBlocks: 0
; NumSGPRsForWavesPerEU: 23
; NumVGPRsForWavesPerEU: 12
; NamedBarCnt: 0
; Occupancy: 16
; WaveLimiterHint : 0
; COMPUTE_PGM_RSRC2:SCRATCH_EN: 0
; COMPUTE_PGM_RSRC2:USER_SGPR: 2
; COMPUTE_PGM_RSRC2:TRAP_HANDLER: 0
; COMPUTE_PGM_RSRC2:TGID_X_EN: 1
; COMPUTE_PGM_RSRC2:TGID_Y_EN: 1
; COMPUTE_PGM_RSRC2:TGID_Z_EN: 1
; COMPUTE_PGM_RSRC2:TIDIG_COMP_CNT: 0
	.section	.text._ZL33flash_attn_stream_k_fixup_generalILi128ELi16ELi2EEvPfPK15HIP_vector_typeIfLj2EEiiiiS1_IjLj3EES5_S5_S5_,"axG",@progbits,_ZL33flash_attn_stream_k_fixup_generalILi128ELi16ELi2EEvPfPK15HIP_vector_typeIfLj2EEiiiiS1_IjLj3EES5_S5_S5_,comdat
	.globl	_ZL33flash_attn_stream_k_fixup_generalILi128ELi16ELi2EEvPfPK15HIP_vector_typeIfLj2EEiiiiS1_IjLj3EES5_S5_S5_ ; -- Begin function _ZL33flash_attn_stream_k_fixup_generalILi128ELi16ELi2EEvPfPK15HIP_vector_typeIfLj2EEiiiiS1_IjLj3EES5_S5_S5_
	.p2align	8
	.type	_ZL33flash_attn_stream_k_fixup_generalILi128ELi16ELi2EEvPfPK15HIP_vector_typeIfLj2EEiiiiS1_IjLj3EES5_S5_S5_,@function
_ZL33flash_attn_stream_k_fixup_generalILi128ELi16ELi2EEvPfPK15HIP_vector_typeIfLj2EEiiiiS1_IjLj3EES5_S5_S5_: ; @_ZL33flash_attn_stream_k_fixup_generalILi128ELi16ELi2EEvPfPK15HIP_vector_typeIfLj2EEiiiiS1_IjLj3EES5_S5_S5_
; %bb.0:
	s_clause 0x1
	s_load_b128 s[4:7], s[0:1], 0x10
	s_load_b32 s16, s[0:1], 0x50
	s_bfe_u32 s2, ttmp6, 0x4000c
	s_and_b32 s3, ttmp6, 15
	s_add_co_i32 s2, s2, 1
	s_getreg_b32 s15, hwreg(HW_REG_IB_STS2, 6, 4)
	s_mul_i32 s2, ttmp9, s2
	s_mov_b32 s17, 0
	s_add_co_i32 s3, s3, s2
	s_cmp_eq_u32 s15, 0
	s_cselect_b32 s2, ttmp9, s3
	s_delay_alu instid0(SALU_CYCLE_1) | instskip(SKIP_3) | instid1(SALU_CYCLE_1)
	s_ashr_i32 s3, s2, 31
	s_wait_kmcnt 0x0
	s_ashr_i32 s19, s7, 31
	s_mov_b32 s18, s7
	s_mul_u64 s[8:9], s[18:19], s[2:3]
	s_delay_alu instid0(SALU_CYCLE_1) | instskip(NEXT) | instid1(SALU_CYCLE_1)
	s_and_b64 s[10:11], s[8:9], 0xffffffff00000000
	s_cmp_lg_u64 s[10:11], 0
	s_cbranch_scc0 .LBB39_21
; %bb.1:
	s_add_nc_u64 s[10:11], s[16:17], 0
	s_mov_b32 s23, s17
	s_xor_b64 s[10:11], s[10:11], 0
	s_mov_b32 s27, s17
	s_cvt_f32_u32 s3, s10
	s_cvt_f32_u32 s7, s11
	s_sub_nc_u64 s[20:21], 0, s[10:11]
	s_delay_alu instid0(SALU_CYCLE_2) | instskip(NEXT) | instid1(SALU_CYCLE_3)
	s_fmamk_f32 s3, s7, 0x4f800000, s3
	v_s_rcp_f32 s3, s3
	s_delay_alu instid0(TRANS32_DEP_1) | instskip(NEXT) | instid1(SALU_CYCLE_3)
	s_mul_f32 s3, s3, 0x5f7ffffc
	s_mul_f32 s7, s3, 0x2f800000
	s_delay_alu instid0(SALU_CYCLE_3) | instskip(NEXT) | instid1(SALU_CYCLE_3)
	s_trunc_f32 s7, s7
	s_fmamk_f32 s3, s7, 0xcf800000, s3
	s_cvt_u32_f32 s13, s7
	s_delay_alu instid0(SALU_CYCLE_2) | instskip(NEXT) | instid1(SALU_CYCLE_3)
	s_cvt_u32_f32 s12, s3
	s_mul_u64 s[24:25], s[20:21], s[12:13]
	s_delay_alu instid0(SALU_CYCLE_1)
	s_mul_hi_u32 s29, s12, s25
	s_mul_i32 s28, s12, s25
	s_mul_hi_u32 s22, s12, s24
	s_mul_i32 s7, s13, s24
	s_add_nc_u64 s[22:23], s[22:23], s[28:29]
	s_mul_hi_u32 s3, s13, s24
	s_mul_hi_u32 s14, s13, s25
	s_add_co_u32 s7, s22, s7
	s_add_co_ci_u32 s26, s23, s3
	s_mul_i32 s24, s13, s25
	s_add_co_ci_u32 s25, s14, 0
	s_delay_alu instid0(SALU_CYCLE_1) | instskip(SKIP_3) | instid1(SALU_CYCLE_1)
	s_add_nc_u64 s[22:23], s[26:27], s[24:25]
	s_mov_b32 s25, s17
	s_add_co_u32 s12, s12, s22
	s_cselect_b32 s3, -1, 0
	s_cmp_lg_u32 s3, 0
	s_add_co_ci_u32 s13, s13, s23
	s_mov_b32 s23, s17
	s_mul_u64 s[20:21], s[20:21], s[12:13]
	s_delay_alu instid0(SALU_CYCLE_1)
	s_mul_hi_u32 s27, s12, s21
	s_mul_i32 s26, s12, s21
	s_mul_hi_u32 s22, s12, s20
	s_mul_i32 s7, s13, s20
	s_add_nc_u64 s[22:23], s[22:23], s[26:27]
	s_mul_hi_u32 s3, s13, s20
	s_mul_hi_u32 s14, s13, s21
	s_add_co_u32 s7, s22, s7
	s_add_co_ci_u32 s24, s23, s3
	s_mul_i32 s20, s13, s21
	s_add_co_ci_u32 s21, s14, 0
	s_mov_b32 s23, s17
	s_add_nc_u64 s[20:21], s[24:25], s[20:21]
	s_delay_alu instid0(SALU_CYCLE_1) | instskip(SKIP_1) | instid1(SALU_CYCLE_1)
	s_add_co_u32 s3, s12, s20
	s_cselect_b32 s7, -1, 0
	s_cmp_lg_u32 s7, 0
	s_add_co_ci_u32 s7, s13, s21
	s_ashr_i32 s12, s9, 31
	s_delay_alu instid0(SALU_CYCLE_1) | instskip(NEXT) | instid1(SALU_CYCLE_1)
	s_mov_b32 s13, s12
	s_add_nc_u64 s[20:21], s[8:9], s[12:13]
	s_delay_alu instid0(SALU_CYCLE_1) | instskip(NEXT) | instid1(SALU_CYCLE_1)
	s_xor_b64 s[20:21], s[20:21], s[12:13]
	s_mul_hi_u32 s27, s20, s7
	s_mul_i32 s26, s20, s7
	s_mul_hi_u32 s22, s20, s3
	s_mul_hi_u32 s14, s21, s3
	s_mul_i32 s3, s21, s3
	s_add_nc_u64 s[22:23], s[22:23], s[26:27]
	s_mul_hi_u32 s9, s21, s7
	s_add_co_u32 s3, s22, s3
	s_add_co_ci_u32 s24, s23, s14
	s_mul_i32 s26, s21, s7
	s_add_co_ci_u32 s27, s9, 0
	s_delay_alu instid0(SALU_CYCLE_1) | instskip(NEXT) | instid1(SALU_CYCLE_1)
	s_add_nc_u64 s[22:23], s[24:25], s[26:27]
	s_and_b64 s[24:25], s[22:23], 0xffffffff00000000
	s_delay_alu instid0(SALU_CYCLE_1) | instskip(NEXT) | instid1(SALU_CYCLE_1)
	s_or_b32 s24, s24, s22
	s_mul_u64 s[22:23], s[10:11], s[24:25]
	s_add_nc_u64 s[26:27], s[24:25], 1
	s_sub_co_u32 s3, s20, s22
	s_cselect_b32 s7, -1, 0
	s_sub_co_i32 s9, s21, s23
	s_cmp_lg_u32 s7, 0
	s_add_nc_u64 s[28:29], s[24:25], 2
	s_sub_co_ci_u32 s9, s9, s11
	s_sub_co_u32 s14, s3, s10
	s_cselect_b32 s20, -1, 0
	s_delay_alu instid0(SALU_CYCLE_1) | instskip(SKIP_1) | instid1(SALU_CYCLE_1)
	s_cmp_lg_u32 s20, 0
	s_sub_co_ci_u32 s9, s9, 0
	s_cmp_ge_u32 s9, s11
	s_cselect_b32 s20, -1, 0
	s_cmp_ge_u32 s14, s10
	s_cselect_b32 s14, -1, 0
	s_cmp_eq_u32 s9, s11
	s_cselect_b32 s9, s14, s20
	s_delay_alu instid0(SALU_CYCLE_1) | instskip(SKIP_4) | instid1(SALU_CYCLE_1)
	s_cmp_lg_u32 s9, 0
	s_cselect_b32 s9, s28, s26
	s_cselect_b32 s14, s29, s27
	s_cmp_lg_u32 s7, 0
	s_sub_co_ci_u32 s7, s21, s23
	s_cmp_ge_u32 s7, s11
	s_cselect_b32 s20, -1, 0
	s_cmp_ge_u32 s3, s10
	s_cselect_b32 s3, -1, 0
	s_cmp_eq_u32 s7, s11
	s_cselect_b32 s3, s3, s20
	s_delay_alu instid0(SALU_CYCLE_1) | instskip(SKIP_4) | instid1(SALU_CYCLE_1)
	s_cmp_lg_u32 s3, 0
	s_mov_b32 s3, s17
	s_cselect_b32 s11, s14, s25
	s_cselect_b32 s10, s9, s24
	s_xor_b64 s[12:13], s[12:13], 0
	s_xor_b64 s[10:11], s[10:11], s[12:13]
	s_delay_alu instid0(SALU_CYCLE_1)
	s_sub_nc_u64 s[20:21], s[10:11], s[12:13]
	s_and_not1_b32 vcc_lo, exec_lo, s3
	s_cbranch_vccnz .LBB39_3
.LBB39_2:
	v_cvt_f32_u32_e32 v1, s16
	s_sub_co_i32 s7, 0, s16
	s_mov_b32 s21, 0
	s_delay_alu instid0(VALU_DEP_1) | instskip(SKIP_1) | instid1(TRANS32_DEP_1)
	v_rcp_iflag_f32_e32 v1, v1
	v_nop
	v_mul_f32_e32 v1, 0x4f7ffffe, v1
	s_delay_alu instid0(VALU_DEP_1) | instskip(NEXT) | instid1(VALU_DEP_1)
	v_cvt_u32_f32_e32 v1, v1
	v_readfirstlane_b32 s3, v1
	s_mul_i32 s7, s7, s3
	s_delay_alu instid0(SALU_CYCLE_1) | instskip(NEXT) | instid1(SALU_CYCLE_1)
	s_mul_hi_u32 s7, s3, s7
	s_add_co_i32 s3, s3, s7
	s_delay_alu instid0(SALU_CYCLE_1) | instskip(NEXT) | instid1(SALU_CYCLE_1)
	s_mul_hi_u32 s3, s8, s3
	s_mul_i32 s7, s3, s16
	s_delay_alu instid0(SALU_CYCLE_1)
	s_sub_co_i32 s7, s8, s7
	s_add_co_i32 s8, s3, 1
	s_sub_co_i32 s9, s7, s16
	s_cmp_ge_u32 s7, s16
	s_cselect_b32 s3, s8, s3
	s_cselect_b32 s7, s9, s7
	s_add_co_i32 s8, s3, 1
	s_cmp_ge_u32 s7, s16
	s_cselect_b32 s20, s8, s3
.LBB39_3:
	s_add_co_i32 s8, s2, 1
	s_delay_alu instid0(SALU_CYCLE_1) | instskip(NEXT) | instid1(SALU_CYCLE_1)
	s_ashr_i32 s9, s8, 31
	s_mul_u64 s[8:9], s[18:19], s[8:9]
	s_delay_alu instid0(SALU_CYCLE_1) | instskip(NEXT) | instid1(SALU_CYCLE_1)
	s_and_b64 s[10:11], s[8:9], 0xffffffff00000000
	s_cmp_lg_u64 s[10:11], 0
	s_cbranch_scc0 .LBB39_22
; %bb.4:
	s_add_nc_u64 s[10:11], s[16:17], 0
	s_delay_alu instid0(SALU_CYCLE_1) | instskip(SKIP_4) | instid1(SALU_CYCLE_2)
	s_xor_b64 s[12:13], s[10:11], 0
	s_mov_b32 s11, 0
	s_cvt_f32_u32 s3, s12
	s_cvt_f32_u32 s7, s13
	s_sub_nc_u64 s[24:25], 0, s[12:13]
	s_fmamk_f32 s3, s7, 0x4f800000, s3
	s_delay_alu instid0(SALU_CYCLE_3) | instskip(NEXT) | instid1(TRANS32_DEP_1)
	v_s_rcp_f32 s3, s3
	s_mul_f32 s3, s3, 0x5f7ffffc
	s_delay_alu instid0(SALU_CYCLE_3) | instskip(NEXT) | instid1(SALU_CYCLE_3)
	s_mul_f32 s7, s3, 0x2f800000
	s_trunc_f32 s7, s7
	s_delay_alu instid0(SALU_CYCLE_3) | instskip(SKIP_1) | instid1(SALU_CYCLE_2)
	s_fmamk_f32 s3, s7, 0xcf800000, s3
	s_cvt_u32_f32 s23, s7
	s_cvt_u32_f32 s22, s3
	s_delay_alu instid0(SALU_CYCLE_3) | instskip(NEXT) | instid1(SALU_CYCLE_1)
	s_mul_u64 s[26:27], s[24:25], s[22:23]
	s_mul_hi_u32 s29, s22, s27
	s_mul_i32 s28, s22, s27
	s_mul_hi_u32 s10, s22, s26
	s_mul_i32 s7, s23, s26
	s_add_nc_u64 s[28:29], s[10:11], s[28:29]
	s_mul_hi_u32 s3, s23, s26
	s_mul_hi_u32 s14, s23, s27
	s_add_co_u32 s7, s28, s7
	s_add_co_ci_u32 s10, s29, s3
	s_mul_i32 s26, s23, s27
	s_add_co_ci_u32 s27, s14, 0
	s_delay_alu instid0(SALU_CYCLE_1) | instskip(NEXT) | instid1(SALU_CYCLE_1)
	s_add_nc_u64 s[26:27], s[10:11], s[26:27]
	s_add_co_u32 s22, s22, s26
	s_cselect_b32 s3, -1, 0
	s_delay_alu instid0(SALU_CYCLE_1) | instskip(SKIP_1) | instid1(SALU_CYCLE_1)
	s_cmp_lg_u32 s3, 0
	s_add_co_ci_u32 s23, s23, s27
	s_mul_u64 s[24:25], s[24:25], s[22:23]
	s_delay_alu instid0(SALU_CYCLE_1)
	s_mul_hi_u32 s27, s22, s25
	s_mul_i32 s26, s22, s25
	s_mul_hi_u32 s10, s22, s24
	s_mul_i32 s7, s23, s24
	s_add_nc_u64 s[26:27], s[10:11], s[26:27]
	s_mul_hi_u32 s3, s23, s24
	s_mul_hi_u32 s14, s23, s25
	s_add_co_u32 s7, s26, s7
	s_add_co_ci_u32 s10, s27, s3
	s_mul_i32 s24, s23, s25
	s_add_co_ci_u32 s25, s14, 0
	s_delay_alu instid0(SALU_CYCLE_1) | instskip(NEXT) | instid1(SALU_CYCLE_1)
	s_add_nc_u64 s[24:25], s[10:11], s[24:25]
	s_add_co_u32 s3, s22, s24
	s_cselect_b32 s7, -1, 0
	s_delay_alu instid0(SALU_CYCLE_1) | instskip(SKIP_2) | instid1(SALU_CYCLE_1)
	s_cmp_lg_u32 s7, 0
	s_add_co_ci_u32 s7, s23, s25
	s_ashr_i32 s22, s9, 31
	s_mov_b32 s23, s22
	s_delay_alu instid0(SALU_CYCLE_1) | instskip(NEXT) | instid1(SALU_CYCLE_1)
	s_add_nc_u64 s[24:25], s[8:9], s[22:23]
	s_xor_b64 s[24:25], s[24:25], s[22:23]
	s_delay_alu instid0(SALU_CYCLE_1)
	s_mul_hi_u32 s27, s24, s7
	s_mul_i32 s26, s24, s7
	s_mul_hi_u32 s10, s24, s3
	s_mul_hi_u32 s14, s25, s3
	s_mul_i32 s3, s25, s3
	s_add_nc_u64 s[26:27], s[10:11], s[26:27]
	s_mul_hi_u32 s9, s25, s7
	s_add_co_u32 s3, s26, s3
	s_add_co_ci_u32 s10, s27, s14
	s_mul_i32 s28, s25, s7
	s_add_co_ci_u32 s29, s9, 0
	s_delay_alu instid0(SALU_CYCLE_1) | instskip(NEXT) | instid1(SALU_CYCLE_1)
	s_add_nc_u64 s[26:27], s[10:11], s[28:29]
	s_and_b64 s[28:29], s[26:27], 0xffffffff00000000
	s_delay_alu instid0(SALU_CYCLE_1) | instskip(NEXT) | instid1(SALU_CYCLE_1)
	s_or_b32 s28, s28, s26
	s_mul_u64 s[26:27], s[12:13], s[28:29]
	s_add_nc_u64 s[30:31], s[28:29], 1
	s_sub_co_u32 s3, s24, s26
	s_cselect_b32 s7, -1, 0
	s_sub_co_i32 s9, s25, s27
	s_cmp_lg_u32 s7, 0
	s_add_nc_u64 s[34:35], s[28:29], 2
	s_sub_co_ci_u32 s9, s9, s13
	s_sub_co_u32 s10, s3, s12
	s_cselect_b32 s14, -1, 0
	s_delay_alu instid0(SALU_CYCLE_1) | instskip(SKIP_1) | instid1(SALU_CYCLE_1)
	s_cmp_lg_u32 s14, 0
	s_sub_co_ci_u32 s9, s9, 0
	s_cmp_ge_u32 s9, s13
	s_cselect_b32 s14, -1, 0
	s_cmp_ge_u32 s10, s12
	s_cselect_b32 s10, -1, 0
	s_cmp_eq_u32 s9, s13
	s_cselect_b32 s9, s10, s14
	s_delay_alu instid0(SALU_CYCLE_1) | instskip(SKIP_4) | instid1(SALU_CYCLE_1)
	s_cmp_lg_u32 s9, 0
	s_cselect_b32 s9, s34, s30
	s_cselect_b32 s10, s35, s31
	s_cmp_lg_u32 s7, 0
	s_sub_co_ci_u32 s7, s25, s27
	s_cmp_ge_u32 s7, s13
	s_cselect_b32 s14, -1, 0
	s_cmp_ge_u32 s3, s12
	s_cselect_b32 s3, -1, 0
	s_cmp_eq_u32 s7, s13
	s_cselect_b32 s3, s3, s14
	s_delay_alu instid0(SALU_CYCLE_1) | instskip(SKIP_3) | instid1(SALU_CYCLE_1)
	s_cmp_lg_u32 s3, 0
	s_cselect_b32 s13, s10, s29
	s_cselect_b32 s12, s9, s28
	s_xor_b64 s[22:23], s[22:23], 0
	s_xor_b64 s[12:13], s[12:13], s[22:23]
	s_delay_alu instid0(SALU_CYCLE_1)
	s_sub_nc_u64 s[24:25], s[12:13], s[22:23]
	s_load_b96 s[12:14], s[0:1], 0x44
	s_cbranch_execnz .LBB39_6
.LBB39_5:
	v_cvt_f32_u32_e32 v1, s16
	s_sub_co_i32 s7, 0, s16
	s_delay_alu instid0(VALU_DEP_1) | instskip(SKIP_1) | instid1(TRANS32_DEP_1)
	v_rcp_iflag_f32_e32 v1, v1
	v_nop
	v_mul_f32_e32 v1, 0x4f7ffffe, v1
	s_delay_alu instid0(VALU_DEP_1) | instskip(NEXT) | instid1(VALU_DEP_1)
	v_cvt_u32_f32_e32 v1, v1
	v_readfirstlane_b32 s3, v1
	s_mul_i32 s7, s7, s3
	s_delay_alu instid0(SALU_CYCLE_1) | instskip(NEXT) | instid1(SALU_CYCLE_1)
	s_mul_hi_u32 s7, s3, s7
	s_add_co_i32 s3, s3, s7
	s_delay_alu instid0(SALU_CYCLE_1) | instskip(NEXT) | instid1(SALU_CYCLE_1)
	s_mul_hi_u32 s3, s8, s3
	s_mul_i32 s7, s3, s16
	s_delay_alu instid0(SALU_CYCLE_1)
	s_sub_co_i32 s7, s8, s7
	s_add_co_i32 s8, s3, 1
	s_sub_co_i32 s9, s7, s16
	s_cmp_ge_u32 s7, s16
	s_cselect_b32 s3, s8, s3
	s_cselect_b32 s7, s9, s7
	s_add_co_i32 s8, s3, 1
	s_cmp_ge_u32 s7, s16
	s_cselect_b32 s24, s8, s3
.LBB39_6:
	s_delay_alu instid0(SALU_CYCLE_1)
	s_cmp_eq_u32 s20, s24
	s_mov_b64 s[8:9], 0xffffffff
	s_cselect_b32 s3, -1, 0
	s_and_b64 s[8:9], s[20:21], s[8:9]
	s_mov_b32 s23, 0
	s_wait_kmcnt 0x0
	s_mov_b32 s22, s12
	s_mov_b32 s25, s23
	s_mul_u64 s[10:11], s[8:9], s[22:23]
	s_delay_alu instid0(SALU_CYCLE_1) | instskip(SKIP_2) | instid1(SALU_CYCLE_1)
	s_add_co_i32 s7, s11, s20
	s_mul_u64 s[10:11], s[24:25], s[22:23]
	s_lshr_b32 s12, s7, s13
	s_mul_i32 s7, s12, s14
	s_delay_alu instid0(SALU_CYCLE_1) | instskip(SKIP_2) | instid1(SALU_CYCLE_1)
	s_cmp_eq_u32 s7, s20
	s_cselect_b32 s7, -1, 0
	s_add_co_i32 s10, s11, s24
	s_lshr_b32 s10, s10, s13
	s_delay_alu instid0(SALU_CYCLE_1)
	s_cmp_eq_u32 s12, s10
	s_mul_i32 s10, s10, s14
	s_cselect_b32 s11, -1, 0
	s_cmp_lg_u32 s10, s24
	s_cselect_b32 s10, -1, 0
	s_or_b32 s3, s3, s7
	s_and_b32 s10, s11, s10
	s_delay_alu instid0(SALU_CYCLE_1) | instskip(NEXT) | instid1(SALU_CYCLE_1)
	s_or_b32 s3, s3, s10
	s_and_b32 vcc_lo, exec_lo, s3
	s_cbranch_vccnz .LBB39_24
; %bb.7:
	s_load_b256 s[24:31], s[0:1], 0x20
	s_bfe_u32 s7, ttmp6, 0x40014
	s_bfe_u32 s33, ttmp6, 0x40010
	s_lshr_b32 s3, ttmp7, 16
	s_add_co_i32 s7, s7, 1
	s_and_b32 s21, ttmp7, 0xffff
	s_add_co_i32 s33, s33, 1
	s_bfe_u32 s10, ttmp6, 0x40008
	s_mul_i32 s7, s3, s7
	s_bfe_u32 s34, ttmp6, 0x40004
	s_mul_i32 s33, s21, s33
	s_mov_b32 s11, s23
	s_add_co_i32 s35, s10, s7
	s_add_co_i32 s34, s34, s33
	s_cmp_eq_u32 s15, 0
	s_cselect_b32 s7, s21, s34
	s_cselect_b32 s3, s3, s35
	s_wait_kmcnt 0x0
	s_mov_b32 s10, s24
	s_delay_alu instid0(SALU_CYCLE_1) | instskip(NEXT) | instid1(SALU_CYCLE_1)
	s_mul_u64 s[8:9], s[8:9], s[10:11]
	s_add_co_i32 s8, s9, s20
	s_load_b32 s9, s[0:1], 0x40
	s_lshr_b32 s8, s8, s25
	s_delay_alu instid0(SALU_CYCLE_1) | instskip(NEXT) | instid1(SALU_CYCLE_1)
	s_mul_i32 s10, s8, s26
	s_sub_co_i32 s10, s20, s10
	s_delay_alu instid0(SALU_CYCLE_1) | instskip(NEXT) | instid1(SALU_CYCLE_1)
	s_mul_hi_u32 s11, s10, s27
	s_add_co_i32 s11, s10, s11
	s_delay_alu instid0(SALU_CYCLE_1) | instskip(NEXT) | instid1(SALU_CYCLE_1)
	s_lshr_b32 s15, s11, s28
	s_mul_i32 s11, s15, s29
	s_delay_alu instid0(SALU_CYCLE_1) | instskip(NEXT) | instid1(SALU_CYCLE_1)
	s_sub_co_i32 s10, s10, s11
	s_mul_hi_u32 s11, s10, s30
	s_delay_alu instid0(SALU_CYCLE_1) | instskip(NEXT) | instid1(SALU_CYCLE_1)
	s_add_co_i32 s11, s10, s11
	s_lshr_b32 s26, s11, s31
	s_mov_b32 s11, s23
	s_wait_kmcnt 0x0
	s_mul_i32 s9, s26, s9
	s_delay_alu instid0(SALU_CYCLE_1) | instskip(NEXT) | instid1(SALU_CYCLE_1)
	s_sub_co_i32 s10, s10, s9
	s_mul_u64 s[24:25], s[10:11], s[22:23]
	s_lshl_b32 s24, s26, 1
	s_add_co_i32 s9, s10, s25
	s_delay_alu instid0(SALU_CYCLE_1) | instskip(NEXT) | instid1(SALU_CYCLE_1)
	s_lshr_b32 s21, s9, s13
	s_lshl_b32 s9, s21, 4
	s_delay_alu instid0(SALU_CYCLE_1) | instskip(NEXT) | instid1(SALU_CYCLE_1)
	s_add_co_i32 s9, s9, s7
	s_cmp_lt_i32 s9, s4
	s_cselect_b32 s9, -1, 0
	s_add_co_i32 s10, s24, s3
	s_delay_alu instid0(SALU_CYCLE_1) | instskip(SKIP_1) | instid1(SALU_CYCLE_1)
	s_cmp_lt_i32 s10, s6
	s_cselect_b32 s10, -1, 0
	s_and_b32 s9, s9, s10
	s_delay_alu instid0(SALU_CYCLE_1)
	s_and_not1_b32 vcc_lo, exec_lo, s9
	s_cbranch_vccnz .LBB39_24
; %bb.8:
	s_mul_i32 s4, s8, s4
	s_load_b128 s[8:11], s[0:1], 0x0
	s_wait_xcnt 0x0
	s_add_co_i32 s0, s4, s7
	s_mul_i32 s15, s15, s6
	s_mul_i32 s0, s0, s5
	;; [unrolled: 1-line block ×3, first 2 shown]
	s_add_co_i32 s0, s0, s3
	s_lshl_b32 s1, s1, 11
	s_add_co_i32 s0, s0, s15
	s_lshl_b32 s15, s7, 1
	s_add_co_i32 s0, s0, s24
	s_add_co_i32 s15, s15, s3
	s_lshl_b32 s0, s0, 7
	v_lshl_or_b32 v6, s15, 7, v0
	s_add_co_i32 s1, s1, s0
	v_cvt_f32_u32_e32 v4, s16
	v_or_b32_e32 v2, s1, v0
	s_add_nc_u64 s[0:1], s[16:17], 0
	s_lshl_b32 s24, s16, 7
	s_xor_b64 s[6:7], s[0:1], 0
	s_lshl_b32 s0, s2, 5
	s_cvt_f32_u32 s3, s6
	s_add_co_i32 s0, s15, s0
	s_cvt_f32_u32 s4, s7
	s_ashr_i32 s1, s0, 31
	v_rcp_iflag_f32_e32 v4, v4
	s_lshl_b64 s[0:1], s[0:1], 3
	s_fmamk_f32 s3, s4, 0x4f800000, s3
	s_wait_kmcnt 0x0
	s_add_nc_u64 s[0:1], s[10:11], s[0:1]
	s_mov_b32 s25, 0
	s_load_b64 s[28:29], s[0:1], 0x0
	v_s_rcp_f32 s3, s3
	s_wait_xcnt 0x0
	s_lshl_b64 s[0:1], s[24:25], 2
	s_add_co_i32 s36, s2, -1
	s_add_nc_u64 s[26:27], s[10:11], s[0:1]
	s_sub_nc_u64 s[34:35], 0, s[6:7]
	v_mul_f32_e32 v4, 0x4f7ffffe, v4
	s_delay_alu instid0(TRANS32_DEP_1) | instskip(NEXT) | instid1(VALU_DEP_1)
	s_mul_f32 s3, s3, 0x5f7ffffc
	v_cvt_u32_f32_e32 v7, v4
	s_delay_alu instid0(SALU_CYCLE_2) | instskip(NEXT) | instid1(SALU_CYCLE_3)
	s_mul_f32 s4, s3, 0x2f800000
	s_trunc_f32 s4, s4
	s_wait_kmcnt 0x0
	v_mov_b32_e32 v0, s29
	global_load_b32 v1, v2, s[8:9] scale_offset
	v_ashrrev_i32_e32 v3, 31, v2
	s_fmamk_f32 s0, s4, 0xcf800000, s3
	s_cvt_u32_f32 s31, s4
	s_wait_xcnt 0x0
	s_delay_alu instid0(VALU_DEP_1)
	v_lshl_add_u64 v[2:3], v[2:3], 2, s[8:9]
	s_cvt_u32_f32 s30, s0
	s_mov_b64 s[8:9], 0xffffffff
.LBB39_9:                               ; =>This Inner Loop Header: Depth=1
	s_ashr_i32 s37, s36, 31
                                        ; implicit-def: $sgpr40_sgpr41
	s_delay_alu instid0(SALU_CYCLE_1) | instskip(NEXT) | instid1(SALU_CYCLE_1)
	s_mul_u64 s[0:1], s[36:37], s[18:19]
	s_and_b64 s[2:3], s[0:1], 0xffffffff00000000
	s_delay_alu instid0(SALU_CYCLE_1)
	s_cmp_lg_u64 s[2:3], 0
	s_mov_b32 s2, -1
	s_cbranch_scc0 .LBB39_11
; %bb.10:                               ;   in Loop: Header=BB39_9 Depth=1
	s_mul_u64 s[2:3], s[34:35], s[30:31]
	s_delay_alu instid0(SALU_CYCLE_1)
	s_mul_hi_u32 s5, s30, s3
	s_mul_i32 s4, s30, s3
	s_mul_hi_u32 s24, s30, s2
	s_mul_hi_u32 s17, s31, s2
	s_add_nc_u64 s[4:5], s[24:25], s[4:5]
	s_mul_i32 s2, s31, s2
	s_mul_hi_u32 s21, s31, s3
	s_add_co_u32 s2, s4, s2
	s_add_co_ci_u32 s24, s5, s17
	s_add_co_ci_u32 s5, s21, 0
	s_mul_i32 s4, s31, s3
	s_delay_alu instid0(SALU_CYCLE_1) | instskip(NEXT) | instid1(SALU_CYCLE_1)
	s_add_nc_u64 s[2:3], s[24:25], s[4:5]
	s_add_co_u32 s2, s30, s2
	s_cselect_b32 s4, -1, 0
	s_delay_alu instid0(SALU_CYCLE_1) | instskip(SKIP_1) | instid1(SALU_CYCLE_1)
	s_cmp_lg_u32 s4, 0
	s_add_co_ci_u32 s3, s31, s3
	s_mul_u64 s[4:5], s[34:35], s[2:3]
	s_delay_alu instid0(SALU_CYCLE_1)
	s_mul_hi_u32 s39, s2, s5
	s_mul_i32 s38, s2, s5
	s_mul_hi_u32 s24, s2, s4
	s_mul_hi_u32 s17, s3, s4
	s_mul_i32 s4, s3, s4
	s_add_nc_u64 s[38:39], s[24:25], s[38:39]
	s_mul_hi_u32 s21, s3, s5
	s_add_co_u32 s4, s38, s4
	s_add_co_ci_u32 s24, s39, s17
	s_mul_i32 s4, s3, s5
	s_add_co_ci_u32 s5, s21, 0
	s_delay_alu instid0(SALU_CYCLE_1) | instskip(NEXT) | instid1(SALU_CYCLE_1)
	s_add_nc_u64 s[4:5], s[24:25], s[4:5]
	s_add_co_u32 s17, s2, s4
	s_cselect_b32 s2, -1, 0
	s_delay_alu instid0(SALU_CYCLE_1) | instskip(SKIP_2) | instid1(SALU_CYCLE_1)
	s_cmp_lg_u32 s2, 0
	s_add_co_ci_u32 s21, s3, s5
	s_ashr_i32 s2, s1, 31
	s_mov_b32 s3, s2
	s_delay_alu instid0(SALU_CYCLE_1) | instskip(NEXT) | instid1(SALU_CYCLE_1)
	s_add_nc_u64 s[4:5], s[0:1], s[2:3]
	s_xor_b64 s[4:5], s[4:5], s[2:3]
	s_delay_alu instid0(SALU_CYCLE_1)
	s_mul_hi_u32 s39, s4, s21
	s_mul_i32 s38, s4, s21
	s_mul_hi_u32 s24, s4, s17
	s_mul_hi_u32 s29, s5, s17
	s_mul_i32 s17, s5, s17
	s_add_nc_u64 s[38:39], s[24:25], s[38:39]
	s_mul_hi_u32 s1, s5, s21
	s_add_co_u32 s17, s38, s17
	s_add_co_ci_u32 s24, s39, s29
	s_mul_i32 s40, s5, s21
	s_add_co_ci_u32 s41, s1, 0
	s_delay_alu instid0(SALU_CYCLE_1) | instskip(NEXT) | instid1(SALU_CYCLE_1)
	s_add_nc_u64 s[38:39], s[24:25], s[40:41]
	s_and_b64 s[40:41], s[38:39], 0xffffffff00000000
	s_delay_alu instid0(SALU_CYCLE_1) | instskip(NEXT) | instid1(SALU_CYCLE_1)
	s_or_b32 s40, s40, s38
	s_mul_u64 s[38:39], s[6:7], s[40:41]
	s_add_nc_u64 s[42:43], s[40:41], 1
	s_sub_co_u32 s1, s4, s38
	s_cselect_b32 s4, -1, 0
	s_sub_co_i32 s17, s5, s39
	s_cmp_lg_u32 s4, 0
	s_add_nc_u64 s[44:45], s[40:41], 2
	s_sub_co_ci_u32 s17, s17, s7
	s_sub_co_u32 s21, s1, s6
	s_cselect_b32 s24, -1, 0
	s_delay_alu instid0(SALU_CYCLE_1) | instskip(SKIP_1) | instid1(SALU_CYCLE_1)
	s_cmp_lg_u32 s24, 0
	s_sub_co_ci_u32 s17, s17, 0
	s_cmp_ge_u32 s17, s7
	s_cselect_b32 s24, -1, 0
	s_cmp_ge_u32 s21, s6
	s_cselect_b32 s21, -1, 0
	s_cmp_eq_u32 s17, s7
	s_cselect_b32 s17, s21, s24
	s_delay_alu instid0(SALU_CYCLE_1) | instskip(SKIP_4) | instid1(SALU_CYCLE_1)
	s_cmp_lg_u32 s17, 0
	s_cselect_b32 s17, s44, s42
	s_cselect_b32 s21, s45, s43
	s_cmp_lg_u32 s4, 0
	s_sub_co_ci_u32 s4, s5, s39
	s_cmp_ge_u32 s4, s7
	s_cselect_b32 s5, -1, 0
	s_cmp_ge_u32 s1, s6
	s_cselect_b32 s1, -1, 0
	s_cmp_eq_u32 s4, s7
	s_cselect_b32 s1, s1, s5
	s_delay_alu instid0(SALU_CYCLE_1) | instskip(SKIP_3) | instid1(SALU_CYCLE_1)
	s_cmp_lg_u32 s1, 0
	s_cselect_b32 s5, s21, s41
	s_cselect_b32 s4, s17, s40
	s_xor_b64 s[2:3], s[2:3], 0
	s_xor_b64 s[4:5], s[4:5], s[2:3]
	s_delay_alu instid0(SALU_CYCLE_1)
	s_sub_nc_u64 s[40:41], s[4:5], s[2:3]
	s_mov_b32 s2, 0
.LBB39_11:                              ;   in Loop: Header=BB39_9 Depth=1
	s_delay_alu instid0(SALU_CYCLE_1)
	s_and_not1_b32 vcc_lo, exec_lo, s2
	s_cbranch_vccnz .LBB39_13
; %bb.12:                               ;   in Loop: Header=BB39_9 Depth=1
	v_readfirstlane_b32 s1, v7
	s_sub_co_i32 s2, 0, s16
	s_delay_alu instid0(SALU_CYCLE_1) | instskip(NEXT) | instid1(SALU_CYCLE_1)
	s_mul_i32 s2, s2, s1
	s_mul_hi_u32 s2, s1, s2
	s_delay_alu instid0(SALU_CYCLE_1) | instskip(NEXT) | instid1(SALU_CYCLE_1)
	s_add_co_i32 s1, s1, s2
	s_mul_hi_u32 s1, s0, s1
	s_delay_alu instid0(SALU_CYCLE_1) | instskip(NEXT) | instid1(SALU_CYCLE_1)
	s_mul_i32 s2, s1, s16
	s_sub_co_i32 s0, s0, s2
	s_add_co_i32 s2, s1, 1
	s_sub_co_i32 s3, s0, s16
	s_cmp_ge_u32 s0, s16
	s_cselect_b32 s1, s2, s1
	s_cselect_b32 s0, s3, s0
	s_add_co_i32 s2, s1, 1
	s_cmp_ge_u32 s0, s16
	s_cselect_b32 s24, s2, s1
	s_delay_alu instid0(SALU_CYCLE_1)
	s_mov_b64 s[40:41], s[24:25]
.LBB39_13:                              ;   in Loop: Header=BB39_9 Depth=1
	s_delay_alu instid0(SALU_CYCLE_1)
	s_cmp_lg_u32 s20, s40
	s_mov_b32 s0, -1
                                        ; implicit-def: $vgpr4_vgpr5
                                        ; implicit-def: $sgpr24
                                        ; implicit-def: $sgpr17
                                        ; implicit-def: $sgpr21
                                        ; implicit-def: $sgpr29
	s_cbranch_scc0 .LBB39_18
; %bb.14:                               ;   in Loop: Header=BB39_9 Depth=1
	s_add_co_i32 s0, s36, s16
	v_max_num_f32_e64 v4, s28, s28
	s_lshl_b32 s0, s0, 5
	s_mov_b32 s29, s20
	s_add_co_i32 s0, s0, s15
	s_load_b64 s[38:39], s[10:11], s0 offset:0x0 scale_offset
	s_wait_xcnt 0x0
	v_readfirstlane_b32 s0, v4
	s_wait_kmcnt 0x0
	v_max_num_f32_e64 v5, s38, s38
	s_delay_alu instid0(VALU_DEP_1) | instskip(SKIP_1) | instid1(SALU_CYCLE_3)
	v_readfirstlane_b32 s1, v5
	s_max_num_f32 s17, s0, s1
	s_sub_f32 s33, s28, s17
	s_sub_f32 s37, s38, s17
	s_delay_alu instid0(SALU_CYCLE_2)
	s_cmp_nlt_f32 s33, 0xc2ce8ed0
	s_cselect_b32 s1, -1, 0
	s_cmp_ngt_f32 s33, 0x42b17218
	s_cselect_b32 s2, -1, 0
	s_cmp_ge_f32 s33, 0xc1a00000
	s_cselect_b32 s0, -1, 0
	s_cmp_nlt_f32 s37, 0xc2ce8ed0
	s_cselect_b32 s3, -1, 0
	s_cmp_ngt_f32 s37, 0x42b17218
	s_cselect_b32 s4, -1, 0
	s_cmp_ge_f32 s37, 0xc1a00000
	s_cselect_b32 s5, -1, 0
	s_and_b64 s[42:43], s[40:41], s[8:9]
	s_delay_alu instid0(SALU_CYCLE_1) | instskip(NEXT) | instid1(SALU_CYCLE_1)
	s_mul_u64 s[42:43], s[42:43], s[22:23]
	s_add_co_i32 s21, s43, s40
	s_delay_alu instid0(SALU_CYCLE_1) | instskip(NEXT) | instid1(SALU_CYCLE_1)
	s_lshr_b32 s21, s21, s13
	s_mul_i32 s24, s21, s14
	s_delay_alu instid0(SALU_CYCLE_1) | instskip(SKIP_3) | instid1(SALU_CYCLE_1)
	s_cmp_eq_u32 s24, s40
	s_cselect_b32 s24, -1, 0
	s_cmp_lt_u32 s21, s12
	s_cselect_b32 s21, -1, 0
	s_or_b32 s21, s21, s24
	s_mov_b32 s24, -1
	s_and_b32 vcc_lo, exec_lo, s21
	s_mov_b32 s21, s36
	s_cbranch_vccnz .LBB39_16
; %bb.15:                               ;   in Loop: Header=BB39_9 Depth=1
	s_add_co_i32 s21, s36, -1
	s_mov_b32 s24, 0
	s_mov_b32 s29, s40
.LBB39_16:                              ;   in Loop: Header=BB39_9 Depth=1
	v_lshl_add_u32 v4, s36, 12, v6
	s_mul_f32 s40, s33, 0x3fb8aa3b
	s_mul_f32 s38, s37, 0x3fb8aa3b
	s_delay_alu instid0(SALU_CYCLE_2)
	s_xor_b32 s42, s40, 0x80000000
	global_load_b32 v5, v4, s[26:27] scale_offset
	s_fmamk_f32 s42, s33, 0x3fb8aa3b, s42
	s_rndne_f32 s44, s40
	s_xor_b32 s41, s38, 0x80000000
	s_rndne_f32 s43, s38
	s_fmamk_f32 s33, s33, 0x32a5705f, s42
	s_sub_f32 s40, s40, s44
	s_fmamk_f32 s41, s37, 0x3fb8aa3b, s41
	s_sub_f32 s38, s38, s43
	s_delay_alu instid0(SALU_CYCLE_1) | instskip(NEXT) | instid1(SALU_CYCLE_1)
	s_add_f32 s33, s40, s33
	s_fmamk_f32 s37, s37, 0x32a5705f, s41
	s_cvt_i32_f32 s40, s44
	s_delay_alu instid0(SALU_CYCLE_1) | instskip(NEXT) | instid1(SALU_CYCLE_1)
	v_s_exp_f32 s33, s33
	s_add_f32 s37, s38, s37
	s_cvt_i32_f32 s38, s43
	s_delay_alu instid0(SALU_CYCLE_2) | instskip(NEXT) | instid1(TRANS32_DEP_2)
	v_s_exp_f32 s37, s37
	v_ldexp_f32 v8, s33, s40
	s_wait_xcnt 0x0
	s_delay_alu instid0(TRANS32_DEP_1) | instskip(NEXT) | instid1(VALU_DEP_2)
	v_ldexp_f32 v4, s37, s38
	v_cndmask_b32_e64 v8, 0, v8, s1
	s_delay_alu instid0(VALU_DEP_1) | instskip(NEXT) | instid1(VALU_DEP_1)
	v_cndmask_b32_e64 v9, 0x7f800000, v8, s2
	v_dual_cndmask_b32 v4, 0, v4, s3 :: v_dual_cndmask_b32 v10, 0, v9, s0
	s_delay_alu instid0(VALU_DEP_1) | instskip(NEXT) | instid1(VALU_DEP_1)
	v_cndmask_b32_e64 v4, 0x7f800000, v4, s4
	v_dual_cndmask_b32 v8, 0, v4, s5 :: v_dual_mov_b32 v4, s39
	s_wait_loadcnt 0x0
	s_delay_alu instid0(VALU_DEP_1) | instskip(NEXT) | instid1(VALU_DEP_1)
	v_pk_mul_f32 v[4:5], v[4:5], v[8:9] op_sel_hi:[1,0]
	v_pk_fma_f32 v[4:5], v[0:1], v[10:11], v[4:5] op_sel_hi:[1,0,1]
	s_cbranch_execz .LBB39_19
.LBB39_17:                              ;   in Loop: Header=BB39_9 Depth=1
	s_and_not1_b32 vcc_lo, exec_lo, s24
	s_cbranch_vccnz .LBB39_20
	s_branch .LBB39_23
.LBB39_18:                              ;   in Loop: Header=BB39_9 Depth=1
	s_and_not1_b32 vcc_lo, exec_lo, s0
	s_cbranch_vccnz .LBB39_17
.LBB39_19:                              ;   in Loop: Header=BB39_9 Depth=1
	s_wait_loadcnt 0x0
	v_mov_b64_e32 v[4:5], v[0:1]
	s_add_co_i32 s21, s36, -1
	s_mov_b32 s29, s20
	s_mov_b32 s17, s28
	s_cbranch_execz .LBB39_23
.LBB39_20:                              ;   in Loop: Header=BB39_9 Depth=1
	s_wait_loadcnt 0x0
	s_delay_alu instid0(VALU_DEP_1)
	v_mov_b64_e32 v[0:1], v[4:5]
	s_mov_b32 s20, s29
	s_mov_b32 s36, s21
	;; [unrolled: 1-line block ×3, first 2 shown]
	s_branch .LBB39_9
.LBB39_21:
                                        ; implicit-def: $sgpr20_sgpr21
	s_branch .LBB39_2
.LBB39_22:
                                        ; implicit-def: $sgpr24_sgpr25
	s_load_b96 s[12:14], s[0:1], 0x44
	s_branch .LBB39_5
.LBB39_23:
	s_delay_alu instid0(VALU_DEP_1) | instskip(SKIP_1) | instid1(VALU_DEP_1)
	v_div_scale_f32 v0, null, v4, v4, v5
	s_wait_loadcnt 0x0
	v_rcp_f32_e32 v1, v0
	v_nop
	s_delay_alu instid0(TRANS32_DEP_1) | instskip(NEXT) | instid1(VALU_DEP_1)
	v_fma_f32 v6, -v0, v1, 1.0
	v_fmac_f32_e32 v1, v6, v1
	v_div_scale_f32 v6, vcc_lo, v5, v4, v5
	s_delay_alu instid0(VALU_DEP_1) | instskip(NEXT) | instid1(VALU_DEP_1)
	v_mul_f32_e32 v7, v6, v1
	v_fma_f32 v8, -v0, v7, v6
	s_delay_alu instid0(VALU_DEP_1) | instskip(NEXT) | instid1(VALU_DEP_1)
	v_fmac_f32_e32 v7, v8, v1
	v_fma_f32 v0, -v0, v7, v6
	s_delay_alu instid0(VALU_DEP_1) | instskip(NEXT) | instid1(VALU_DEP_1)
	v_div_fmas_f32 v0, v0, v1, v7
	v_div_fixup_f32 v0, v0, v4, v5
	global_store_b32 v[2:3], v0, off
.LBB39_24:
	s_endpgm
	.section	.rodata,"a",@progbits
	.p2align	6, 0x0
	.amdhsa_kernel _ZL33flash_attn_stream_k_fixup_generalILi128ELi16ELi2EEvPfPK15HIP_vector_typeIfLj2EEiiiiS1_IjLj3EES5_S5_S5_
		.amdhsa_group_segment_fixed_size 0
		.amdhsa_private_segment_fixed_size 0
		.amdhsa_kernarg_size 336
		.amdhsa_user_sgpr_count 2
		.amdhsa_user_sgpr_dispatch_ptr 0
		.amdhsa_user_sgpr_queue_ptr 0
		.amdhsa_user_sgpr_kernarg_segment_ptr 1
		.amdhsa_user_sgpr_dispatch_id 0
		.amdhsa_user_sgpr_kernarg_preload_length 0
		.amdhsa_user_sgpr_kernarg_preload_offset 0
		.amdhsa_user_sgpr_private_segment_size 0
		.amdhsa_wavefront_size32 1
		.amdhsa_uses_dynamic_stack 0
		.amdhsa_enable_private_segment 0
		.amdhsa_system_sgpr_workgroup_id_x 1
		.amdhsa_system_sgpr_workgroup_id_y 1
		.amdhsa_system_sgpr_workgroup_id_z 1
		.amdhsa_system_sgpr_workgroup_info 0
		.amdhsa_system_vgpr_workitem_id 0
		.amdhsa_next_free_vgpr 12
		.amdhsa_next_free_sgpr 46
		.amdhsa_named_barrier_count 0
		.amdhsa_reserve_vcc 1
		.amdhsa_float_round_mode_32 0
		.amdhsa_float_round_mode_16_64 0
		.amdhsa_float_denorm_mode_32 3
		.amdhsa_float_denorm_mode_16_64 3
		.amdhsa_fp16_overflow 0
		.amdhsa_memory_ordered 1
		.amdhsa_forward_progress 1
		.amdhsa_inst_pref_size 27
		.amdhsa_round_robin_scheduling 0
		.amdhsa_exception_fp_ieee_invalid_op 0
		.amdhsa_exception_fp_denorm_src 0
		.amdhsa_exception_fp_ieee_div_zero 0
		.amdhsa_exception_fp_ieee_overflow 0
		.amdhsa_exception_fp_ieee_underflow 0
		.amdhsa_exception_fp_ieee_inexact 0
		.amdhsa_exception_int_div_zero 0
	.end_amdhsa_kernel
	.section	.text._ZL33flash_attn_stream_k_fixup_generalILi128ELi16ELi2EEvPfPK15HIP_vector_typeIfLj2EEiiiiS1_IjLj3EES5_S5_S5_,"axG",@progbits,_ZL33flash_attn_stream_k_fixup_generalILi128ELi16ELi2EEvPfPK15HIP_vector_typeIfLj2EEiiiiS1_IjLj3EES5_S5_S5_,comdat
.Lfunc_end39:
	.size	_ZL33flash_attn_stream_k_fixup_generalILi128ELi16ELi2EEvPfPK15HIP_vector_typeIfLj2EEiiiiS1_IjLj3EES5_S5_S5_, .Lfunc_end39-_ZL33flash_attn_stream_k_fixup_generalILi128ELi16ELi2EEvPfPK15HIP_vector_typeIfLj2EEiiiiS1_IjLj3EES5_S5_S5_
                                        ; -- End function
	.set _ZL33flash_attn_stream_k_fixup_generalILi128ELi16ELi2EEvPfPK15HIP_vector_typeIfLj2EEiiiiS1_IjLj3EES5_S5_S5_.num_vgpr, 12
	.set _ZL33flash_attn_stream_k_fixup_generalILi128ELi16ELi2EEvPfPK15HIP_vector_typeIfLj2EEiiiiS1_IjLj3EES5_S5_S5_.num_agpr, 0
	.set _ZL33flash_attn_stream_k_fixup_generalILi128ELi16ELi2EEvPfPK15HIP_vector_typeIfLj2EEiiiiS1_IjLj3EES5_S5_S5_.numbered_sgpr, 46
	.set _ZL33flash_attn_stream_k_fixup_generalILi128ELi16ELi2EEvPfPK15HIP_vector_typeIfLj2EEiiiiS1_IjLj3EES5_S5_S5_.num_named_barrier, 0
	.set _ZL33flash_attn_stream_k_fixup_generalILi128ELi16ELi2EEvPfPK15HIP_vector_typeIfLj2EEiiiiS1_IjLj3EES5_S5_S5_.private_seg_size, 0
	.set _ZL33flash_attn_stream_k_fixup_generalILi128ELi16ELi2EEvPfPK15HIP_vector_typeIfLj2EEiiiiS1_IjLj3EES5_S5_S5_.uses_vcc, 1
	.set _ZL33flash_attn_stream_k_fixup_generalILi128ELi16ELi2EEvPfPK15HIP_vector_typeIfLj2EEiiiiS1_IjLj3EES5_S5_S5_.uses_flat_scratch, 0
	.set _ZL33flash_attn_stream_k_fixup_generalILi128ELi16ELi2EEvPfPK15HIP_vector_typeIfLj2EEiiiiS1_IjLj3EES5_S5_S5_.has_dyn_sized_stack, 0
	.set _ZL33flash_attn_stream_k_fixup_generalILi128ELi16ELi2EEvPfPK15HIP_vector_typeIfLj2EEiiiiS1_IjLj3EES5_S5_S5_.has_recursion, 0
	.set _ZL33flash_attn_stream_k_fixup_generalILi128ELi16ELi2EEvPfPK15HIP_vector_typeIfLj2EEiiiiS1_IjLj3EES5_S5_S5_.has_indirect_call, 0
	.section	.AMDGPU.csdata,"",@progbits
; Kernel info:
; codeLenInByte = 3360
; TotalNumSgprs: 48
; NumVgprs: 12
; ScratchSize: 0
; MemoryBound: 0
; FloatMode: 240
; IeeeMode: 1
; LDSByteSize: 0 bytes/workgroup (compile time only)
; SGPRBlocks: 0
; VGPRBlocks: 0
; NumSGPRsForWavesPerEU: 48
; NumVGPRsForWavesPerEU: 12
; NamedBarCnt: 0
; Occupancy: 16
; WaveLimiterHint : 0
; COMPUTE_PGM_RSRC2:SCRATCH_EN: 0
; COMPUTE_PGM_RSRC2:USER_SGPR: 2
; COMPUTE_PGM_RSRC2:TRAP_HANDLER: 0
; COMPUTE_PGM_RSRC2:TGID_X_EN: 1
; COMPUTE_PGM_RSRC2:TGID_Y_EN: 1
; COMPUTE_PGM_RSRC2:TGID_Z_EN: 1
; COMPUTE_PGM_RSRC2:TIDIG_COMP_CNT: 0
	.section	.text._ZL15flash_attn_tileILi128ELi128ELi8ELi2ELb0EEvPKcS1_S1_S1_S1_PKiPfP15HIP_vector_typeIfLj2EEffffjfiS5_IjLj3EEiiiiiiiiiiiliiliiiiil,"axG",@progbits,_ZL15flash_attn_tileILi128ELi128ELi8ELi2ELb0EEvPKcS1_S1_S1_S1_PKiPfP15HIP_vector_typeIfLj2EEffffjfiS5_IjLj3EEiiiiiiiiiiiliiliiiiil,comdat
	.globl	_ZL15flash_attn_tileILi128ELi128ELi8ELi2ELb0EEvPKcS1_S1_S1_S1_PKiPfP15HIP_vector_typeIfLj2EEffffjfiS5_IjLj3EEiiiiiiiiiiiliiliiiiil ; -- Begin function _ZL15flash_attn_tileILi128ELi128ELi8ELi2ELb0EEvPKcS1_S1_S1_S1_PKiPfP15HIP_vector_typeIfLj2EEffffjfiS5_IjLj3EEiiiiiiiiiiiliiliiiiil
	.p2align	8
	.type	_ZL15flash_attn_tileILi128ELi128ELi8ELi2ELb0EEvPKcS1_S1_S1_S1_PKiPfP15HIP_vector_typeIfLj2EEffffjfiS5_IjLj3EEiiiiiiiiiiiliiliiiiil,@function
_ZL15flash_attn_tileILi128ELi128ELi8ELi2ELb0EEvPKcS1_S1_S1_S1_PKiPfP15HIP_vector_typeIfLj2EEffffjfiS5_IjLj3EEiiiiiiiiiiiliiliiiiil: ; @_ZL15flash_attn_tileILi128ELi128ELi8ELi2ELb0EEvPKcS1_S1_S1_S1_PKiPfP15HIP_vector_typeIfLj2EEffffjfiS5_IjLj3EEiiiiiiiiiiiliiliiiiil
; %bb.0:
	s_clause 0x1
	s_load_b128 s[20:23], s[0:1], 0x5c
	s_load_b64 s[34:35], s[0:1], 0x80
	s_bfe_u32 s5, ttmp6, 0x40014
	s_lshr_b32 s4, ttmp7, 16
	s_add_co_i32 s5, s5, 1
	s_bfe_u32 s6, ttmp6, 0x40008
	s_mul_i32 s5, s4, s5
	s_getreg_b32 s24, hwreg(HW_REG_IB_STS2, 6, 4)
	s_add_co_i32 s6, s6, s5
	s_load_b64 s[38:39], s[0:1], 0xb8
	s_mov_b64 s[36:37], 0
	s_wait_kmcnt 0x0
	s_lshr_b32 s2, s23, 31
	s_delay_alu instid0(SALU_CYCLE_1) | instskip(NEXT) | instid1(SALU_CYCLE_1)
	s_add_co_i32 s2, s23, s2
	s_ashr_i32 s2, s2, 1
	s_delay_alu instid0(SALU_CYCLE_1) | instskip(SKIP_1) | instid1(SALU_CYCLE_2)
	s_cvt_f32_u32 s3, s2
	s_sub_co_i32 s7, 0, s2
	v_rcp_iflag_f32_e32 v1, s3
	v_nop
	s_delay_alu instid0(TRANS32_DEP_1) | instskip(SKIP_1) | instid1(SALU_CYCLE_3)
	v_readfirstlane_b32 s3, v1
	s_mul_f32 s3, s3, 0x4f7ffffe
	s_cvt_u32_f32 s3, s3
	s_delay_alu instid0(SALU_CYCLE_3) | instskip(NEXT) | instid1(SALU_CYCLE_1)
	s_mul_i32 s7, s7, s3
	s_mul_hi_u32 s7, s3, s7
	s_delay_alu instid0(SALU_CYCLE_1) | instskip(SKIP_2) | instid1(SALU_CYCLE_1)
	s_add_co_i32 s3, s3, s7
	s_cmp_eq_u32 s24, 0
	s_cselect_b32 s4, s4, s6
	s_mul_hi_u32 s3, s4, s3
	s_delay_alu instid0(SALU_CYCLE_1) | instskip(SKIP_2) | instid1(SALU_CYCLE_1)
	s_mul_i32 s5, s3, s2
	s_add_co_i32 s6, s3, 1
	s_sub_co_i32 s5, s4, s5
	s_sub_co_i32 s7, s5, s2
	s_cmp_ge_u32 s5, s2
	s_cselect_b32 s3, s6, s3
	s_cselect_b32 s5, s7, s5
	s_add_co_i32 s6, s3, 1
	s_cmp_ge_u32 s5, s2
	s_cselect_b32 s28, s6, s3
	s_abs_i32 s2, s35
	s_abs_i32 s7, s23
	s_cvt_f32_u32 s3, s2
	s_sub_co_i32 s5, 0, s2
	s_lshl_b32 s4, s4, 1
	s_mul_i32 s6, s28, s23
	v_rcp_iflag_f32_e32 v1, s3
	s_sub_co_i32 s30, s4, s6
	s_xor_b32 s4, s23, s35
	s_delay_alu instid0(SALU_CYCLE_1) | instskip(SKIP_1) | instid1(TRANS32_DEP_1)
	s_ashr_i32 s25, s4, 31
	v_nop
	v_readfirstlane_b32 s3, v1
	s_mul_f32 s3, s3, 0x4f7ffffe
	s_delay_alu instid0(SALU_CYCLE_3) | instskip(NEXT) | instid1(SALU_CYCLE_3)
	s_cvt_u32_f32 s3, s3
	s_mul_i32 s5, s5, s3
	s_delay_alu instid0(SALU_CYCLE_1) | instskip(NEXT) | instid1(SALU_CYCLE_1)
	s_mul_hi_u32 s5, s3, s5
	s_add_co_i32 s3, s3, s5
	s_delay_alu instid0(SALU_CYCLE_1) | instskip(NEXT) | instid1(SALU_CYCLE_1)
	s_mul_hi_u32 s3, s7, s3
	s_mul_i32 s5, s3, s2
	s_delay_alu instid0(SALU_CYCLE_1)
	s_sub_co_i32 s4, s7, s5
	s_add_co_i32 s5, s3, 1
	s_sub_co_i32 s6, s4, s2
	s_cmp_ge_u32 s4, s2
	s_cselect_b32 s3, s5, s3
	s_cselect_b32 s4, s6, s4
	s_add_co_i32 s5, s3, 1
	s_cmp_ge_u32 s4, s2
	s_cselect_b32 s2, s5, s3
	s_load_b512 s[4:19], s[0:1], 0x0
	s_xor_b32 s2, s2, s25
	s_mov_b32 s3, 0
	s_sub_co_i32 s29, s2, s25
	s_delay_alu instid0(SALU_CYCLE_1) | instskip(NEXT) | instid1(SALU_CYCLE_1)
	s_abs_i32 s31, s29
	s_cvt_f32_u32 s2, s31
	s_delay_alu instid0(SALU_CYCLE_3) | instskip(SKIP_1) | instid1(TRANS32_DEP_1)
	v_rcp_iflag_f32_e32 v1, s2
	v_nop
	v_readfirstlane_b32 s2, v1
	s_wait_kmcnt 0x0
	s_cmp_eq_u64 s[10:11], 0
	s_cbranch_scc1 .LBB40_2
; %bb.1:
	s_abs_i32 s25, s38
	s_abs_i32 s33, s28
	s_cvt_f32_u32 s26, s25
	s_sub_co_i32 s27, 0, s25
	s_delay_alu instid0(SALU_CYCLE_2) | instskip(SKIP_1) | instid1(TRANS32_DEP_1)
	v_rcp_iflag_f32_e32 v1, s26
	v_nop
	v_readfirstlane_b32 s26, v1
	s_mul_f32 s26, s26, 0x4f7ffffe
	s_delay_alu instid0(SALU_CYCLE_3) | instskip(NEXT) | instid1(SALU_CYCLE_3)
	s_cvt_u32_f32 s26, s26
	s_mul_i32 s27, s27, s26
	s_delay_alu instid0(SALU_CYCLE_1) | instskip(NEXT) | instid1(SALU_CYCLE_1)
	s_mul_hi_u32 s27, s26, s27
	s_add_co_i32 s26, s26, s27
	s_delay_alu instid0(SALU_CYCLE_1) | instskip(SKIP_2) | instid1(SALU_CYCLE_1)
	s_mul_hi_u32 s35, s33, s26
	s_load_b64 s[26:27], s[0:1], 0xc8
	s_mul_i32 s35, s35, s25
	s_sub_co_i32 s33, s33, s35
	s_ashr_i32 s35, s28, 31
	s_sub_co_i32 s36, s33, s25
	s_cmp_ge_u32 s33, s25
	s_cselect_b32 s33, s36, s33
	s_delay_alu instid0(SALU_CYCLE_1) | instskip(SKIP_2) | instid1(SALU_CYCLE_1)
	s_sub_co_i32 s36, s33, s25
	s_cmp_ge_u32 s33, s25
	s_cselect_b32 s25, s36, s33
	s_xor_b32 s25, s25, s35
	s_delay_alu instid0(SALU_CYCLE_1) | instskip(NEXT) | instid1(SALU_CYCLE_1)
	s_sub_co_i32 s36, s25, s35
	s_ashr_i32 s37, s36, 31
	s_wait_kmcnt 0x0
	s_mul_u64 s[26:27], s[26:27], s[36:37]
	s_delay_alu instid0(SALU_CYCLE_1)
	s_add_nc_u64 s[36:37], s[10:11], s[26:27]
.LBB40_2:
	s_bfe_u32 s10, ttmp6, 0x4000c
	s_and_b32 s11, ttmp6, 15
	s_add_co_i32 s10, s10, 1
	v_bfe_u32 v1, v0, 10, 10
	s_mul_i32 s10, ttmp9, s10
	s_load_b96 s[40:42], s[0:1], 0x70
	s_add_co_i32 s11, s11, s10
	s_cmp_eq_u32 s24, 0
	v_and_b32_e32 v76, 0x3ff, v0
	s_cselect_b32 s10, ttmp9, s11
	v_lshlrev_b32_e32 v0, 9, v1
	v_lshl_add_u32 v77, s10, 3, v1
	s_delay_alu instid0(VALU_DEP_3) | instskip(SKIP_1) | instid1(VALU_DEP_4)
	v_dual_mov_b32 v3, 0 :: v_dual_lshlrev_b32 v79, 3, v76
	v_lshlrev_b32_e32 v6, 4, v76
	v_add_nc_u32_e32 v80, 0x9800, v0
	s_delay_alu instid0(VALU_DEP_4) | instskip(NEXT) | instid1(VALU_DEP_4)
	v_mul_hi_u32 v2, s20, v77
	v_mov_b32_e32 v7, v3
	s_wait_kmcnt 0x0
	s_mul_i32 s20, s30, s41
	s_ashr_i32 s27, s41, 31
	s_delay_alu instid0(VALU_DEP_2) | instskip(SKIP_2) | instid1(SALU_CYCLE_1)
	v_add_nc_u32_e32 v2, v77, v2
	s_mov_b32 s26, s41
	s_ashr_i32 s41, s40, 31
	s_lshr_b64 s[40:41], s[40:41], 2
	s_delay_alu instid0(VALU_DEP_1) | instskip(SKIP_1) | instid1(VALU_DEP_1)
	v_lshrrev_b32_e32 v2, s21, v2
	s_ashr_i32 s21, s20, 31
	v_mul_lo_u32 v2, v2, s22
	s_delay_alu instid0(VALU_DEP_1) | instskip(NEXT) | instid1(VALU_DEP_1)
	v_sub_nc_u32_e32 v2, v77, v2
	v_mul_u64_e32 v[4:5], s[40:41], v[2:3]
	s_mul_i32 s40, s28, s42
	s_delay_alu instid0(SALU_CYCLE_1) | instskip(NEXT) | instid1(SALU_CYCLE_1)
	s_ashr_i32 s41, s40, 31
	s_add_nc_u64 s[4:5], s[4:5], s[40:41]
	s_delay_alu instid0(SALU_CYCLE_1)
	s_add_nc_u64 s[4:5], s[4:5], s[20:21]
	s_delay_alu instid0(VALU_DEP_1) | instid1(SALU_CYCLE_1)
	v_lshl_add_u64 v[4:5], v[4:5], 2, s[4:5]
	s_and_b64 s[4:5], s[26:27], -4
	s_cmp_eq_u64 s[14:15], 0
	s_delay_alu instid0(VALU_DEP_1) | instskip(NEXT) | instid1(VALU_DEP_1)
	v_add_nc_u64_e32 v[12:13], v[4:5], v[6:7]
	v_add_nc_u64_e32 v[14:15], s[4:5], v[12:13]
	s_load_b32 s4, s[0:1], 0x40
	s_clause 0x1
	global_load_b128 v[4:7], v[12:13], off
	global_load_b128 v[8:11], v[14:15], off
	s_wait_loadcnt 0x1
	s_wait_kmcnt 0x0
	v_fma_mixlo_f16 v3, s4, v5, 0
	v_fma_mixlo_f16 v4, s4, v4, 0
	;; [unrolled: 1-line block ×4, first 2 shown]
	s_wait_loadcnt 0x0
	v_fma_mixlo_f16 v7, s4, v9, 0
	v_fma_mixlo_f16 v8, s4, v8, 0
	v_lshlrev_b32_e32 v3, 16, v3
	v_and_b32_e32 v4, 0xffff, v4
	v_lshlrev_b32_e32 v6, 16, v6
	v_fma_mixlo_f16 v9, s4, v10, 0
	v_fma_mixlo_f16 v10, s4, v11, 0
	s_delay_alu instid0(VALU_DEP_4) | instskip(SKIP_2) | instid1(VALU_DEP_4)
	v_dual_lshlrev_b32 v7, 16, v7 :: v_dual_bitop2_b32 v3, v3, v4 bitop3:0x54
	v_and_b32_e32 v8, 0xffff, v8
	v_and_b32_e32 v5, 0xffff, v5
	v_lshlrev_b32_e32 v10, 16, v10
	v_and_b32_e32 v9, 0xffff, v9
	s_delay_alu instid0(VALU_DEP_4) | instskip(NEXT) | instid1(VALU_DEP_4)
	v_dual_add_nc_u32 v11, v80, v79 :: v_dual_bitop2_b32 v8, v7, v8 bitop3:0x54
	v_or3_b32 v5, v6, v5, 0
	v_or3_b32 v4, 0, 0, v3
	s_delay_alu instid0(VALU_DEP_4) | instskip(NEXT) | instid1(VALU_DEP_4)
	v_or3_b32 v7, v10, v9, 0
	v_or3_b32 v6, 0, 0, v8
	ds_store_2addr_b64 v11, v[4:5], v[6:7] offset1:32
	s_wait_dscnt 0x0
	s_barrier_signal -1
	s_barrier_wait -1
	s_cbranch_scc1 .LBB40_4
; %bb.3:
	s_load_b32 s4, s[0:1], 0xd0
	s_wait_kmcnt 0x0
	s_mul_i32 s4, s4, s28
	s_delay_alu instid0(SALU_CYCLE_1)
	s_add_co_i32 s4, s4, s10
	s_load_b32 s34, s[14:15], s4 offset:0x0 scale_offset
.LBB40_4:
	s_wait_xcnt 0x0
	s_bfe_u32 s4, ttmp6, 0x40010
	s_and_b32 s5, ttmp7, 0xffff
	s_add_co_i32 s4, s4, 1
	s_bfe_u32 s10, ttmp6, 0x40004
	s_mul_i32 s4, s5, s4
	v_mbcnt_lo_u32_b32 v81, -1, 0
	s_add_co_i32 s10, s10, s4
	s_cmp_eq_u32 s24, 0
	s_mov_b32 s4, 0
	s_cselect_b32 s33, s5, s10
	s_delay_alu instid0(SALU_CYCLE_1)
	s_lshl_b32 s10, s33, 7
	s_wait_kmcnt 0x0
	s_cmp_lt_i32 s10, s34
	s_cbranch_scc1 .LBB40_7
; %bb.5:
	v_mbcnt_lo_u32_b32 v3, -1, 0
	s_delay_alu instid0(VALU_DEP_1)
	v_dual_mov_b32 v82, 32 :: v_dual_bitop2_b32 v91, 16, v3 bitop3:0x14
	v_xor_b32_e32 v88, 8, v3
	v_xor_b32_e32 v86, 4, v3
	;; [unrolled: 1-line block ×3, first 2 shown]
	v_dual_lshlrev_b32 v78, 2, v76 :: v_dual_bitop2_b32 v83, 1, v3 bitop3:0x14
	s_and_not1_b32 vcc_lo, exec_lo, s4
	s_cbranch_vccz .LBB40_8
; %bb.6:
	v_dual_mov_b32 v65, 0xfeffffff :: v_dual_mov_b32 v124, 0
	v_dual_mov_b32 v53, 0 :: v_dual_mov_b32 v123, 0
	v_dual_mov_b32 v122, 0 :: v_dual_mov_b32 v121, 0
	s_delay_alu instid0(VALU_DEP_2)
	v_dual_mov_b32 v64, v65 :: v_dual_mov_b32 v52, v53
	s_branch .LBB40_11
.LBB40_7:
                                        ; implicit-def: $vgpr3
                                        ; implicit-def: $vgpr82
                                        ; implicit-def: $vgpr91
                                        ; implicit-def: $vgpr88
                                        ; implicit-def: $vgpr86
                                        ; implicit-def: $vgpr85
                                        ; implicit-def: $vgpr83
	v_lshlrev_b32_e32 v78, 2, v76
.LBB40_8:
	s_clause 0x1
	s_load_b64 s[4:5], s[0:1], 0x8c
	s_load_b128 s[24:27], s[0:1], 0x98
	s_mul_f32 s11, s2, 0x4f7ffffe
	s_sub_co_i32 s14, 0, s31
	v_dual_lshrrev_b32 v3, 4, v76 :: v_dual_bitop2_b32 v4, 60, v78 bitop3:0x40
	s_delay_alu instid0(SALU_CYCLE_1) | instskip(SKIP_2) | instid1(VALU_DEP_1)
	s_cvt_u32_f32 s11, s11
	s_abs_i32 s2, s30
	s_mov_b32 s15, s3
	v_lshl_add_u32 v1, v1, 1, v3
	s_mul_i32 s14, s14, s11
	s_ashr_i32 s20, s30, 31
	s_mul_hi_u32 s14, s11, s14
	s_ashr_i32 s21, s29, 31
	s_add_co_i32 s14, s11, s14
	s_xor_b32 s11, s20, s21
	s_mul_u64 s[14:15], s[2:3], s[14:15]
	s_ashr_i32 s35, s39, 1
	s_mul_i32 s3, s15, s31
	s_ashr_i32 s29, s28, 31
	s_wait_kmcnt 0x0
	s_ashr_i32 s20, s4, 2
	s_sub_co_i32 s38, s2, s3
	v_mul_lo_u32 v28, s20, v1
	s_add_co_i32 s21, s15, 1
	s_ashr_i32 s14, s26, 2
	s_sub_co_i32 s4, s38, s31
	s_cmp_ge_u32 s38, s31
	s_load_b64 s[2:3], s[0:1], 0xa8
	s_cselect_b32 s15, s21, s15
	s_cselect_b32 s4, s4, s38
	s_add_co_i32 s21, s15, 1
	s_cmp_ge_u32 s4, s31
	v_mul_lo_u32 v36, s14, v1
	s_cselect_b32 s4, s21, s15
	s_lshl_b32 s15, s20, 4
	s_delay_alu instid0(SALU_CYCLE_1)
	v_dual_mov_b32 v39, 0 :: v_dual_add_nc_u32 v30, s15, v28
	s_xor_b32 s4, s4, s11
	v_lshlrev_b32_e32 v3, 2, v4
	s_sub_co_i32 s11, s4, s11
	v_mad_u32 v96, v2, s35, v76
	v_add_nc_u32_e32 v32, s15, v30
	s_mul_i32 s26, s11, s27
	v_ashrrev_i32_e32 v31, 31, v30
	s_ashr_i32 s27, s26, 31
	v_mad_u32_u24 v84, 0x110, v1, v3
	v_add_nc_u32_e32 v34, s15, v32
	s_wait_kmcnt 0x0
	s_mul_u64 s[2:3], s[2:3], s[28:29]
	v_ashrrev_i32_e32 v29, 31, v28
	s_add_nc_u64 s[2:3], s[8:9], s[2:3]
	v_lshl_or_b32 v95, v1, 8, v3
	v_add_nc_u32_e32 v40, s15, v34
	s_add_nc_u64 s[26:27], s[2:3], s[26:27]
	s_lshl_b32 s2, s14, 4
	v_dual_mov_b32 v124, v39 :: v_dual_add_nc_u32 v97, 0x8800, v0
	s_delay_alu instid0(VALU_DEP_2) | instskip(SKIP_3) | instid1(VALU_DEP_2)
	v_dual_add_nc_u32 v42, s15, v40 :: v_dual_ashrrev_i32 v41, 31, v40
	v_add_nc_u32_e32 v44, s2, v36
	s_mul_u64 s[24:25], s[24:25], s[28:29]
	s_mul_i32 s4, s11, s5
	v_dual_add_nc_u32 v46, s15, v42 :: v_dual_ashrrev_i32 v43, 31, v42
	s_delay_alu instid0(VALU_DEP_2) | instskip(SKIP_1) | instid1(VALU_DEP_3)
	v_add_nc_u32_e32 v48, s2, v44
	v_dual_ashrrev_i32 v33, 31, v32 :: v_dual_ashrrev_i32 v35, 31, v34
	v_dual_add_nc_u32 v50, s15, v46 :: v_dual_ashrrev_i32 v47, 31, v46
	s_delay_alu instid0(VALU_DEP_3) | instskip(SKIP_2) | instid1(VALU_DEP_4)
	v_add_nc_u32_e32 v54, s2, v48
	v_ashrrev_i32_e32 v37, 31, v36
	v_dual_mov_b32 v52, v39 :: v_dual_add_nc_u32 v87, 0x3300, v84
	v_ashrrev_i32_e32 v51, 31, v50
	s_delay_alu instid0(VALU_DEP_4) | instskip(SKIP_2) | instid1(VALU_DEP_3)
	v_dual_add_nc_u32 v56, s2, v54 :: v_dual_ashrrev_i32 v55, 31, v54
	v_mov_b32_e32 v64, 0xfeffffff
	v_dual_mov_b32 v82, 32 :: v_dual_add_nc_u32 v89, 0x4400, v84
	v_add_nc_u32_e32 v58, s2, v56
	v_ashrrev_i32_e32 v45, 31, v44
	v_ashrrev_i32_e32 v57, 31, v56
	v_dual_mov_b32 v65, v64 :: v_dual_add_nc_u32 v90, 0x5500, v84
	s_delay_alu instid0(VALU_DEP_4) | instskip(SKIP_2) | instid1(VALU_DEP_3)
	v_add_nc_u32_e32 v60, s2, v58
	v_dual_mov_b32 v53, v39 :: v_dual_add_nc_u32 v92, 0x6600, v84
	v_dual_mov_b32 v122, v39 :: v_dual_add_nc_u32 v93, 0x7700, v84
	v_dual_add_nc_u32 v62, s2, v60 :: v_dual_ashrrev_i32 v61, 31, v60
	v_mul_u32_u24_e32 v94, 0x110, v76
	v_dual_mov_b32 v121, v39 :: v_dual_add_nc_u32 v98, 0x1000, v95
	v_add_nc_u32_e32 v99, 0x2000, v95
	v_dual_ashrrev_i32 v49, 31, v48 :: v_dual_ashrrev_i32 v59, 31, v58
	v_dual_mov_b32 v123, v39 :: v_dual_add_nc_u32 v100, 0x3000, v95
	v_add_nc_u32_e32 v101, 0x4000, v95
	v_add_nc_u32_e32 v102, 0x5000, v95
	;; [unrolled: 1-line block ×3, first 2 shown]
	v_dual_ashrrev_i32 v63, 31, v62 :: v_dual_lshlrev_b32 v38, 2, v4
	v_add_nc_u32_e32 v104, 0x7000, v95
	v_dual_add_nc_u32 v105, v97, v78 :: v_dual_bitop2_b32 v91, 16, v81 bitop3:0x14
	v_xor_b32_e32 v88, 8, v81
	v_xor_b32_e32 v86, 4, v81
	;; [unrolled: 1-line block ×4, first 2 shown]
	v_add_nc_u32_e32 v106, 0x800, v79
	v_add_nc_u32_e32 v107, 0x1000, v79
	;; [unrolled: 1-line block ×15, first 2 shown]
	s_add_nc_u64 s[6:7], s[6:7], s[24:25]
	s_ashr_i32 s5, s4, 31
	s_ashr_i32 s21, s20, 31
	s_add_nc_u64 s[24:25], s[6:7], s[4:5]
	s_ashr_i32 s15, s14, 31
	s_add_nc_u64 s[38:39], s[0:1], 0xd0
.LBB40_9:                               ; =>This Inner Loop Header: Depth=1
	v_cmp_gt_i32_e32 vcc_lo, 32, v91
	s_ashr_i32 s11, s10, 31
	v_dual_add_nc_u32 v24, s10, v96 :: v_dual_mov_b32 v26, v64
	s_mul_u64 s[2:3], s[10:11], s[20:21]
	v_cndmask_b32_e32 v0, v81, v91, vcc_lo
	v_cmp_gt_i32_e32 vcc_lo, 32, v88
	s_lshl_b64 s[2:3], s[2:3], 2
	v_add_nc_u32_e32 v125, 0x1100, v84
	s_add_nc_u64 s[6:7], s[24:25], s[2:3]
	v_dual_mov_b32 v68, 0 :: v_dual_mov_b32 v69, 0
	v_cndmask_b32_e32 v1, v81, v88, vcc_lo
	v_cmp_gt_i32_e32 vcc_lo, 32, v86
	v_dual_mov_b32 v27, v65 :: v_dual_lshlrev_b32 v67, 2, v0
	v_lshl_add_u64 v[6:7], v[34:35], 2, s[6:7]
	v_lshl_add_u64 v[8:9], v[40:41], 2, s[6:7]
	v_cndmask_b32_e32 v2, v81, v86, vcc_lo
	v_cmp_gt_i32_e32 vcc_lo, 32, v85
	v_lshl_add_u64 v[10:11], v[42:43], 2, s[6:7]
	v_add_nc_u64_e32 v[132:133], v[6:7], v[38:39]
	v_add_nc_u64_e32 v[134:135], v[8:9], v[38:39]
	v_lshl_add_u64 v[12:13], v[46:47], 2, s[6:7]
	v_cndmask_b32_e32 v3, v81, v85, vcc_lo
	v_cmp_gt_i32_e32 vcc_lo, 32, v83
	v_lshlrev_b32_e32 v66, 2, v1
	v_lshl_add_u64 v[0:1], v[28:29], 2, s[6:7]
	s_delay_alu instid0(VALU_DEP_4) | instskip(SKIP_2) | instid1(VALU_DEP_4)
	v_dual_lshlrev_b32 v65, 2, v2 :: v_dual_lshlrev_b32 v64, 2, v3
	v_cndmask_b32_e32 v4, v81, v83, vcc_lo
	v_lshl_add_u64 v[2:3], v[30:31], 2, s[6:7]
	v_add_nc_u64_e32 v[126:127], v[0:1], v[38:39]
	v_add_nc_u64_e32 v[136:137], v[10:11], v[38:39]
	v_lshl_add_u64 v[14:15], v[50:51], 2, s[6:7]
	v_lshlrev_b32_e32 v25, 2, v4
	v_lshl_add_u64 v[4:5], v[32:33], 2, s[6:7]
	v_add_nc_u64_e32 v[128:129], v[2:3], v[38:39]
	v_add_nc_u64_e32 v[20:21], v[12:13], v[38:39]
	;; [unrolled: 1-line block ×3, first 2 shown]
	v_dual_mov_b32 v70, 0 :: v_dual_mov_b32 v71, 0
	v_add_nc_u64_e32 v[130:131], v[4:5], v[38:39]
	s_clause 0x3
	global_load_b128 v[8:11], v[126:127], off
	global_load_b128 v[16:19], v[128:129], off
	;; [unrolled: 1-line block ×4, first 2 shown]
	v_dual_mov_b32 v72, 0 :: v_dual_mov_b32 v73, 0
	v_dual_mov_b32 v74, 0 :: v_dual_mov_b32 v75, 0
	s_mul_u64 s[4:5], s[10:11], s[14:15]
	s_delay_alu instid0(SALU_CYCLE_1) | instskip(NEXT) | instid1(SALU_CYCLE_1)
	s_lshl_b64 s[4:5], s[4:5], 2
	s_add_nc_u64 s[2:3], s[26:27], s[4:5]
	s_wait_loadcnt 0x3
	ds_store_b128 v84, v[8:11]
	s_clause 0x1
	global_load_b128 v[8:11], v[134:135], off
	global_load_b128 v[12:15], v[136:137], off
	s_wait_loadcnt 0x4
	ds_store_b128 v125, v[16:19]
	s_clause 0x1
	global_load_b128 v[16:19], v[20:21], off
	global_load_b128 v[126:129], v[22:23], off
	s_wait_xcnt 0x1
	v_add_nc_u32_e32 v20, 0x2200, v84
	s_wait_loadcnt 0x5
	ds_store_b128 v20, v[0:3]
	s_wait_loadcnt 0x4
	ds_store_b128 v87, v[4:7]
	s_wait_loadcnt 0x3
	ds_store_b128 v89, v[8:11]
	s_wait_loadcnt 0x2
	ds_store_b128 v90, v[12:15]
	s_wait_loadcnt 0x1
	ds_store_b128 v92, v[16:19]
	s_wait_loadcnt 0x0
	ds_store_b128 v93, v[126:129]
	s_wait_dscnt 0x0
	s_barrier_signal -1
	s_barrier_wait -1
	ds_load_b128 v[0:3], v94
	ds_load_b128 v[4:7], v80
	ds_load_b128 v[8:11], v80 offset:256
	ds_load_b128 v[12:15], v94 offset:8704
	;; [unrolled: 1-line block ×4, first 2 shown]
	s_wait_dscnt 0x4
	;;#ASMSTART
	v_dot2_f32_f16 v68, v0, v4, v68
	;;#ASMEND
	;;#ASMSTART
	v_dot2_f32_f16 v68, v1, v5, v68
	;;#ASMEND
	;;#ASMSTART
	v_dot2_f32_f16 v68, v2, v6, v68
	;;#ASMEND
	;;#ASMSTART
	v_dot2_f32_f16 v68, v3, v7, v68
	;;#ASMEND
	s_wait_dscnt 0x3
	;;#ASMSTART
	v_dot2_f32_f16 v69, v0, v8, v69
	;;#ASMEND
	;;#ASMSTART
	v_dot2_f32_f16 v69, v1, v9, v69
	;;#ASMEND
	;;#ASMSTART
	v_dot2_f32_f16 v69, v2, v10, v69
	;;#ASMEND
	;;#ASMSTART
	v_dot2_f32_f16 v69, v3, v11, v69
	;;#ASMEND
	;; [unrolled: 13-line block ×3, first 2 shown]
	;;#ASMSTART
	v_dot2_f32_f16 v71, v12, v8, v71
	;;#ASMEND
	;;#ASMSTART
	v_dot2_f32_f16 v71, v13, v9, v71
	;;#ASMEND
	;; [unrolled: 3-line block ×4, first 2 shown]
	s_wait_dscnt 0x1
	;;#ASMSTART
	v_dot2_f32_f16 v72, v16, v4, v72
	;;#ASMEND
	;;#ASMSTART
	v_dot2_f32_f16 v72, v17, v5, v72
	;;#ASMEND
	;; [unrolled: 3-line block ×8, first 2 shown]
	s_wait_dscnt 0x0
	;;#ASMSTART
	v_dot2_f32_f16 v74, v20, v4, v74
	;;#ASMEND
	;;#ASMSTART
	v_dot2_f32_f16 v74, v21, v5, v74
	;;#ASMEND
	;; [unrolled: 3-line block ×8, first 2 shown]
	ds_load_b128 v[0:3], v94 offset:16
	ds_load_b128 v[4:7], v80 offset:16
	;; [unrolled: 1-line block ×6, first 2 shown]
	s_wait_dscnt 0x4
	;;#ASMSTART
	v_dot2_f32_f16 v68, v0, v4, v68
	;;#ASMEND
	;;#ASMSTART
	v_dot2_f32_f16 v68, v1, v5, v68
	;;#ASMEND
	;;#ASMSTART
	v_dot2_f32_f16 v68, v2, v6, v68
	;;#ASMEND
	;;#ASMSTART
	v_dot2_f32_f16 v68, v3, v7, v68
	;;#ASMEND
	s_wait_dscnt 0x3
	;;#ASMSTART
	v_dot2_f32_f16 v69, v0, v8, v69
	;;#ASMEND
	;;#ASMSTART
	v_dot2_f32_f16 v69, v1, v9, v69
	;;#ASMEND
	;;#ASMSTART
	v_dot2_f32_f16 v69, v2, v10, v69
	;;#ASMEND
	;;#ASMSTART
	v_dot2_f32_f16 v69, v3, v11, v69
	;;#ASMEND
	;; [unrolled: 13-line block ×3, first 2 shown]
	;;#ASMSTART
	v_dot2_f32_f16 v71, v12, v8, v71
	;;#ASMEND
	;;#ASMSTART
	v_dot2_f32_f16 v71, v13, v9, v71
	;;#ASMEND
	;; [unrolled: 3-line block ×4, first 2 shown]
	s_wait_dscnt 0x1
	;;#ASMSTART
	v_dot2_f32_f16 v72, v16, v4, v72
	;;#ASMEND
	;;#ASMSTART
	v_dot2_f32_f16 v72, v17, v5, v72
	;;#ASMEND
	;; [unrolled: 3-line block ×8, first 2 shown]
	s_wait_dscnt 0x0
	;;#ASMSTART
	v_dot2_f32_f16 v74, v20, v4, v74
	;;#ASMEND
	;;#ASMSTART
	v_dot2_f32_f16 v74, v21, v5, v74
	;;#ASMEND
	;; [unrolled: 3-line block ×8, first 2 shown]
	ds_load_b128 v[0:3], v94 offset:32
	ds_load_b128 v[4:7], v80 offset:32
	;; [unrolled: 1-line block ×6, first 2 shown]
	s_wait_dscnt 0x4
	;;#ASMSTART
	v_dot2_f32_f16 v68, v0, v4, v68
	;;#ASMEND
	;;#ASMSTART
	v_dot2_f32_f16 v68, v1, v5, v68
	;;#ASMEND
	;;#ASMSTART
	v_dot2_f32_f16 v68, v2, v6, v68
	;;#ASMEND
	;;#ASMSTART
	v_dot2_f32_f16 v68, v3, v7, v68
	;;#ASMEND
	s_wait_dscnt 0x3
	;;#ASMSTART
	v_dot2_f32_f16 v69, v0, v8, v69
	;;#ASMEND
	;;#ASMSTART
	v_dot2_f32_f16 v69, v1, v9, v69
	;;#ASMEND
	;;#ASMSTART
	v_dot2_f32_f16 v69, v2, v10, v69
	;;#ASMEND
	;;#ASMSTART
	v_dot2_f32_f16 v69, v3, v11, v69
	;;#ASMEND
	;; [unrolled: 13-line block ×3, first 2 shown]
	;;#ASMSTART
	v_dot2_f32_f16 v71, v12, v8, v71
	;;#ASMEND
	;;#ASMSTART
	v_dot2_f32_f16 v71, v13, v9, v71
	;;#ASMEND
	;;#ASMSTART
	v_dot2_f32_f16 v71, v14, v10, v71
	;;#ASMEND
	;;#ASMSTART
	v_dot2_f32_f16 v71, v15, v11, v71
	;;#ASMEND
	s_wait_dscnt 0x1
	;;#ASMSTART
	v_dot2_f32_f16 v72, v16, v4, v72
	;;#ASMEND
	;;#ASMSTART
	v_dot2_f32_f16 v72, v17, v5, v72
	;;#ASMEND
	;; [unrolled: 3-line block ×8, first 2 shown]
	s_wait_dscnt 0x0
	;;#ASMSTART
	v_dot2_f32_f16 v74, v20, v4, v74
	;;#ASMEND
	;;#ASMSTART
	v_dot2_f32_f16 v74, v21, v5, v74
	;;#ASMEND
	;; [unrolled: 3-line block ×8, first 2 shown]
	ds_load_b128 v[0:3], v94 offset:48
	ds_load_b128 v[4:7], v80 offset:48
	;; [unrolled: 1-line block ×6, first 2 shown]
	s_wait_dscnt 0x4
	;;#ASMSTART
	v_dot2_f32_f16 v68, v0, v4, v68
	;;#ASMEND
	;;#ASMSTART
	v_dot2_f32_f16 v68, v1, v5, v68
	;;#ASMEND
	;;#ASMSTART
	v_dot2_f32_f16 v68, v2, v6, v68
	;;#ASMEND
	;;#ASMSTART
	v_dot2_f32_f16 v68, v3, v7, v68
	;;#ASMEND
	s_wait_dscnt 0x3
	;;#ASMSTART
	v_dot2_f32_f16 v69, v0, v8, v69
	;;#ASMEND
	;;#ASMSTART
	v_dot2_f32_f16 v69, v1, v9, v69
	;;#ASMEND
	;;#ASMSTART
	v_dot2_f32_f16 v69, v2, v10, v69
	;;#ASMEND
	;;#ASMSTART
	v_dot2_f32_f16 v69, v3, v11, v69
	;;#ASMEND
	s_wait_dscnt 0x2
	;;#ASMSTART
	v_dot2_f32_f16 v70, v12, v4, v70
	;;#ASMEND
	;;#ASMSTART
	v_dot2_f32_f16 v70, v13, v5, v70
	;;#ASMEND
	;;#ASMSTART
	v_dot2_f32_f16 v70, v14, v6, v70
	;;#ASMEND
	;;#ASMSTART
	v_dot2_f32_f16 v70, v15, v7, v70
	;;#ASMEND
	;;#ASMSTART
	v_dot2_f32_f16 v71, v12, v8, v71
	;;#ASMEND
	;;#ASMSTART
	v_dot2_f32_f16 v71, v13, v9, v71
	;;#ASMEND
	;; [unrolled: 3-line block ×4, first 2 shown]
	s_wait_dscnt 0x1
	;;#ASMSTART
	v_dot2_f32_f16 v72, v16, v4, v72
	;;#ASMEND
	;;#ASMSTART
	v_dot2_f32_f16 v72, v17, v5, v72
	;;#ASMEND
	;; [unrolled: 3-line block ×8, first 2 shown]
	s_wait_dscnt 0x0
	;;#ASMSTART
	v_dot2_f32_f16 v74, v20, v4, v74
	;;#ASMEND
	;;#ASMSTART
	v_dot2_f32_f16 v74, v21, v5, v74
	;;#ASMEND
	;; [unrolled: 3-line block ×8, first 2 shown]
	ds_load_b128 v[0:3], v94 offset:64
	ds_load_b128 v[4:7], v80 offset:64
	;; [unrolled: 1-line block ×6, first 2 shown]
	s_wait_dscnt 0x4
	;;#ASMSTART
	v_dot2_f32_f16 v68, v0, v4, v68
	;;#ASMEND
	;;#ASMSTART
	v_dot2_f32_f16 v68, v1, v5, v68
	;;#ASMEND
	;;#ASMSTART
	v_dot2_f32_f16 v68, v2, v6, v68
	;;#ASMEND
	;;#ASMSTART
	v_dot2_f32_f16 v68, v3, v7, v68
	;;#ASMEND
	s_wait_dscnt 0x3
	;;#ASMSTART
	v_dot2_f32_f16 v69, v0, v8, v69
	;;#ASMEND
	;;#ASMSTART
	v_dot2_f32_f16 v69, v1, v9, v69
	;;#ASMEND
	;;#ASMSTART
	v_dot2_f32_f16 v69, v2, v10, v69
	;;#ASMEND
	;;#ASMSTART
	v_dot2_f32_f16 v69, v3, v11, v69
	;;#ASMEND
	;; [unrolled: 13-line block ×3, first 2 shown]
	;;#ASMSTART
	v_dot2_f32_f16 v71, v12, v8, v71
	;;#ASMEND
	;;#ASMSTART
	v_dot2_f32_f16 v71, v13, v9, v71
	;;#ASMEND
	;; [unrolled: 3-line block ×4, first 2 shown]
	s_wait_dscnt 0x1
	;;#ASMSTART
	v_dot2_f32_f16 v72, v16, v4, v72
	;;#ASMEND
	;;#ASMSTART
	v_dot2_f32_f16 v72, v17, v5, v72
	;;#ASMEND
	;; [unrolled: 3-line block ×8, first 2 shown]
	s_wait_dscnt 0x0
	;;#ASMSTART
	v_dot2_f32_f16 v74, v20, v4, v74
	;;#ASMEND
	;;#ASMSTART
	v_dot2_f32_f16 v74, v21, v5, v74
	;;#ASMEND
	;; [unrolled: 3-line block ×8, first 2 shown]
	ds_load_b128 v[0:3], v94 offset:80
	ds_load_b128 v[4:7], v80 offset:80
	;; [unrolled: 1-line block ×6, first 2 shown]
	s_wait_dscnt 0x4
	;;#ASMSTART
	v_dot2_f32_f16 v68, v0, v4, v68
	;;#ASMEND
	;;#ASMSTART
	v_dot2_f32_f16 v68, v1, v5, v68
	;;#ASMEND
	;;#ASMSTART
	v_dot2_f32_f16 v68, v2, v6, v68
	;;#ASMEND
	;;#ASMSTART
	v_dot2_f32_f16 v68, v3, v7, v68
	;;#ASMEND
	s_wait_dscnt 0x3
	;;#ASMSTART
	v_dot2_f32_f16 v69, v0, v8, v69
	;;#ASMEND
	;;#ASMSTART
	v_dot2_f32_f16 v69, v1, v9, v69
	;;#ASMEND
	;;#ASMSTART
	v_dot2_f32_f16 v69, v2, v10, v69
	;;#ASMEND
	;;#ASMSTART
	v_dot2_f32_f16 v69, v3, v11, v69
	;;#ASMEND
	;; [unrolled: 13-line block ×3, first 2 shown]
	;;#ASMSTART
	v_dot2_f32_f16 v71, v12, v8, v71
	;;#ASMEND
	;;#ASMSTART
	v_dot2_f32_f16 v71, v13, v9, v71
	;;#ASMEND
	;; [unrolled: 3-line block ×4, first 2 shown]
	s_wait_dscnt 0x1
	;;#ASMSTART
	v_dot2_f32_f16 v72, v16, v4, v72
	;;#ASMEND
	;;#ASMSTART
	v_dot2_f32_f16 v72, v17, v5, v72
	;;#ASMEND
	;; [unrolled: 3-line block ×8, first 2 shown]
	s_wait_dscnt 0x0
	;;#ASMSTART
	v_dot2_f32_f16 v74, v20, v4, v74
	;;#ASMEND
	;;#ASMSTART
	v_dot2_f32_f16 v74, v21, v5, v74
	;;#ASMEND
	;; [unrolled: 3-line block ×8, first 2 shown]
	ds_load_b128 v[0:3], v94 offset:96
	ds_load_b128 v[4:7], v80 offset:96
	;; [unrolled: 1-line block ×6, first 2 shown]
	s_wait_dscnt 0x4
	;;#ASMSTART
	v_dot2_f32_f16 v68, v0, v4, v68
	;;#ASMEND
	;;#ASMSTART
	v_dot2_f32_f16 v68, v1, v5, v68
	;;#ASMEND
	;;#ASMSTART
	v_dot2_f32_f16 v68, v2, v6, v68
	;;#ASMEND
	;;#ASMSTART
	v_dot2_f32_f16 v68, v3, v7, v68
	;;#ASMEND
	s_wait_dscnt 0x3
	;;#ASMSTART
	v_dot2_f32_f16 v69, v0, v8, v69
	;;#ASMEND
	;;#ASMSTART
	v_dot2_f32_f16 v69, v1, v9, v69
	;;#ASMEND
	;;#ASMSTART
	v_dot2_f32_f16 v69, v2, v10, v69
	;;#ASMEND
	;;#ASMSTART
	v_dot2_f32_f16 v69, v3, v11, v69
	;;#ASMEND
	;; [unrolled: 13-line block ×3, first 2 shown]
	;;#ASMSTART
	v_dot2_f32_f16 v71, v12, v8, v71
	;;#ASMEND
	;;#ASMSTART
	v_dot2_f32_f16 v71, v13, v9, v71
	;;#ASMEND
	;; [unrolled: 3-line block ×4, first 2 shown]
	s_wait_dscnt 0x1
	;;#ASMSTART
	v_dot2_f32_f16 v72, v16, v4, v72
	;;#ASMEND
	;;#ASMSTART
	v_dot2_f32_f16 v72, v17, v5, v72
	;;#ASMEND
	;; [unrolled: 3-line block ×8, first 2 shown]
	s_wait_dscnt 0x0
	;;#ASMSTART
	v_dot2_f32_f16 v74, v20, v4, v74
	;;#ASMEND
	;;#ASMSTART
	v_dot2_f32_f16 v74, v21, v5, v74
	;;#ASMEND
	;; [unrolled: 3-line block ×8, first 2 shown]
	ds_load_b128 v[0:3], v94 offset:112
	ds_load_b128 v[4:7], v80 offset:112
	;; [unrolled: 1-line block ×6, first 2 shown]
	s_wait_dscnt 0x4
	;;#ASMSTART
	v_dot2_f32_f16 v68, v0, v4, v68
	;;#ASMEND
	;;#ASMSTART
	v_dot2_f32_f16 v68, v1, v5, v68
	;;#ASMEND
	;;#ASMSTART
	v_dot2_f32_f16 v68, v2, v6, v68
	;;#ASMEND
	;;#ASMSTART
	v_dot2_f32_f16 v68, v3, v7, v68
	;;#ASMEND
	s_wait_dscnt 0x3
	;;#ASMSTART
	v_dot2_f32_f16 v69, v0, v8, v69
	;;#ASMEND
	;;#ASMSTART
	v_dot2_f32_f16 v69, v1, v9, v69
	;;#ASMEND
	;;#ASMSTART
	v_dot2_f32_f16 v69, v2, v10, v69
	;;#ASMEND
	;;#ASMSTART
	v_dot2_f32_f16 v69, v3, v11, v69
	;;#ASMEND
	;; [unrolled: 13-line block ×3, first 2 shown]
	;;#ASMSTART
	v_dot2_f32_f16 v71, v12, v8, v71
	;;#ASMEND
	;;#ASMSTART
	v_dot2_f32_f16 v71, v13, v9, v71
	;;#ASMEND
	;; [unrolled: 3-line block ×4, first 2 shown]
	s_wait_dscnt 0x1
	;;#ASMSTART
	v_dot2_f32_f16 v72, v16, v4, v72
	;;#ASMEND
	;;#ASMSTART
	v_dot2_f32_f16 v72, v17, v5, v72
	;;#ASMEND
	;; [unrolled: 3-line block ×8, first 2 shown]
	s_wait_dscnt 0x0
	;;#ASMSTART
	v_dot2_f32_f16 v74, v20, v4, v74
	;;#ASMEND
	;;#ASMSTART
	v_dot2_f32_f16 v74, v21, v5, v74
	;;#ASMEND
	;; [unrolled: 3-line block ×8, first 2 shown]
	ds_load_b128 v[0:3], v94 offset:128
	ds_load_b128 v[4:7], v80 offset:128
	;; [unrolled: 1-line block ×6, first 2 shown]
	s_wait_dscnt 0x4
	;;#ASMSTART
	v_dot2_f32_f16 v68, v0, v4, v68
	;;#ASMEND
	;;#ASMSTART
	v_dot2_f32_f16 v68, v1, v5, v68
	;;#ASMEND
	;;#ASMSTART
	v_dot2_f32_f16 v68, v2, v6, v68
	;;#ASMEND
	;;#ASMSTART
	v_dot2_f32_f16 v68, v3, v7, v68
	;;#ASMEND
	s_wait_dscnt 0x3
	;;#ASMSTART
	v_dot2_f32_f16 v69, v0, v8, v69
	;;#ASMEND
	;;#ASMSTART
	v_dot2_f32_f16 v69, v1, v9, v69
	;;#ASMEND
	;;#ASMSTART
	v_dot2_f32_f16 v69, v2, v10, v69
	;;#ASMEND
	;;#ASMSTART
	v_dot2_f32_f16 v69, v3, v11, v69
	;;#ASMEND
	;; [unrolled: 13-line block ×3, first 2 shown]
	;;#ASMSTART
	v_dot2_f32_f16 v71, v12, v8, v71
	;;#ASMEND
	;;#ASMSTART
	v_dot2_f32_f16 v71, v13, v9, v71
	;;#ASMEND
	;; [unrolled: 3-line block ×4, first 2 shown]
	s_wait_dscnt 0x1
	;;#ASMSTART
	v_dot2_f32_f16 v72, v16, v4, v72
	;;#ASMEND
	;;#ASMSTART
	v_dot2_f32_f16 v72, v17, v5, v72
	;;#ASMEND
	;;#ASMSTART
	v_dot2_f32_f16 v72, v18, v6, v72
	;;#ASMEND
	;;#ASMSTART
	v_dot2_f32_f16 v72, v19, v7, v72
	;;#ASMEND
	;;#ASMSTART
	v_dot2_f32_f16 v73, v16, v8, v73
	;;#ASMEND
	;;#ASMSTART
	v_dot2_f32_f16 v73, v17, v9, v73
	;;#ASMEND
	;;#ASMSTART
	v_dot2_f32_f16 v73, v18, v10, v73
	;;#ASMEND
	;;#ASMSTART
	v_dot2_f32_f16 v73, v19, v11, v73
	;;#ASMEND
	s_wait_dscnt 0x0
	;;#ASMSTART
	v_dot2_f32_f16 v74, v20, v4, v74
	;;#ASMEND
	;;#ASMSTART
	v_dot2_f32_f16 v74, v21, v5, v74
	;;#ASMEND
	;; [unrolled: 3-line block ×8, first 2 shown]
	ds_load_b128 v[0:3], v94 offset:144
	ds_load_b128 v[4:7], v80 offset:144
	;; [unrolled: 1-line block ×6, first 2 shown]
	s_wait_dscnt 0x4
	;;#ASMSTART
	v_dot2_f32_f16 v68, v0, v4, v68
	;;#ASMEND
	;;#ASMSTART
	v_dot2_f32_f16 v68, v1, v5, v68
	;;#ASMEND
	;;#ASMSTART
	v_dot2_f32_f16 v68, v2, v6, v68
	;;#ASMEND
	;;#ASMSTART
	v_dot2_f32_f16 v68, v3, v7, v68
	;;#ASMEND
	s_wait_dscnt 0x3
	;;#ASMSTART
	v_dot2_f32_f16 v69, v0, v8, v69
	;;#ASMEND
	;;#ASMSTART
	v_dot2_f32_f16 v69, v1, v9, v69
	;;#ASMEND
	;;#ASMSTART
	v_dot2_f32_f16 v69, v2, v10, v69
	;;#ASMEND
	;;#ASMSTART
	v_dot2_f32_f16 v69, v3, v11, v69
	;;#ASMEND
	;; [unrolled: 13-line block ×3, first 2 shown]
	;;#ASMSTART
	v_dot2_f32_f16 v71, v12, v8, v71
	;;#ASMEND
	;;#ASMSTART
	v_dot2_f32_f16 v71, v13, v9, v71
	;;#ASMEND
	;;#ASMSTART
	v_dot2_f32_f16 v71, v14, v10, v71
	;;#ASMEND
	;;#ASMSTART
	v_dot2_f32_f16 v71, v15, v11, v71
	;;#ASMEND
	s_wait_dscnt 0x1
	;;#ASMSTART
	v_dot2_f32_f16 v72, v16, v4, v72
	;;#ASMEND
	;;#ASMSTART
	v_dot2_f32_f16 v72, v17, v5, v72
	;;#ASMEND
	;;#ASMSTART
	v_dot2_f32_f16 v72, v18, v6, v72
	;;#ASMEND
	;;#ASMSTART
	v_dot2_f32_f16 v72, v19, v7, v72
	;;#ASMEND
	;;#ASMSTART
	v_dot2_f32_f16 v73, v16, v8, v73
	;;#ASMEND
	;;#ASMSTART
	v_dot2_f32_f16 v73, v17, v9, v73
	;;#ASMEND
	;;#ASMSTART
	v_dot2_f32_f16 v73, v18, v10, v73
	;;#ASMEND
	;;#ASMSTART
	v_dot2_f32_f16 v73, v19, v11, v73
	;;#ASMEND
	s_wait_dscnt 0x0
	;;#ASMSTART
	v_dot2_f32_f16 v74, v20, v4, v74
	;;#ASMEND
	;;#ASMSTART
	v_dot2_f32_f16 v74, v21, v5, v74
	;;#ASMEND
	;; [unrolled: 3-line block ×8, first 2 shown]
	ds_load_b128 v[0:3], v94 offset:160
	ds_load_b128 v[4:7], v80 offset:160
	;; [unrolled: 1-line block ×6, first 2 shown]
	s_wait_dscnt 0x4
	;;#ASMSTART
	v_dot2_f32_f16 v68, v0, v4, v68
	;;#ASMEND
	;;#ASMSTART
	v_dot2_f32_f16 v68, v1, v5, v68
	;;#ASMEND
	;;#ASMSTART
	v_dot2_f32_f16 v68, v2, v6, v68
	;;#ASMEND
	;;#ASMSTART
	v_dot2_f32_f16 v68, v3, v7, v68
	;;#ASMEND
	s_wait_dscnt 0x3
	;;#ASMSTART
	v_dot2_f32_f16 v69, v0, v8, v69
	;;#ASMEND
	;;#ASMSTART
	v_dot2_f32_f16 v69, v1, v9, v69
	;;#ASMEND
	;;#ASMSTART
	v_dot2_f32_f16 v69, v2, v10, v69
	;;#ASMEND
	;;#ASMSTART
	v_dot2_f32_f16 v69, v3, v11, v69
	;;#ASMEND
	;; [unrolled: 13-line block ×3, first 2 shown]
	;;#ASMSTART
	v_dot2_f32_f16 v71, v12, v8, v71
	;;#ASMEND
	;;#ASMSTART
	v_dot2_f32_f16 v71, v13, v9, v71
	;;#ASMEND
	;; [unrolled: 3-line block ×4, first 2 shown]
	s_wait_dscnt 0x1
	;;#ASMSTART
	v_dot2_f32_f16 v72, v16, v4, v72
	;;#ASMEND
	;;#ASMSTART
	v_dot2_f32_f16 v72, v17, v5, v72
	;;#ASMEND
	;; [unrolled: 3-line block ×8, first 2 shown]
	s_wait_dscnt 0x0
	;;#ASMSTART
	v_dot2_f32_f16 v74, v20, v4, v74
	;;#ASMEND
	;;#ASMSTART
	v_dot2_f32_f16 v74, v21, v5, v74
	;;#ASMEND
	;; [unrolled: 3-line block ×8, first 2 shown]
	ds_load_b128 v[0:3], v94 offset:176
	ds_load_b128 v[4:7], v80 offset:176
	;; [unrolled: 1-line block ×6, first 2 shown]
	s_wait_dscnt 0x4
	;;#ASMSTART
	v_dot2_f32_f16 v68, v0, v4, v68
	;;#ASMEND
	;;#ASMSTART
	v_dot2_f32_f16 v68, v1, v5, v68
	;;#ASMEND
	;;#ASMSTART
	v_dot2_f32_f16 v68, v2, v6, v68
	;;#ASMEND
	;;#ASMSTART
	v_dot2_f32_f16 v68, v3, v7, v68
	;;#ASMEND
	s_wait_dscnt 0x3
	;;#ASMSTART
	v_dot2_f32_f16 v69, v0, v8, v69
	;;#ASMEND
	;;#ASMSTART
	v_dot2_f32_f16 v69, v1, v9, v69
	;;#ASMEND
	;;#ASMSTART
	v_dot2_f32_f16 v69, v2, v10, v69
	;;#ASMEND
	;;#ASMSTART
	v_dot2_f32_f16 v69, v3, v11, v69
	;;#ASMEND
	;; [unrolled: 13-line block ×3, first 2 shown]
	;;#ASMSTART
	v_dot2_f32_f16 v71, v12, v8, v71
	;;#ASMEND
	;;#ASMSTART
	v_dot2_f32_f16 v71, v13, v9, v71
	;;#ASMEND
	;; [unrolled: 3-line block ×4, first 2 shown]
	s_wait_dscnt 0x1
	;;#ASMSTART
	v_dot2_f32_f16 v72, v16, v4, v72
	;;#ASMEND
	;;#ASMSTART
	v_dot2_f32_f16 v72, v17, v5, v72
	;;#ASMEND
	;; [unrolled: 3-line block ×8, first 2 shown]
	s_wait_dscnt 0x0
	;;#ASMSTART
	v_dot2_f32_f16 v74, v20, v4, v74
	;;#ASMEND
	;;#ASMSTART
	v_dot2_f32_f16 v74, v21, v5, v74
	;;#ASMEND
	;; [unrolled: 3-line block ×8, first 2 shown]
	ds_load_b128 v[0:3], v94 offset:192
	ds_load_b128 v[4:7], v80 offset:192
	ds_load_b128 v[8:11], v80 offset:448
	ds_load_b128 v[12:15], v94 offset:8896
	ds_load_b128 v[16:19], v94 offset:17600
	ds_load_b128 v[20:23], v94 offset:26304
	s_wait_dscnt 0x4
	;;#ASMSTART
	v_dot2_f32_f16 v68, v0, v4, v68
	;;#ASMEND
	;;#ASMSTART
	v_dot2_f32_f16 v68, v1, v5, v68
	;;#ASMEND
	;;#ASMSTART
	v_dot2_f32_f16 v68, v2, v6, v68
	;;#ASMEND
	;;#ASMSTART
	v_dot2_f32_f16 v68, v3, v7, v68
	;;#ASMEND
	s_wait_dscnt 0x3
	;;#ASMSTART
	v_dot2_f32_f16 v69, v0, v8, v69
	;;#ASMEND
	;;#ASMSTART
	v_dot2_f32_f16 v69, v1, v9, v69
	;;#ASMEND
	;;#ASMSTART
	v_dot2_f32_f16 v69, v2, v10, v69
	;;#ASMEND
	;;#ASMSTART
	v_dot2_f32_f16 v69, v3, v11, v69
	;;#ASMEND
	;; [unrolled: 13-line block ×3, first 2 shown]
	;;#ASMSTART
	v_dot2_f32_f16 v71, v12, v8, v71
	;;#ASMEND
	;;#ASMSTART
	v_dot2_f32_f16 v71, v13, v9, v71
	;;#ASMEND
	;; [unrolled: 3-line block ×4, first 2 shown]
	s_wait_dscnt 0x1
	;;#ASMSTART
	v_dot2_f32_f16 v72, v16, v4, v72
	;;#ASMEND
	;;#ASMSTART
	v_dot2_f32_f16 v72, v17, v5, v72
	;;#ASMEND
	;; [unrolled: 3-line block ×8, first 2 shown]
	s_wait_dscnt 0x0
	;;#ASMSTART
	v_dot2_f32_f16 v74, v20, v4, v74
	;;#ASMEND
	;;#ASMSTART
	v_dot2_f32_f16 v74, v21, v5, v74
	;;#ASMEND
	;; [unrolled: 3-line block ×8, first 2 shown]
	ds_load_b128 v[0:3], v94 offset:208
	ds_load_b128 v[4:7], v80 offset:208
	ds_load_b128 v[8:11], v80 offset:464
	ds_load_b128 v[12:15], v94 offset:8912
	ds_load_b128 v[16:19], v94 offset:17616
	ds_load_b128 v[20:23], v94 offset:26320
	s_wait_dscnt 0x4
	;;#ASMSTART
	v_dot2_f32_f16 v68, v0, v4, v68
	;;#ASMEND
	;;#ASMSTART
	v_dot2_f32_f16 v68, v1, v5, v68
	;;#ASMEND
	;;#ASMSTART
	v_dot2_f32_f16 v68, v2, v6, v68
	;;#ASMEND
	;;#ASMSTART
	v_dot2_f32_f16 v68, v3, v7, v68
	;;#ASMEND
	s_wait_dscnt 0x3
	;;#ASMSTART
	v_dot2_f32_f16 v69, v0, v8, v69
	;;#ASMEND
	;;#ASMSTART
	v_dot2_f32_f16 v69, v1, v9, v69
	;;#ASMEND
	;;#ASMSTART
	v_dot2_f32_f16 v69, v2, v10, v69
	;;#ASMEND
	;;#ASMSTART
	v_dot2_f32_f16 v69, v3, v11, v69
	;;#ASMEND
	;; [unrolled: 13-line block ×3, first 2 shown]
	;;#ASMSTART
	v_dot2_f32_f16 v71, v12, v8, v71
	;;#ASMEND
	;;#ASMSTART
	v_dot2_f32_f16 v71, v13, v9, v71
	;;#ASMEND
	;; [unrolled: 3-line block ×4, first 2 shown]
	s_wait_dscnt 0x1
	;;#ASMSTART
	v_dot2_f32_f16 v72, v16, v4, v72
	;;#ASMEND
	;;#ASMSTART
	v_dot2_f32_f16 v72, v17, v5, v72
	;;#ASMEND
	;; [unrolled: 3-line block ×8, first 2 shown]
	s_wait_dscnt 0x0
	;;#ASMSTART
	v_dot2_f32_f16 v74, v20, v4, v74
	;;#ASMEND
	;;#ASMSTART
	v_dot2_f32_f16 v74, v21, v5, v74
	;;#ASMEND
	;; [unrolled: 3-line block ×8, first 2 shown]
	ds_load_b128 v[0:3], v94 offset:224
	ds_load_b128 v[4:7], v80 offset:224
	;; [unrolled: 1-line block ×6, first 2 shown]
	s_wait_dscnt 0x4
	;;#ASMSTART
	v_dot2_f32_f16 v68, v0, v4, v68
	;;#ASMEND
	;;#ASMSTART
	v_dot2_f32_f16 v68, v1, v5, v68
	;;#ASMEND
	;;#ASMSTART
	v_dot2_f32_f16 v68, v2, v6, v68
	;;#ASMEND
	;;#ASMSTART
	v_dot2_f32_f16 v68, v3, v7, v68
	;;#ASMEND
	s_wait_dscnt 0x3
	;;#ASMSTART
	v_dot2_f32_f16 v69, v0, v8, v69
	;;#ASMEND
	;;#ASMSTART
	v_dot2_f32_f16 v69, v1, v9, v69
	;;#ASMEND
	;;#ASMSTART
	v_dot2_f32_f16 v69, v2, v10, v69
	;;#ASMEND
	;;#ASMSTART
	v_dot2_f32_f16 v69, v3, v11, v69
	;;#ASMEND
	;; [unrolled: 13-line block ×3, first 2 shown]
	;;#ASMSTART
	v_dot2_f32_f16 v71, v12, v8, v71
	;;#ASMEND
	;;#ASMSTART
	v_dot2_f32_f16 v71, v13, v9, v71
	;;#ASMEND
	;; [unrolled: 3-line block ×4, first 2 shown]
	s_wait_dscnt 0x1
	;;#ASMSTART
	v_dot2_f32_f16 v72, v16, v4, v72
	;;#ASMEND
	;;#ASMSTART
	v_dot2_f32_f16 v72, v17, v5, v72
	;;#ASMEND
	;; [unrolled: 3-line block ×8, first 2 shown]
	s_wait_dscnt 0x0
	;;#ASMSTART
	v_dot2_f32_f16 v74, v20, v4, v74
	;;#ASMEND
	;;#ASMSTART
	v_dot2_f32_f16 v74, v21, v5, v74
	;;#ASMEND
	;; [unrolled: 3-line block ×8, first 2 shown]
	ds_load_b128 v[20:23], v94 offset:240
	ds_load_b128 v[8:11], v80 offset:240
	;; [unrolled: 1-line block ×6, first 2 shown]
	s_wait_dscnt 0x4
	;;#ASMSTART
	v_dot2_f32_f16 v68, v20, v8, v68
	;;#ASMEND
	;;#ASMSTART
	v_dot2_f32_f16 v68, v21, v9, v68
	;;#ASMEND
	;;#ASMSTART
	v_dot2_f32_f16 v68, v22, v10, v68
	;;#ASMEND
	;;#ASMSTART
	v_dot2_f32_f16 v68, v23, v11, v68
	;;#ASMEND
	s_wait_dscnt 0x3
	;;#ASMSTART
	v_dot2_f32_f16 v69, v20, v0, v69
	;;#ASMEND
	;;#ASMSTART
	v_dot2_f32_f16 v69, v21, v1, v69
	;;#ASMEND
	;;#ASMSTART
	v_dot2_f32_f16 v69, v22, v2, v69
	;;#ASMEND
	;;#ASMSTART
	v_dot2_f32_f16 v69, v23, v3, v69
	;;#ASMEND
	;; [unrolled: 13-line block ×3, first 2 shown]
	;;#ASMSTART
	v_dot2_f32_f16 v71, v16, v0, v71
	;;#ASMEND
	;;#ASMSTART
	v_dot2_f32_f16 v71, v17, v1, v71
	;;#ASMEND
	;; [unrolled: 3-line block ×4, first 2 shown]
	s_wait_dscnt 0x1
	;;#ASMSTART
	v_dot2_f32_f16 v72, v12, v8, v72
	;;#ASMEND
	;;#ASMSTART
	v_dot2_f32_f16 v72, v13, v9, v72
	;;#ASMEND
	;; [unrolled: 3-line block ×8, first 2 shown]
	s_wait_dscnt 0x0
	;;#ASMSTART
	v_dot2_f32_f16 v74, v4, v8, v74
	;;#ASMEND
	;;#ASMSTART
	v_dot2_f32_f16 v74, v5, v9, v74
	;;#ASMEND
	;; [unrolled: 3-line block ×8, first 2 shown]
	s_clause 0x3
	global_load_u16 v0, v24, s[36:37] scale_offset
	global_load_u16 v1, v24, s[36:37] offset:64 scale_offset
	global_load_u16 v2, v24, s[36:37] offset:128 scale_offset
	;; [unrolled: 1-line block ×3, first 2 shown]
	v_lshl_add_u64 v[20:21], v[36:37], 2, s[2:3]
	v_lshl_add_u64 v[22:23], v[44:45], 2, s[2:3]
	;; [unrolled: 1-line block ×5, first 2 shown]
	s_wait_loadcnt 0x0
	s_barrier_signal -1
	s_barrier_wait -1
	v_lshl_add_u64 v[12:13], v[56:57], 2, s[2:3]
	s_delay_alu instid0(VALU_DEP_1) | instskip(SKIP_4) | instid1(VALU_DEP_4)
	v_add_nc_u64_e32 v[12:13], v[12:13], v[38:39]
	v_cvt_f32_f16_e32 v0, v0
	v_cvt_f32_f16_e32 v1, v1
	;; [unrolled: 1-line block ×4, first 2 shown]
	v_dual_add_f32 v4, v68, v0 :: v_dual_add_f32 v0, v69, v0
	s_delay_alu instid0(VALU_DEP_3) | instskip(NEXT) | instid1(VALU_DEP_3)
	v_dual_add_f32 v5, v70, v1 :: v_dual_add_f32 v6, v72, v2
	v_dual_add_f32 v7, v74, v3 :: v_dual_add_f32 v1, v71, v1
	;; [unrolled: 1-line block ×3, first 2 shown]
	s_delay_alu instid0(VALU_DEP_3) | instskip(NEXT) | instid1(VALU_DEP_3)
	v_dual_add_f32 v8, 0x40051340, v4 :: v_dual_add_f32 v9, 0x40051340, v5
	v_dual_add_f32 v10, 0x40051340, v6 :: v_dual_add_f32 v11, 0x40051340, v7
	s_wait_xcnt 0x0
	v_add_f32_e32 v24, 0x40051340, v0
	v_dual_add_f32 v68, 0x40051340, v1 :: v_dual_add_f32 v69, 0x40051340, v2
	v_max3_num_f32 v8, v26, v8, v9
	v_add_f32_e32 v70, 0x40051340, v3
	s_delay_alu instid0(VALU_DEP_3) | instskip(NEXT) | instid1(VALU_DEP_3)
	v_max3_num_f32 v9, v27, v24, v68
	v_max3_num_f32 v8, v8, v10, v11
	s_delay_alu instid0(VALU_DEP_2) | instskip(SKIP_4) | instid1(VALU_DEP_1)
	v_max3_num_f32 v9, v9, v69, v70
	ds_bpermute_b32 v10, v67, v8
	ds_bpermute_b32 v11, v67, v9
	s_wait_dscnt 0x0
	v_dual_max_num_f32 v10, v10, v10 :: v_dual_max_num_f32 v11, v11, v11
	v_dual_max_num_f32 v8, v8, v10 :: v_dual_max_num_f32 v9, v9, v11
	ds_bpermute_b32 v10, v66, v8
	ds_bpermute_b32 v11, v66, v9
	s_wait_dscnt 0x0
	v_dual_max_num_f32 v10, v10, v10 :: v_dual_max_num_f32 v11, v11, v11
	s_delay_alu instid0(VALU_DEP_1) | instskip(SKIP_4) | instid1(VALU_DEP_1)
	v_dual_max_num_f32 v8, v8, v10 :: v_dual_max_num_f32 v9, v9, v11
	ds_bpermute_b32 v10, v65, v8
	ds_bpermute_b32 v11, v65, v9
	s_wait_dscnt 0x0
	v_dual_max_num_f32 v10, v10, v10 :: v_dual_max_num_f32 v11, v11, v11
	v_dual_max_num_f32 v8, v8, v10 :: v_dual_max_num_f32 v9, v9, v11
	ds_bpermute_b32 v10, v64, v8
	ds_bpermute_b32 v11, v64, v9
	s_wait_dscnt 0x0
	v_dual_max_num_f32 v10, v10, v10 :: v_dual_max_num_f32 v11, v11, v11
	s_delay_alu instid0(VALU_DEP_1) | instskip(SKIP_4) | instid1(VALU_DEP_1)
	v_dual_max_num_f32 v8, v8, v10 :: v_dual_max_num_f32 v9, v9, v11
	ds_bpermute_b32 v10, v25, v8
	ds_bpermute_b32 v11, v25, v9
	s_wait_dscnt 0x0
	v_dual_max_num_f32 v10, v10, v10 :: v_dual_max_num_f32 v11, v11, v11
	v_dual_max_num_f32 v64, v8, v10 :: v_dual_max_num_f32 v65, v9, v11
	s_delay_alu instid0(VALU_DEP_1) | instskip(NEXT) | instid1(VALU_DEP_2)
	v_dual_sub_f32 v66, v4, v64 :: v_dual_sub_f32 v67, v5, v64
	v_dual_sub_f32 v70, v6, v64 :: v_dual_sub_f32 v68, v0, v65
	;; [unrolled: 1-line block ×3, first 2 shown]
	s_delay_alu instid0(VALU_DEP_3) | instskip(SKIP_1) | instid1(VALU_DEP_4)
	v_dual_mul_f32 v0, 0x3fb8aa3b, v66 :: v_dual_mul_f32 v1, 0x3fb8aa3b, v67
	v_dual_sub_f32 v71, v7, v64 :: v_dual_sub_f32 v72, v2, v65
	v_mul_f32_e32 v2, 0x3fb8aa3b, v68
	s_delay_alu instid0(VALU_DEP_3) | instskip(SKIP_4) | instid1(VALU_DEP_3)
	v_fma_f32 v8, 0x3fb8aa3b, v66, -v0
	v_rndne_f32_e32 v25, v0
	v_fma_f32 v9, 0x3fb8aa3b, v67, -v1
	v_rndne_f32_e32 v125, v1
	v_dual_mul_f32 v3, 0x3fb8aa3b, v69 :: v_dual_mul_f32 v4, 0x3fb8aa3b, v70
	v_dual_fmac_f32 v8, 0x32a5705f, v66 :: v_dual_fmac_f32 v9, 0x32a5705f, v67
	v_sub_f32_e32 v0, v0, v25
	v_mul_f32_e32 v7, 0x3fb8aa3b, v73
	v_fma_f32 v10, 0x3fb8aa3b, v68, -v2
	v_sub_f32_e32 v1, v1, v125
	v_dual_mul_f32 v5, 0x3fb8aa3b, v71 :: v_dual_mul_f32 v6, 0x3fb8aa3b, v72
	v_add_f32_e32 v0, v0, v8
	v_rndne_f32_e32 v8, v2
	v_fma_f32 v11, 0x3fb8aa3b, v69, -v3
	v_rndne_f32_e32 v126, v3
	v_dual_fmac_f32 v10, 0x32a5705f, v68 :: v_dual_add_f32 v9, v1, v9
	s_delay_alu instid0(VALU_DEP_4)
	v_sub_f32_e32 v1, v2, v8
	v_fma_f32 v24, 0x3fb8aa3b, v70, -v4
	v_fma_f32 v74, 0x3fb8aa3b, v71, -v5
	v_fma_f32 v75, 0x3fb8aa3b, v72, -v6
	v_rndne_f32_e32 v127, v4
	v_dual_add_f32 v2, v1, v10 :: v_dual_fmac_f32 v11, 0x32a5705f, v69
	v_fmac_f32_e32 v24, 0x32a5705f, v70
	v_dual_sub_f32 v1, v3, v126 :: v_dual_fmac_f32 v74, 0x32a5705f, v71
	v_rndne_f32_e32 v131, v6
	v_rndne_f32_e32 v130, v5
	;; [unrolled: 1-line block ×3, first 2 shown]
	s_delay_alu instid0(VALU_DEP_4)
	v_add_f32_e32 v128, v1, v11
	v_sub_f32_e32 v1, v4, v127
	v_dual_sub_f32 v3, v6, v131 :: v_dual_sub_f32 v27, v27, v65
	v_fmac_f32_e32 v75, 0x32a5705f, v72
	v_cmp_ngt_f32_e32 vcc_lo, 0xc2ce8ed0, v67
	v_exp_f32_e32 v0, v0
	v_cvt_i32_f32_e32 v4, v25
	v_exp_f32_e32 v2, v2
	v_add_f32_e32 v75, v3, v75
	v_sub_f32_e32 v3, v7, v132
	v_add_f32_e32 v129, v1, v24
	v_sub_f32_e32 v1, v5, v130
	v_exp_f32_e32 v5, v9
	v_ldexp_f32 v134, v0, v4
	v_cvt_i32_f32_e32 v4, v8
	v_add_nc_u64_e32 v[8:9], v[16:17], v[38:39]
	v_add_f32_e32 v74, v1, v74
	v_fma_f32 v1, 0x3fb8aa3b, v73, -v7
	v_add_nc_u64_e32 v[6:7], v[22:23], v[38:39]
	v_ldexp_f32 v135, v2, v4
	v_add_nc_u64_e32 v[16:17], v[14:15], v[38:39]
	v_add_nc_u64_e32 v[10:11], v[18:19], v[38:39]
	v_fmac_f32_e32 v1, 0x32a5705f, v73
	v_cmp_ngt_f32_e64 s5, 0xc2ce8ed0, v70
	v_cmp_ngt_f32_e64 s8, 0xc2ce8ed0, v66
	;; [unrolled: 1-line block ×4, first 2 shown]
	v_add_f32_e32 v133, v3, v1
	v_cvt_i32_f32_e32 v3, v125
	v_lshl_add_u64 v[0:1], v[60:61], 2, s[2:3]
	v_cmp_ngt_f32_e64 s7, 0xc2ce8ed0, v73
	s_delay_alu instid0(VALU_DEP_3)
	v_ldexp_f32 v125, v5, v3
	v_lshl_add_u64 v[2:3], v[62:63], 2, s[2:3]
	v_add_nc_u64_e32 v[4:5], v[20:21], v[38:39]
	v_add_nc_u64_e32 v[20:21], v[0:1], v[38:39]
	v_cvt_i32_f32_e32 v0, v126
	v_cvt_i32_f32_e32 v1, v127
	v_add_nc_u64_e32 v[24:25], v[2:3], v[38:39]
	v_exp_f32_e32 v2, v128
	v_exp_f32_e32 v3, v129
	global_load_b128 v[126:129], v[4:5], off
	v_cmp_ngt_f32_e64 s2, 0xc2ce8ed0, v69
	v_cmp_ngt_f32_e64 s3, 0xc2ce8ed0, v68
	v_cndmask_b32_e32 v23, 0, v125, vcc_lo
	v_cmp_nlt_f32_e32 vcc_lo, 0x42b17218, v67
	v_ldexp_f32 v14, v2, v0
	v_ldexp_f32 v15, v3, v1
	v_exp_f32_e32 v2, v74
	v_exp_f32_e32 v3, v75
	v_cvt_i32_f32_e32 v0, v130
	v_cvt_i32_f32_e32 v1, v131
	v_sub_f32_e32 v74, v26, v64
	s_delay_alu instid0(TRANS32_DEP_2) | instid1(VALU_DEP_3)
	v_ldexp_f32 v18, v2, v0
	s_delay_alu instid0(TRANS32_DEP_1) | instid1(VALU_DEP_3)
	v_ldexp_f32 v19, v3, v1
	global_load_b128 v[0:3], v[6:7], off
	s_wait_xcnt 0x1
	v_exp_f32_e32 v5, v133
	v_cvt_i32_f32_e32 v4, v132
	v_dual_cndmask_b32 v67, 0, v135, s3 :: v_dual_cndmask_b32 v18, 0, v18, s4
	v_cmp_nlt_f32_e64 s3, 0x42b17218, v68
	v_cndmask_b32_e64 v68, 0, v14, s2
	v_cmp_nlt_f32_e64 s2, 0x42b17218, v69
	s_delay_alu instid0(TRANS32_DEP_1)
	v_ldexp_f32 v22, v5, v4
	v_cndmask_b32_e64 v69, 0, v15, s5
	v_cmp_nlt_f32_e64 s5, 0x42b17218, v70
	v_cndmask_b32_e64 v70, 0, v134, s8
	v_cmp_nlt_f32_e64 s8, 0x42b17218, v66
	v_cmp_nlt_f32_e64 s4, 0x42b17218, v71
	v_dual_cndmask_b32 v19, 0, v19, s6 :: v_dual_cndmask_b32 v22, 0, v22, s7
	v_cmp_nlt_f32_e64 s6, 0x42b17218, v72
	v_cmp_nlt_f32_e64 s7, 0x42b17218, v73
	v_cndmask_b32_e64 v70, 0x7f800000, v70, s8
	v_cndmask_b32_e64 v71, 0x7f800000, v67, s3
	v_cndmask_b32_e32 v72, 0x7f800000, v23, vcc_lo
	v_cndmask_b32_e64 v73, 0x7f800000, v68, s2
	v_cndmask_b32_e64 v68, 0x7f800000, v69, s5
	v_cndmask_b32_e64 v69, 0x7f800000, v19, s6
	v_cndmask_b32_e64 v66, 0x7f800000, v18, s4
	v_cndmask_b32_e64 v67, 0x7f800000, v22, s7
	v_cvt_pk_f16_f32 v18, v70, v71
	v_cvt_pk_f16_f32 v19, v72, v73
	;; [unrolled: 1-line block ×3, first 2 shown]
	v_mul_f32_e32 v23, 0x3fb8aa3b, v74
	s_clause 0x1
	global_load_b128 v[4:7], v[8:9], off
	global_load_b128 v[12:15], v[12:13], off
	ds_store_2addr_b32 v105, v18, v19 offset1:32
	v_cvt_pk_f16_f32 v18, v66, v67
	v_fma_f32 v125, 0x3fb8aa3b, v74, -v23
	v_cmp_ngt_f32_e32 vcc_lo, 0xc2ce8ed0, v27
	global_load_b128 v[8:11], v[10:11], off
	v_cmp_ngt_f32_e64 s2, 0xc2ce8ed0, v74
	ds_store_2addr_b32 v105, v22, v18 offset0:64 offset1:96
	v_mul_f32_e32 v22, 0x3fb8aa3b, v27
	v_fmac_f32_e32 v125, 0x32a5705f, v74
	global_load_b128 v[16:19], v[16:17], off
	v_fma_f32 v26, 0x3fb8aa3b, v27, -v22
	v_rndne_f32_e32 v75, v22
	s_delay_alu instid0(VALU_DEP_2) | instskip(NEXT) | instid1(VALU_DEP_2)
	v_fmac_f32_e32 v26, 0x32a5705f, v27
	v_sub_f32_e32 v22, v22, v75
	v_cvt_i32_f32_e32 v75, v75
	s_delay_alu instid0(VALU_DEP_2) | instskip(SKIP_1) | instid1(VALU_DEP_1)
	v_add_f32_e32 v22, v22, v26
	v_rndne_f32_e32 v26, v23
	v_sub_f32_e32 v23, v23, v26
	v_cvt_i32_f32_e32 v26, v26
	v_pk_add_f32 v[70:71], v[70:71], v[72:73]
	s_delay_alu instid0(VALU_DEP_3) | instskip(SKIP_1) | instid1(VALU_DEP_2)
	v_add_f32_e32 v125, v23, v125
	v_exp_f32_e32 v22, v22
	v_pk_add_f32 v[68:69], v[68:69], v[70:71]
	s_delay_alu instid0(VALU_DEP_2) | instskip(NEXT) | instid1(VALU_DEP_1)
	v_exp_f32_e32 v125, v125
	v_pk_add_f32 v[70:71], v[66:67], v[68:69]
	s_delay_alu instid0(TRANS32_DEP_2)
	v_ldexp_f32 v75, v22, v75
	global_load_b128 v[20:23], v[20:21], off
	v_ldexp_f32 v125, v125, v26
	v_cndmask_b32_e32 v75, 0, v75, vcc_lo
	v_cmp_nlt_f32_e32 vcc_lo, 0x42b17218, v27
	global_load_b128 v[24:27], v[24:25], off
	v_cndmask_b32_e64 v125, 0, v125, s2
	v_cmp_nlt_f32_e64 s2, 0x42b17218, v74
	s_delay_alu instid0(VALU_DEP_1) | instskip(NEXT) | instid1(VALU_DEP_1)
	v_cndmask_b32_e64 v74, 0x7f800000, v125, s2
	v_cvt_f16_f32_e32 v125, v74
	s_delay_alu instid0(VALU_DEP_1) | instskip(NEXT) | instid1(VALU_DEP_1)
	v_and_b32_e32 v73, 0xffff, v125
	v_mul_u32_u24_e32 v73, 0x10001, v73
	s_delay_alu instid0(VALU_DEP_1)
	v_pk_mul_f16 v124, v124, v73
	s_wait_loadcnt 0x7
	ds_store_b128 v95, v[126:129]
	s_wait_loadcnt 0x6
	ds_store_b128 v98, v[0:3]
	;; [unrolled: 2-line block ×4, first 2 shown]
	ds_store_b128 v101, v[12:15]
	s_wait_loadcnt 0x2
	ds_store_b128 v102, v[16:19]
	s_wait_loadcnt 0x1
	ds_store_b128 v103, v[20:23]
	s_wait_loadcnt 0x0
	ds_store_b128 v104, v[24:27]
	s_wait_dscnt 0x0
	s_barrier_signal -1
	s_barrier_wait -1
	ds_load_b128 v[0:3], v97
	ds_load_2addr_b64 v[4:7], v79 offset1:32
	v_cndmask_b32_e32 v75, 0x7f800000, v75, vcc_lo
	ds_load_2addr_b64 v[8:11], v79 offset0:64 offset1:96
	ds_load_b128 v[12:15], v97 offset:16
	ds_load_2addr_b64 v[16:19], v79 offset0:128 offset1:160
	ds_load_2addr_b64 v[20:23], v79 offset0:192 offset1:224
	ds_load_b128 v[24:27], v97 offset:32
	ds_load_2addr_b64 v[66:69], v106 offset1:32
	v_pk_fma_f32 v[52:53], v[52:53], v[74:75], v[70:71]
	s_wait_dscnt 0x7
	v_and_b32_e32 v70, 0xffff, v0
	v_lshrrev_b32_e32 v0, 16, v0
	v_cvt_f16_f32_e32 v72, v75
	s_delay_alu instid0(VALU_DEP_3) | instskip(NEXT) | instid1(VALU_DEP_3)
	v_mul_u32_u24_e32 v74, 0x10001, v70
	v_mul_u32_u24_e32 v0, 0x10001, v0
	s_delay_alu instid0(VALU_DEP_3) | instskip(SKIP_1) | instid1(VALU_DEP_3)
	v_and_b32_e32 v72, 0xffff, v72
	s_wait_dscnt 0x6
	v_pk_mul_f16 v70, v4, v74
	s_delay_alu instid0(VALU_DEP_3) | instskip(NEXT) | instid1(VALU_DEP_3)
	v_pk_mul_f16 v4, v4, v0
	v_mul_u32_u24_e32 v125, 0x10001, v72
	v_pk_fma_f16 v74, v5, v74, v124
	v_and_b32_e32 v124, 0xffff, v3
	v_pk_fma_f16 v75, v123, v73, v70
	v_lshrrev_b32_e32 v123, 16, v3
	v_pk_fma_f16 v4, v122, v125, v4
	v_pk_mul_f16 v121, v121, v125
	v_and_b32_e32 v122, 0xffff, v1
	v_lshrrev_b32_e32 v1, 16, v1
	v_mul_u32_u24_e32 v123, 0x10001, v123
	v_mul_u32_u24_e32 v124, 0x10001, v124
	v_pk_fma_f16 v0, v5, v0, v121
	v_mul_u32_u24_e32 v122, 0x10001, v122
	v_mul_u32_u24_e32 v1, 0x10001, v1
	ds_load_2addr_b64 v[70:73], v106 offset0:64 offset1:96
	v_pk_fma_f16 v74, v7, v122, v74
	v_pk_fma_f16 v121, v7, v1, v0
	;; [unrolled: 1-line block ×4, first 2 shown]
	v_and_b32_e32 v1, 0xffff, v2
	v_lshrrev_b32_e32 v122, 16, v2
	ds_load_b128 v[4:7], v97 offset:48
	v_mul_u32_u24_e32 v1, 0x10001, v1
	v_mul_u32_u24_e32 v122, 0x10001, v122
	s_wait_dscnt 0x7
	s_delay_alu instid0(VALU_DEP_2) | instskip(SKIP_1) | instid1(VALU_DEP_3)
	v_pk_fma_f16 v74, v9, v1, v74
	v_pk_fma_f16 v125, v8, v1, v0
	;; [unrolled: 1-line block ×4, first 2 shown]
	ds_load_2addr_b64 v[0:3], v106 offset0:128 offset1:160
	v_pk_fma_f16 v74, v11, v124, v74
	v_pk_fma_f16 v121, v10, v124, v125
	;; [unrolled: 1-line block ×4, first 2 shown]
	s_wait_dscnt 0x7
	v_and_b32_e32 v123, 0xffff, v12
	v_lshrrev_b32_e32 v12, 16, v12
	v_and_b32_e32 v124, 0xffff, v13
	v_lshrrev_b32_e32 v13, 16, v13
	v_and_b32_e32 v125, 0xffff, v15
	v_mul_u32_u24_e32 v123, 0x10001, v123
	v_mul_u32_u24_e32 v12, 0x10001, v12
	ds_load_2addr_b64 v[8:11], v106 offset0:192 offset1:224
	v_mul_u32_u24_e32 v125, 0x10001, v125
	s_wait_dscnt 0x7
	v_pk_fma_f16 v74, v17, v123, v74
	v_pk_fma_f16 v121, v16, v123, v121
	v_mul_u32_u24_e32 v123, 0x10001, v124
	v_pk_fma_f16 v17, v17, v12, v75
	v_pk_fma_f16 v12, v16, v12, v122
	v_lshrrev_b32_e32 v124, 16, v15
	s_delay_alu instid0(VALU_DEP_4) | instskip(SKIP_3) | instid1(VALU_DEP_2)
	v_pk_fma_f16 v74, v19, v123, v74
	v_pk_fma_f16 v121, v18, v123, v121
	v_lshrrev_b32_e32 v123, 16, v14
	v_mul_u32_u24_e32 v13, 0x10001, v13
	v_mul_u32_u24_e32 v123, 0x10001, v123
	s_delay_alu instid0(VALU_DEP_2)
	v_pk_fma_f16 v122, v18, v13, v12
	v_and_b32_e32 v12, 0xffff, v14
	v_pk_fma_f16 v75, v19, v13, v17
	ds_load_b128 v[16:19], v97 offset:64
	v_mul_u32_u24_e32 v12, 0x10001, v12
	s_wait_dscnt 0x7
	s_delay_alu instid0(VALU_DEP_1)
	v_pk_fma_f16 v74, v21, v12, v74
	v_pk_fma_f16 v121, v20, v12, v121
	;; [unrolled: 1-line block ×4, first 2 shown]
	s_wait_dscnt 0x6
	v_and_b32_e32 v123, 0xffff, v24
	v_lshrrev_b32_e32 v24, 16, v24
	v_mul_u32_u24_e32 v124, 0x10001, v124
	v_pk_fma_f16 v74, v23, v125, v74
	v_pk_fma_f16 v121, v22, v125, v121
	v_mul_u32_u24_e32 v123, 0x10001, v123
	v_mul_u32_u24_e32 v24, 0x10001, v24
	v_pk_fma_f16 v75, v23, v124, v21
	v_pk_fma_f16 v122, v22, v124, v20
	v_and_b32_e32 v124, 0xffff, v25
	s_wait_dscnt 0x5
	v_pk_fma_f16 v74, v67, v123, v74
	v_pk_fma_f16 v121, v66, v123, v121
	v_lshrrev_b32_e32 v25, 16, v25
	v_pk_fma_f16 v67, v67, v24, v75
	v_mul_u32_u24_e32 v123, 0x10001, v124
	v_pk_fma_f16 v24, v66, v24, v122
	v_lshrrev_b32_e32 v124, 16, v27
	v_and_b32_e32 v125, 0xffff, v27
	ds_load_2addr_b64 v[12:15], v107 offset1:32
	v_pk_fma_f16 v74, v69, v123, v74
	v_pk_fma_f16 v121, v68, v123, v121
	v_lshrrev_b32_e32 v123, 16, v26
	v_mul_u32_u24_e32 v25, 0x10001, v25
	v_mul_u32_u24_e32 v125, 0x10001, v125
	ds_load_2addr_b64 v[20:23], v107 offset0:64 offset1:96
	v_mul_u32_u24_e32 v123, 0x10001, v123
	v_pk_fma_f16 v122, v68, v25, v24
	v_and_b32_e32 v24, 0xffff, v26
	v_pk_fma_f16 v75, v69, v25, v67
	ds_load_b128 v[66:69], v97 offset:80
	v_mul_u32_u24_e32 v24, 0x10001, v24
	s_wait_dscnt 0x7
	s_delay_alu instid0(VALU_DEP_1)
	v_pk_fma_f16 v74, v71, v24, v74
	v_pk_fma_f16 v121, v70, v24, v121
	;; [unrolled: 1-line block ×4, first 2 shown]
	s_wait_dscnt 0x6
	v_and_b32_e32 v123, 0xffff, v4
	v_lshrrev_b32_e32 v4, 16, v4
	v_mul_u32_u24_e32 v124, 0x10001, v124
	v_pk_fma_f16 v74, v73, v125, v74
	v_pk_fma_f16 v121, v72, v125, v121
	v_mul_u32_u24_e32 v123, 0x10001, v123
	v_mul_u32_u24_e32 v4, 0x10001, v4
	v_pk_fma_f16 v75, v73, v124, v71
	v_pk_fma_f16 v122, v72, v124, v70
	v_and_b32_e32 v124, 0xffff, v5
	v_lshrrev_b32_e32 v5, 16, v5
	s_wait_dscnt 0x5
	v_pk_fma_f16 v74, v1, v123, v74
	v_pk_fma_f16 v121, v0, v123, v121
	;; [unrolled: 1-line block ×3, first 2 shown]
	v_mul_u32_u24_e32 v123, 0x10001, v124
	v_pk_fma_f16 v0, v0, v4, v122
	v_lshrrev_b32_e32 v122, 16, v6
	v_mul_u32_u24_e32 v5, 0x10001, v5
	v_and_b32_e32 v124, 0xffff, v7
	v_pk_fma_f16 v4, v3, v123, v74
	v_pk_fma_f16 v75, v2, v123, v121
	v_lshrrev_b32_e32 v123, 16, v7
	v_pk_fma_f16 v74, v3, v5, v1
	v_pk_fma_f16 v121, v2, v5, v0
	v_and_b32_e32 v5, 0xffff, v6
	v_mul_u32_u24_e32 v122, 0x10001, v122
	v_mul_u32_u24_e32 v123, 0x10001, v123
	;; [unrolled: 1-line block ×3, first 2 shown]
	ds_load_2addr_b64 v[24:27], v107 offset0:128 offset1:160
	v_mul_u32_u24_e32 v5, 0x10001, v5
	ds_load_b128 v[0:3], v97 offset:96
	ds_load_2addr_b64 v[70:73], v107 offset0:192 offset1:224
	s_wait_dscnt 0x7
	v_pk_fma_f16 v125, v9, v5, v4
	v_pk_fma_f16 v75, v8, v5, v75
	;; [unrolled: 1-line block ×4, first 2 shown]
	ds_load_2addr_b64 v[4:7], v108 offset1:32
	v_pk_fma_f16 v74, v11, v124, v125
	v_pk_fma_f16 v75, v10, v124, v75
	;; [unrolled: 1-line block ×4, first 2 shown]
	s_wait_dscnt 0x7
	v_and_b32_e32 v123, 0xffff, v16
	v_lshrrev_b32_e32 v16, 16, v16
	v_and_b32_e32 v124, 0xffff, v17
	v_lshrrev_b32_e32 v17, 16, v17
	ds_load_2addr_b64 v[8:11], v108 offset0:64 offset1:96
	v_mul_u32_u24_e32 v123, 0x10001, v123
	v_mul_u32_u24_e32 v16, 0x10001, v16
	s_wait_dscnt 0x7
	s_delay_alu instid0(VALU_DEP_2)
	v_pk_fma_f16 v74, v13, v123, v74
	v_pk_fma_f16 v75, v12, v123, v75
	v_mul_u32_u24_e32 v123, 0x10001, v124
	v_pk_fma_f16 v13, v13, v16, v121
	v_pk_fma_f16 v12, v12, v16, v122
	v_lshrrev_b32_e32 v122, 16, v18
	v_mul_u32_u24_e32 v17, 0x10001, v17
	v_pk_fma_f16 v16, v15, v123, v74
	v_pk_fma_f16 v75, v14, v123, v75
	v_lshrrev_b32_e32 v123, 16, v19
	v_mul_u32_u24_e32 v122, 0x10001, v122
	v_pk_fma_f16 v74, v15, v17, v13
	v_pk_fma_f16 v121, v14, v17, v12
	v_and_b32_e32 v17, 0xffff, v18
	v_and_b32_e32 v124, 0xffff, v19
	v_mul_u32_u24_e32 v123, 0x10001, v123
	ds_load_b128 v[12:15], v97 offset:112
	v_mul_u32_u24_e32 v17, 0x10001, v17
	v_mul_u32_u24_e32 v124, 0x10001, v124
	s_wait_dscnt 0x7
	s_delay_alu instid0(VALU_DEP_2)
	v_pk_fma_f16 v125, v21, v17, v16
	v_pk_fma_f16 v75, v20, v17, v75
	;; [unrolled: 1-line block ×4, first 2 shown]
	ds_load_2addr_b64 v[16:19], v108 offset0:128 offset1:160
	v_pk_fma_f16 v74, v23, v124, v125
	v_pk_fma_f16 v75, v22, v124, v75
	;; [unrolled: 1-line block ×4, first 2 shown]
	s_wait_dscnt 0x7
	v_and_b32_e32 v123, 0xffff, v66
	v_lshrrev_b32_e32 v66, 16, v66
	v_and_b32_e32 v124, 0xffff, v67
	v_lshrrev_b32_e32 v67, 16, v67
	ds_load_2addr_b64 v[20:23], v108 offset0:192 offset1:224
	v_mul_u32_u24_e32 v123, 0x10001, v123
	v_mul_u32_u24_e32 v66, 0x10001, v66
	s_wait_dscnt 0x7
	s_delay_alu instid0(VALU_DEP_2)
	v_pk_fma_f16 v74, v25, v123, v74
	v_pk_fma_f16 v75, v24, v123, v75
	v_mul_u32_u24_e32 v123, 0x10001, v124
	v_pk_fma_f16 v25, v25, v66, v121
	v_pk_fma_f16 v24, v24, v66, v122
	v_lshrrev_b32_e32 v122, 16, v68
	v_mul_u32_u24_e32 v67, 0x10001, v67
	v_pk_fma_f16 v66, v27, v123, v74
	v_pk_fma_f16 v75, v26, v123, v75
	v_lshrrev_b32_e32 v123, 16, v69
	v_mul_u32_u24_e32 v122, 0x10001, v122
	v_pk_fma_f16 v74, v27, v67, v25
	v_pk_fma_f16 v121, v26, v67, v24
	v_and_b32_e32 v67, 0xffff, v68
	v_and_b32_e32 v124, 0xffff, v69
	v_mul_u32_u24_e32 v123, 0x10001, v123
	ds_load_b128 v[24:27], v97 offset:128
	v_mul_u32_u24_e32 v67, 0x10001, v67
	v_mul_u32_u24_e32 v124, 0x10001, v124
	s_wait_dscnt 0x6
	s_delay_alu instid0(VALU_DEP_2)
	v_pk_fma_f16 v125, v71, v67, v66
	v_pk_fma_f16 v75, v70, v67, v75
	v_pk_fma_f16 v71, v71, v122, v74
	v_pk_fma_f16 v70, v70, v122, v121
	ds_load_2addr_b64 v[66:69], v109 offset1:32
	v_pk_fma_f16 v74, v73, v124, v125
	v_pk_fma_f16 v75, v72, v124, v75
	;; [unrolled: 1-line block ×4, first 2 shown]
	v_and_b32_e32 v123, 0xffff, v0
	v_lshrrev_b32_e32 v0, 16, v0
	v_and_b32_e32 v124, 0xffff, v1
	v_lshrrev_b32_e32 v1, 16, v1
	v_and_b32_e32 v125, 0xffff, v3
	v_mul_u32_u24_e32 v123, 0x10001, v123
	v_mul_u32_u24_e32 v0, 0x10001, v0
	ds_load_2addr_b64 v[70:73], v109 offset0:64 offset1:96
	v_mul_u32_u24_e32 v125, 0x10001, v125
	s_wait_dscnt 0x7
	v_pk_fma_f16 v74, v5, v123, v74
	v_pk_fma_f16 v75, v4, v123, v75
	v_mul_u32_u24_e32 v123, 0x10001, v124
	v_pk_fma_f16 v5, v5, v0, v121
	v_pk_fma_f16 v0, v4, v0, v122
	v_lshrrev_b32_e32 v124, 16, v3
	s_delay_alu instid0(VALU_DEP_4) | instskip(SKIP_3) | instid1(VALU_DEP_2)
	v_pk_fma_f16 v74, v7, v123, v74
	v_pk_fma_f16 v75, v6, v123, v75
	v_lshrrev_b32_e32 v123, 16, v2
	v_mul_u32_u24_e32 v1, 0x10001, v1
	v_mul_u32_u24_e32 v123, 0x10001, v123
	s_delay_alu instid0(VALU_DEP_2)
	v_pk_fma_f16 v122, v6, v1, v0
	v_and_b32_e32 v0, 0xffff, v2
	v_pk_fma_f16 v121, v7, v1, v5
	ds_load_b128 v[4:7], v97 offset:144
	v_mul_u32_u24_e32 v0, 0x10001, v0
	s_wait_dscnt 0x7
	s_delay_alu instid0(VALU_DEP_1)
	v_pk_fma_f16 v74, v9, v0, v74
	v_pk_fma_f16 v75, v8, v0, v75
	;; [unrolled: 1-line block ×4, first 2 shown]
	s_wait_dscnt 0x6
	v_and_b32_e32 v123, 0xffff, v12
	v_lshrrev_b32_e32 v12, 16, v12
	v_mul_u32_u24_e32 v124, 0x10001, v124
	v_pk_fma_f16 v74, v11, v125, v74
	v_pk_fma_f16 v75, v10, v125, v75
	v_mul_u32_u24_e32 v123, 0x10001, v123
	v_mul_u32_u24_e32 v12, 0x10001, v12
	v_pk_fma_f16 v121, v11, v124, v9
	v_pk_fma_f16 v122, v10, v124, v8
	v_and_b32_e32 v124, 0xffff, v13
	s_wait_dscnt 0x5
	v_pk_fma_f16 v74, v17, v123, v74
	v_pk_fma_f16 v75, v16, v123, v75
	v_lshrrev_b32_e32 v13, 16, v13
	v_pk_fma_f16 v17, v17, v12, v121
	v_mul_u32_u24_e32 v123, 0x10001, v124
	v_pk_fma_f16 v12, v16, v12, v122
	v_lshrrev_b32_e32 v124, 16, v15
	v_and_b32_e32 v125, 0xffff, v15
	ds_load_2addr_b64 v[0:3], v109 offset0:128 offset1:160
	v_pk_fma_f16 v74, v19, v123, v74
	v_pk_fma_f16 v75, v18, v123, v75
	v_lshrrev_b32_e32 v123, 16, v14
	v_mul_u32_u24_e32 v13, 0x10001, v13
	v_mul_u32_u24_e32 v125, 0x10001, v125
	ds_load_2addr_b64 v[8:11], v109 offset0:192 offset1:224
	v_mul_u32_u24_e32 v123, 0x10001, v123
	v_pk_fma_f16 v122, v18, v13, v12
	v_and_b32_e32 v12, 0xffff, v14
	v_pk_fma_f16 v121, v19, v13, v17
	ds_load_b128 v[16:19], v97 offset:160
	v_mul_u32_u24_e32 v12, 0x10001, v12
	s_wait_dscnt 0x7
	s_delay_alu instid0(VALU_DEP_1)
	v_pk_fma_f16 v74, v21, v12, v74
	v_pk_fma_f16 v75, v20, v12, v75
	;; [unrolled: 1-line block ×4, first 2 shown]
	s_wait_dscnt 0x6
	v_and_b32_e32 v123, 0xffff, v24
	v_lshrrev_b32_e32 v24, 16, v24
	v_mul_u32_u24_e32 v124, 0x10001, v124
	v_pk_fma_f16 v74, v23, v125, v74
	v_pk_fma_f16 v75, v22, v125, v75
	v_mul_u32_u24_e32 v123, 0x10001, v123
	v_mul_u32_u24_e32 v24, 0x10001, v24
	v_pk_fma_f16 v121, v23, v124, v21
	v_pk_fma_f16 v122, v22, v124, v20
	v_and_b32_e32 v124, 0xffff, v25
	s_wait_dscnt 0x5
	v_pk_fma_f16 v74, v67, v123, v74
	v_pk_fma_f16 v75, v66, v123, v75
	v_lshrrev_b32_e32 v25, 16, v25
	v_pk_fma_f16 v67, v67, v24, v121
	v_mul_u32_u24_e32 v123, 0x10001, v124
	v_pk_fma_f16 v24, v66, v24, v122
	v_lshrrev_b32_e32 v124, 16, v27
	v_and_b32_e32 v125, 0xffff, v27
	ds_load_2addr_b64 v[12:15], v110 offset1:32
	v_pk_fma_f16 v74, v69, v123, v74
	v_pk_fma_f16 v75, v68, v123, v75
	v_lshrrev_b32_e32 v123, 16, v26
	v_mul_u32_u24_e32 v25, 0x10001, v25
	v_mul_u32_u24_e32 v125, 0x10001, v125
	ds_load_2addr_b64 v[20:23], v110 offset0:64 offset1:96
	v_mul_u32_u24_e32 v123, 0x10001, v123
	v_pk_fma_f16 v122, v68, v25, v24
	v_and_b32_e32 v24, 0xffff, v26
	v_pk_fma_f16 v121, v69, v25, v67
	ds_load_b128 v[66:69], v97 offset:176
	v_mul_u32_u24_e32 v24, 0x10001, v24
	s_wait_dscnt 0x7
	s_delay_alu instid0(VALU_DEP_1)
	v_pk_fma_f16 v74, v71, v24, v74
	v_pk_fma_f16 v75, v70, v24, v75
	;; [unrolled: 1-line block ×4, first 2 shown]
	s_wait_dscnt 0x6
	v_and_b32_e32 v123, 0xffff, v4
	v_lshrrev_b32_e32 v4, 16, v4
	v_mul_u32_u24_e32 v124, 0x10001, v124
	v_pk_fma_f16 v74, v73, v125, v74
	v_pk_fma_f16 v75, v72, v125, v75
	v_mul_u32_u24_e32 v123, 0x10001, v123
	v_mul_u32_u24_e32 v4, 0x10001, v4
	v_pk_fma_f16 v121, v73, v124, v71
	v_pk_fma_f16 v122, v72, v124, v70
	v_and_b32_e32 v124, 0xffff, v5
	v_lshrrev_b32_e32 v5, 16, v5
	s_wait_dscnt 0x5
	v_pk_fma_f16 v74, v1, v123, v74
	v_pk_fma_f16 v75, v0, v123, v75
	v_pk_fma_f16 v1, v1, v4, v121
	v_mul_u32_u24_e32 v123, 0x10001, v124
	v_pk_fma_f16 v0, v0, v4, v122
	v_lshrrev_b32_e32 v122, 16, v6
	v_mul_u32_u24_e32 v5, 0x10001, v5
	v_and_b32_e32 v124, 0xffff, v7
	v_pk_fma_f16 v4, v3, v123, v74
	v_pk_fma_f16 v75, v2, v123, v75
	v_lshrrev_b32_e32 v123, 16, v7
	v_pk_fma_f16 v74, v3, v5, v1
	v_pk_fma_f16 v121, v2, v5, v0
	v_and_b32_e32 v5, 0xffff, v6
	v_mul_u32_u24_e32 v122, 0x10001, v122
	v_mul_u32_u24_e32 v123, 0x10001, v123
	;; [unrolled: 1-line block ×3, first 2 shown]
	ds_load_2addr_b64 v[24:27], v110 offset0:128 offset1:160
	v_mul_u32_u24_e32 v5, 0x10001, v5
	ds_load_b128 v[0:3], v97 offset:192
	ds_load_2addr_b64 v[70:73], v110 offset0:192 offset1:224
	s_wait_dscnt 0x7
	v_pk_fma_f16 v125, v9, v5, v4
	v_pk_fma_f16 v75, v8, v5, v75
	;; [unrolled: 1-line block ×4, first 2 shown]
	ds_load_2addr_b64 v[4:7], v111 offset1:32
	v_pk_fma_f16 v74, v11, v124, v125
	v_pk_fma_f16 v75, v10, v124, v75
	;; [unrolled: 1-line block ×4, first 2 shown]
	s_wait_dscnt 0x7
	v_and_b32_e32 v123, 0xffff, v16
	v_lshrrev_b32_e32 v16, 16, v16
	v_and_b32_e32 v124, 0xffff, v17
	v_lshrrev_b32_e32 v17, 16, v17
	ds_load_2addr_b64 v[8:11], v111 offset0:64 offset1:96
	v_mul_u32_u24_e32 v123, 0x10001, v123
	v_mul_u32_u24_e32 v16, 0x10001, v16
	s_wait_dscnt 0x7
	s_delay_alu instid0(VALU_DEP_2)
	v_pk_fma_f16 v74, v13, v123, v74
	v_pk_fma_f16 v75, v12, v123, v75
	v_mul_u32_u24_e32 v123, 0x10001, v124
	v_pk_fma_f16 v13, v13, v16, v121
	v_pk_fma_f16 v12, v12, v16, v122
	v_lshrrev_b32_e32 v122, 16, v18
	v_mul_u32_u24_e32 v17, 0x10001, v17
	v_pk_fma_f16 v16, v15, v123, v74
	v_pk_fma_f16 v75, v14, v123, v75
	v_lshrrev_b32_e32 v123, 16, v19
	v_mul_u32_u24_e32 v122, 0x10001, v122
	v_pk_fma_f16 v74, v15, v17, v13
	v_pk_fma_f16 v121, v14, v17, v12
	v_and_b32_e32 v17, 0xffff, v18
	v_and_b32_e32 v124, 0xffff, v19
	v_mul_u32_u24_e32 v123, 0x10001, v123
	ds_load_b128 v[12:15], v97 offset:208
	v_mul_u32_u24_e32 v17, 0x10001, v17
	v_mul_u32_u24_e32 v124, 0x10001, v124
	s_wait_dscnt 0x7
	s_delay_alu instid0(VALU_DEP_2)
	v_pk_fma_f16 v125, v21, v17, v16
	v_pk_fma_f16 v75, v20, v17, v75
	v_pk_fma_f16 v21, v21, v122, v74
	v_pk_fma_f16 v20, v20, v122, v121
	ds_load_2addr_b64 v[16:19], v111 offset0:128 offset1:160
	v_pk_fma_f16 v74, v23, v124, v125
	v_pk_fma_f16 v75, v22, v124, v75
	;; [unrolled: 1-line block ×4, first 2 shown]
	s_wait_dscnt 0x7
	v_and_b32_e32 v123, 0xffff, v66
	v_lshrrev_b32_e32 v66, 16, v66
	v_and_b32_e32 v124, 0xffff, v67
	v_lshrrev_b32_e32 v67, 16, v67
	ds_load_2addr_b64 v[20:23], v111 offset0:192 offset1:224
	v_mul_u32_u24_e32 v123, 0x10001, v123
	v_mul_u32_u24_e32 v66, 0x10001, v66
	s_wait_dscnt 0x7
	s_delay_alu instid0(VALU_DEP_2)
	v_pk_fma_f16 v74, v25, v123, v74
	v_pk_fma_f16 v75, v24, v123, v75
	v_mul_u32_u24_e32 v123, 0x10001, v124
	v_pk_fma_f16 v25, v25, v66, v121
	v_pk_fma_f16 v24, v24, v66, v122
	v_lshrrev_b32_e32 v122, 16, v68
	v_mul_u32_u24_e32 v67, 0x10001, v67
	v_pk_fma_f16 v66, v27, v123, v74
	v_pk_fma_f16 v75, v26, v123, v75
	v_lshrrev_b32_e32 v123, 16, v69
	v_mul_u32_u24_e32 v122, 0x10001, v122
	v_pk_fma_f16 v74, v27, v67, v25
	v_pk_fma_f16 v121, v26, v67, v24
	v_and_b32_e32 v67, 0xffff, v68
	v_and_b32_e32 v124, 0xffff, v69
	v_mul_u32_u24_e32 v123, 0x10001, v123
	ds_load_b128 v[24:27], v97 offset:224
	v_mul_u32_u24_e32 v67, 0x10001, v67
	v_mul_u32_u24_e32 v124, 0x10001, v124
	s_wait_dscnt 0x6
	s_delay_alu instid0(VALU_DEP_2)
	v_pk_fma_f16 v125, v71, v67, v66
	v_pk_fma_f16 v75, v70, v67, v75
	v_pk_fma_f16 v71, v71, v122, v74
	v_pk_fma_f16 v70, v70, v122, v121
	ds_load_2addr_b64 v[66:69], v112 offset1:32
	v_pk_fma_f16 v74, v73, v124, v125
	v_pk_fma_f16 v75, v72, v124, v75
	v_pk_fma_f16 v121, v73, v123, v71
	v_pk_fma_f16 v122, v72, v123, v70
	v_and_b32_e32 v123, 0xffff, v0
	v_lshrrev_b32_e32 v0, 16, v0
	v_and_b32_e32 v124, 0xffff, v1
	v_lshrrev_b32_e32 v1, 16, v1
	v_and_b32_e32 v125, 0xffff, v3
	v_mul_u32_u24_e32 v123, 0x10001, v123
	v_mul_u32_u24_e32 v0, 0x10001, v0
	ds_load_2addr_b64 v[70:73], v112 offset0:64 offset1:96
	v_mul_u32_u24_e32 v125, 0x10001, v125
	s_wait_dscnt 0x7
	v_pk_fma_f16 v74, v5, v123, v74
	v_pk_fma_f16 v75, v4, v123, v75
	v_mul_u32_u24_e32 v123, 0x10001, v124
	v_pk_fma_f16 v5, v5, v0, v121
	v_pk_fma_f16 v0, v4, v0, v122
	v_lshrrev_b32_e32 v124, 16, v3
	s_delay_alu instid0(VALU_DEP_4) | instskip(SKIP_3) | instid1(VALU_DEP_2)
	v_pk_fma_f16 v74, v7, v123, v74
	v_pk_fma_f16 v75, v6, v123, v75
	v_lshrrev_b32_e32 v123, 16, v2
	v_mul_u32_u24_e32 v1, 0x10001, v1
	v_mul_u32_u24_e32 v123, 0x10001, v123
	s_delay_alu instid0(VALU_DEP_2)
	v_pk_fma_f16 v122, v6, v1, v0
	v_and_b32_e32 v0, 0xffff, v2
	v_pk_fma_f16 v121, v7, v1, v5
	ds_load_b128 v[4:7], v97 offset:240
	v_mul_u32_u24_e32 v0, 0x10001, v0
	s_wait_dscnt 0x7
	s_delay_alu instid0(VALU_DEP_1)
	v_pk_fma_f16 v74, v9, v0, v74
	v_pk_fma_f16 v75, v8, v0, v75
	;; [unrolled: 1-line block ×4, first 2 shown]
	s_wait_dscnt 0x6
	v_and_b32_e32 v123, 0xffff, v12
	v_lshrrev_b32_e32 v12, 16, v12
	v_mul_u32_u24_e32 v124, 0x10001, v124
	v_pk_fma_f16 v74, v11, v125, v74
	v_pk_fma_f16 v75, v10, v125, v75
	v_mul_u32_u24_e32 v123, 0x10001, v123
	v_mul_u32_u24_e32 v12, 0x10001, v12
	v_pk_fma_f16 v121, v11, v124, v9
	v_pk_fma_f16 v122, v10, v124, v8
	v_and_b32_e32 v124, 0xffff, v13
	s_wait_dscnt 0x5
	v_pk_fma_f16 v74, v17, v123, v74
	v_pk_fma_f16 v75, v16, v123, v75
	v_lshrrev_b32_e32 v13, 16, v13
	v_pk_fma_f16 v17, v17, v12, v121
	v_mul_u32_u24_e32 v123, 0x10001, v124
	v_pk_fma_f16 v12, v16, v12, v122
	v_lshrrev_b32_e32 v124, 16, v15
	v_and_b32_e32 v125, 0xffff, v15
	ds_load_2addr_b64 v[0:3], v112 offset0:128 offset1:160
	v_pk_fma_f16 v74, v19, v123, v74
	v_pk_fma_f16 v75, v18, v123, v75
	v_lshrrev_b32_e32 v123, 16, v14
	v_mul_u32_u24_e32 v13, 0x10001, v13
	v_mul_u32_u24_e32 v125, 0x10001, v125
	ds_load_2addr_b64 v[8:11], v112 offset0:192 offset1:224
	v_mul_u32_u24_e32 v123, 0x10001, v123
	v_pk_fma_f16 v122, v18, v13, v12
	v_and_b32_e32 v12, 0xffff, v14
	v_pk_fma_f16 v121, v19, v13, v17
	ds_load_b128 v[16:19], v97 offset:256
	v_mul_u32_u24_e32 v12, 0x10001, v12
	s_wait_dscnt 0x7
	s_delay_alu instid0(VALU_DEP_1)
	v_pk_fma_f16 v74, v21, v12, v74
	v_pk_fma_f16 v75, v20, v12, v75
	;; [unrolled: 1-line block ×4, first 2 shown]
	s_wait_dscnt 0x6
	v_and_b32_e32 v123, 0xffff, v24
	v_lshrrev_b32_e32 v24, 16, v24
	v_mul_u32_u24_e32 v124, 0x10001, v124
	v_pk_fma_f16 v74, v23, v125, v74
	v_pk_fma_f16 v75, v22, v125, v75
	v_mul_u32_u24_e32 v123, 0x10001, v123
	v_mul_u32_u24_e32 v24, 0x10001, v24
	v_pk_fma_f16 v121, v23, v124, v21
	v_pk_fma_f16 v122, v22, v124, v20
	v_and_b32_e32 v124, 0xffff, v25
	s_wait_dscnt 0x5
	v_pk_fma_f16 v74, v67, v123, v74
	v_pk_fma_f16 v75, v66, v123, v75
	v_lshrrev_b32_e32 v25, 16, v25
	v_pk_fma_f16 v67, v67, v24, v121
	v_mul_u32_u24_e32 v123, 0x10001, v124
	v_pk_fma_f16 v24, v66, v24, v122
	v_lshrrev_b32_e32 v124, 16, v27
	v_and_b32_e32 v125, 0xffff, v27
	ds_load_2addr_b64 v[12:15], v113 offset1:32
	v_pk_fma_f16 v74, v69, v123, v74
	v_pk_fma_f16 v75, v68, v123, v75
	v_lshrrev_b32_e32 v123, 16, v26
	v_mul_u32_u24_e32 v25, 0x10001, v25
	v_mul_u32_u24_e32 v125, 0x10001, v125
	ds_load_2addr_b64 v[20:23], v113 offset0:64 offset1:96
	v_mul_u32_u24_e32 v123, 0x10001, v123
	v_pk_fma_f16 v122, v68, v25, v24
	v_and_b32_e32 v24, 0xffff, v26
	v_pk_fma_f16 v121, v69, v25, v67
	ds_load_b128 v[66:69], v97 offset:272
	v_mul_u32_u24_e32 v24, 0x10001, v24
	s_wait_dscnt 0x7
	s_delay_alu instid0(VALU_DEP_1)
	v_pk_fma_f16 v74, v71, v24, v74
	v_pk_fma_f16 v75, v70, v24, v75
	;; [unrolled: 1-line block ×4, first 2 shown]
	s_wait_dscnt 0x6
	v_and_b32_e32 v123, 0xffff, v4
	v_lshrrev_b32_e32 v4, 16, v4
	v_mul_u32_u24_e32 v124, 0x10001, v124
	v_pk_fma_f16 v74, v73, v125, v74
	v_pk_fma_f16 v75, v72, v125, v75
	v_mul_u32_u24_e32 v123, 0x10001, v123
	v_mul_u32_u24_e32 v4, 0x10001, v4
	v_pk_fma_f16 v121, v73, v124, v71
	v_pk_fma_f16 v122, v72, v124, v70
	v_and_b32_e32 v124, 0xffff, v5
	v_lshrrev_b32_e32 v5, 16, v5
	s_wait_dscnt 0x5
	v_pk_fma_f16 v74, v1, v123, v74
	v_pk_fma_f16 v75, v0, v123, v75
	;; [unrolled: 1-line block ×3, first 2 shown]
	v_mul_u32_u24_e32 v123, 0x10001, v124
	v_pk_fma_f16 v0, v0, v4, v122
	v_lshrrev_b32_e32 v122, 16, v6
	v_mul_u32_u24_e32 v5, 0x10001, v5
	v_and_b32_e32 v124, 0xffff, v7
	v_pk_fma_f16 v4, v3, v123, v74
	v_pk_fma_f16 v75, v2, v123, v75
	v_lshrrev_b32_e32 v123, 16, v7
	v_pk_fma_f16 v74, v3, v5, v1
	v_pk_fma_f16 v121, v2, v5, v0
	v_and_b32_e32 v5, 0xffff, v6
	v_mul_u32_u24_e32 v122, 0x10001, v122
	v_mul_u32_u24_e32 v123, 0x10001, v123
	;; [unrolled: 1-line block ×3, first 2 shown]
	ds_load_2addr_b64 v[24:27], v113 offset0:128 offset1:160
	v_mul_u32_u24_e32 v5, 0x10001, v5
	ds_load_b128 v[0:3], v97 offset:288
	ds_load_2addr_b64 v[70:73], v113 offset0:192 offset1:224
	s_wait_dscnt 0x7
	v_pk_fma_f16 v125, v9, v5, v4
	v_pk_fma_f16 v75, v8, v5, v75
	;; [unrolled: 1-line block ×4, first 2 shown]
	ds_load_2addr_b64 v[4:7], v114 offset1:32
	v_pk_fma_f16 v74, v11, v124, v125
	v_pk_fma_f16 v75, v10, v124, v75
	;; [unrolled: 1-line block ×4, first 2 shown]
	s_wait_dscnt 0x7
	v_and_b32_e32 v123, 0xffff, v16
	v_lshrrev_b32_e32 v16, 16, v16
	v_and_b32_e32 v124, 0xffff, v17
	v_lshrrev_b32_e32 v17, 16, v17
	ds_load_2addr_b64 v[8:11], v114 offset0:64 offset1:96
	v_mul_u32_u24_e32 v123, 0x10001, v123
	v_mul_u32_u24_e32 v16, 0x10001, v16
	s_wait_dscnt 0x7
	s_delay_alu instid0(VALU_DEP_2)
	v_pk_fma_f16 v74, v13, v123, v74
	v_pk_fma_f16 v75, v12, v123, v75
	v_mul_u32_u24_e32 v123, 0x10001, v124
	v_pk_fma_f16 v13, v13, v16, v121
	v_pk_fma_f16 v12, v12, v16, v122
	v_lshrrev_b32_e32 v122, 16, v18
	v_mul_u32_u24_e32 v17, 0x10001, v17
	v_pk_fma_f16 v16, v15, v123, v74
	v_pk_fma_f16 v75, v14, v123, v75
	v_lshrrev_b32_e32 v123, 16, v19
	v_mul_u32_u24_e32 v122, 0x10001, v122
	v_pk_fma_f16 v74, v15, v17, v13
	v_pk_fma_f16 v121, v14, v17, v12
	v_and_b32_e32 v17, 0xffff, v18
	v_and_b32_e32 v124, 0xffff, v19
	v_mul_u32_u24_e32 v123, 0x10001, v123
	ds_load_b128 v[12:15], v97 offset:304
	v_mul_u32_u24_e32 v17, 0x10001, v17
	v_mul_u32_u24_e32 v124, 0x10001, v124
	s_wait_dscnt 0x7
	s_delay_alu instid0(VALU_DEP_2)
	v_pk_fma_f16 v125, v21, v17, v16
	v_pk_fma_f16 v75, v20, v17, v75
	v_pk_fma_f16 v21, v21, v122, v74
	v_pk_fma_f16 v20, v20, v122, v121
	ds_load_2addr_b64 v[16:19], v114 offset0:128 offset1:160
	v_pk_fma_f16 v74, v23, v124, v125
	v_pk_fma_f16 v75, v22, v124, v75
	;; [unrolled: 1-line block ×4, first 2 shown]
	s_wait_dscnt 0x7
	v_and_b32_e32 v123, 0xffff, v66
	v_lshrrev_b32_e32 v66, 16, v66
	v_and_b32_e32 v124, 0xffff, v67
	v_lshrrev_b32_e32 v67, 16, v67
	ds_load_2addr_b64 v[20:23], v114 offset0:192 offset1:224
	v_mul_u32_u24_e32 v123, 0x10001, v123
	v_mul_u32_u24_e32 v66, 0x10001, v66
	s_wait_dscnt 0x7
	s_delay_alu instid0(VALU_DEP_2)
	v_pk_fma_f16 v74, v25, v123, v74
	v_pk_fma_f16 v75, v24, v123, v75
	v_mul_u32_u24_e32 v123, 0x10001, v124
	v_pk_fma_f16 v25, v25, v66, v121
	v_pk_fma_f16 v24, v24, v66, v122
	v_lshrrev_b32_e32 v122, 16, v68
	v_mul_u32_u24_e32 v67, 0x10001, v67
	v_pk_fma_f16 v66, v27, v123, v74
	v_pk_fma_f16 v75, v26, v123, v75
	v_lshrrev_b32_e32 v123, 16, v69
	v_mul_u32_u24_e32 v122, 0x10001, v122
	v_pk_fma_f16 v74, v27, v67, v25
	v_pk_fma_f16 v121, v26, v67, v24
	v_and_b32_e32 v67, 0xffff, v68
	v_and_b32_e32 v124, 0xffff, v69
	v_mul_u32_u24_e32 v123, 0x10001, v123
	ds_load_b128 v[24:27], v97 offset:320
	v_mul_u32_u24_e32 v67, 0x10001, v67
	v_mul_u32_u24_e32 v124, 0x10001, v124
	s_wait_dscnt 0x6
	s_delay_alu instid0(VALU_DEP_2)
	v_pk_fma_f16 v125, v71, v67, v66
	v_pk_fma_f16 v75, v70, v67, v75
	;; [unrolled: 1-line block ×4, first 2 shown]
	ds_load_2addr_b64 v[66:69], v115 offset1:32
	v_pk_fma_f16 v74, v73, v124, v125
	v_pk_fma_f16 v75, v72, v124, v75
	;; [unrolled: 1-line block ×4, first 2 shown]
	v_and_b32_e32 v123, 0xffff, v0
	v_lshrrev_b32_e32 v0, 16, v0
	v_and_b32_e32 v124, 0xffff, v1
	v_lshrrev_b32_e32 v1, 16, v1
	v_and_b32_e32 v125, 0xffff, v3
	v_mul_u32_u24_e32 v123, 0x10001, v123
	v_mul_u32_u24_e32 v0, 0x10001, v0
	ds_load_2addr_b64 v[70:73], v115 offset0:64 offset1:96
	v_mul_u32_u24_e32 v125, 0x10001, v125
	s_wait_dscnt 0x7
	v_pk_fma_f16 v74, v5, v123, v74
	v_pk_fma_f16 v75, v4, v123, v75
	v_mul_u32_u24_e32 v123, 0x10001, v124
	v_pk_fma_f16 v5, v5, v0, v121
	v_pk_fma_f16 v0, v4, v0, v122
	v_lshrrev_b32_e32 v124, 16, v3
	s_delay_alu instid0(VALU_DEP_4) | instskip(SKIP_3) | instid1(VALU_DEP_2)
	v_pk_fma_f16 v74, v7, v123, v74
	v_pk_fma_f16 v75, v6, v123, v75
	v_lshrrev_b32_e32 v123, 16, v2
	v_mul_u32_u24_e32 v1, 0x10001, v1
	v_mul_u32_u24_e32 v123, 0x10001, v123
	s_delay_alu instid0(VALU_DEP_2)
	v_pk_fma_f16 v122, v6, v1, v0
	v_and_b32_e32 v0, 0xffff, v2
	v_pk_fma_f16 v121, v7, v1, v5
	ds_load_b128 v[4:7], v97 offset:336
	v_mul_u32_u24_e32 v0, 0x10001, v0
	s_wait_dscnt 0x7
	s_delay_alu instid0(VALU_DEP_1)
	v_pk_fma_f16 v74, v9, v0, v74
	v_pk_fma_f16 v75, v8, v0, v75
	;; [unrolled: 1-line block ×4, first 2 shown]
	s_wait_dscnt 0x6
	v_and_b32_e32 v123, 0xffff, v12
	v_lshrrev_b32_e32 v12, 16, v12
	v_mul_u32_u24_e32 v124, 0x10001, v124
	v_pk_fma_f16 v74, v11, v125, v74
	v_pk_fma_f16 v75, v10, v125, v75
	v_mul_u32_u24_e32 v123, 0x10001, v123
	v_mul_u32_u24_e32 v12, 0x10001, v12
	v_pk_fma_f16 v121, v11, v124, v9
	v_pk_fma_f16 v122, v10, v124, v8
	v_and_b32_e32 v124, 0xffff, v13
	s_wait_dscnt 0x5
	v_pk_fma_f16 v74, v17, v123, v74
	v_pk_fma_f16 v75, v16, v123, v75
	v_lshrrev_b32_e32 v13, 16, v13
	v_pk_fma_f16 v17, v17, v12, v121
	v_mul_u32_u24_e32 v123, 0x10001, v124
	v_pk_fma_f16 v12, v16, v12, v122
	v_lshrrev_b32_e32 v124, 16, v15
	v_and_b32_e32 v125, 0xffff, v15
	ds_load_2addr_b64 v[0:3], v115 offset0:128 offset1:160
	v_pk_fma_f16 v74, v19, v123, v74
	v_pk_fma_f16 v75, v18, v123, v75
	v_lshrrev_b32_e32 v123, 16, v14
	v_mul_u32_u24_e32 v13, 0x10001, v13
	v_mul_u32_u24_e32 v125, 0x10001, v125
	ds_load_2addr_b64 v[8:11], v115 offset0:192 offset1:224
	v_mul_u32_u24_e32 v123, 0x10001, v123
	v_pk_fma_f16 v122, v18, v13, v12
	v_and_b32_e32 v12, 0xffff, v14
	v_pk_fma_f16 v121, v19, v13, v17
	ds_load_b128 v[16:19], v97 offset:352
	v_mul_u32_u24_e32 v12, 0x10001, v12
	s_wait_dscnt 0x7
	s_delay_alu instid0(VALU_DEP_1)
	v_pk_fma_f16 v74, v21, v12, v74
	v_pk_fma_f16 v75, v20, v12, v75
	;; [unrolled: 1-line block ×4, first 2 shown]
	s_wait_dscnt 0x6
	v_and_b32_e32 v123, 0xffff, v24
	v_lshrrev_b32_e32 v24, 16, v24
	v_mul_u32_u24_e32 v124, 0x10001, v124
	v_pk_fma_f16 v74, v23, v125, v74
	v_pk_fma_f16 v75, v22, v125, v75
	v_mul_u32_u24_e32 v123, 0x10001, v123
	v_mul_u32_u24_e32 v24, 0x10001, v24
	v_pk_fma_f16 v121, v23, v124, v21
	v_pk_fma_f16 v122, v22, v124, v20
	v_and_b32_e32 v124, 0xffff, v25
	s_wait_dscnt 0x5
	v_pk_fma_f16 v74, v67, v123, v74
	v_pk_fma_f16 v75, v66, v123, v75
	v_lshrrev_b32_e32 v25, 16, v25
	v_pk_fma_f16 v67, v67, v24, v121
	v_mul_u32_u24_e32 v123, 0x10001, v124
	v_pk_fma_f16 v24, v66, v24, v122
	v_lshrrev_b32_e32 v124, 16, v27
	v_and_b32_e32 v125, 0xffff, v27
	ds_load_2addr_b64 v[12:15], v116 offset1:32
	v_pk_fma_f16 v74, v69, v123, v74
	v_pk_fma_f16 v75, v68, v123, v75
	v_lshrrev_b32_e32 v123, 16, v26
	v_mul_u32_u24_e32 v25, 0x10001, v25
	v_mul_u32_u24_e32 v125, 0x10001, v125
	ds_load_2addr_b64 v[20:23], v116 offset0:64 offset1:96
	v_mul_u32_u24_e32 v123, 0x10001, v123
	v_pk_fma_f16 v122, v68, v25, v24
	v_and_b32_e32 v24, 0xffff, v26
	v_pk_fma_f16 v121, v69, v25, v67
	ds_load_b128 v[66:69], v97 offset:368
	v_mul_u32_u24_e32 v24, 0x10001, v24
	s_wait_dscnt 0x7
	s_delay_alu instid0(VALU_DEP_1)
	v_pk_fma_f16 v74, v71, v24, v74
	v_pk_fma_f16 v75, v70, v24, v75
	v_pk_fma_f16 v71, v71, v123, v121
	v_pk_fma_f16 v70, v70, v123, v122
	s_wait_dscnt 0x6
	v_and_b32_e32 v123, 0xffff, v4
	v_lshrrev_b32_e32 v4, 16, v4
	v_mul_u32_u24_e32 v124, 0x10001, v124
	v_pk_fma_f16 v74, v73, v125, v74
	v_pk_fma_f16 v75, v72, v125, v75
	v_mul_u32_u24_e32 v123, 0x10001, v123
	v_mul_u32_u24_e32 v4, 0x10001, v4
	v_pk_fma_f16 v121, v73, v124, v71
	v_pk_fma_f16 v122, v72, v124, v70
	v_and_b32_e32 v124, 0xffff, v5
	v_lshrrev_b32_e32 v5, 16, v5
	s_wait_dscnt 0x5
	v_pk_fma_f16 v74, v1, v123, v74
	v_pk_fma_f16 v75, v0, v123, v75
	;; [unrolled: 1-line block ×3, first 2 shown]
	v_mul_u32_u24_e32 v123, 0x10001, v124
	v_pk_fma_f16 v0, v0, v4, v122
	v_lshrrev_b32_e32 v122, 16, v6
	v_mul_u32_u24_e32 v5, 0x10001, v5
	v_and_b32_e32 v124, 0xffff, v7
	v_pk_fma_f16 v4, v3, v123, v74
	v_pk_fma_f16 v75, v2, v123, v75
	v_lshrrev_b32_e32 v123, 16, v7
	v_pk_fma_f16 v74, v3, v5, v1
	v_pk_fma_f16 v121, v2, v5, v0
	v_and_b32_e32 v5, 0xffff, v6
	v_mul_u32_u24_e32 v122, 0x10001, v122
	v_mul_u32_u24_e32 v123, 0x10001, v123
	;; [unrolled: 1-line block ×3, first 2 shown]
	ds_load_2addr_b64 v[24:27], v116 offset0:128 offset1:160
	v_mul_u32_u24_e32 v5, 0x10001, v5
	ds_load_b128 v[0:3], v97 offset:384
	ds_load_2addr_b64 v[70:73], v116 offset0:192 offset1:224
	s_wait_dscnt 0x7
	v_pk_fma_f16 v125, v9, v5, v4
	v_pk_fma_f16 v75, v8, v5, v75
	v_pk_fma_f16 v9, v9, v122, v74
	v_pk_fma_f16 v8, v8, v122, v121
	ds_load_2addr_b64 v[4:7], v117 offset1:32
	v_pk_fma_f16 v74, v11, v124, v125
	v_pk_fma_f16 v75, v10, v124, v75
	;; [unrolled: 1-line block ×4, first 2 shown]
	s_wait_dscnt 0x7
	v_and_b32_e32 v123, 0xffff, v16
	v_lshrrev_b32_e32 v16, 16, v16
	v_and_b32_e32 v124, 0xffff, v17
	v_lshrrev_b32_e32 v17, 16, v17
	ds_load_2addr_b64 v[8:11], v117 offset0:64 offset1:96
	v_mul_u32_u24_e32 v123, 0x10001, v123
	v_mul_u32_u24_e32 v16, 0x10001, v16
	s_wait_dscnt 0x7
	s_delay_alu instid0(VALU_DEP_2)
	v_pk_fma_f16 v74, v13, v123, v74
	v_pk_fma_f16 v75, v12, v123, v75
	v_mul_u32_u24_e32 v123, 0x10001, v124
	v_pk_fma_f16 v13, v13, v16, v121
	v_pk_fma_f16 v12, v12, v16, v122
	v_lshrrev_b32_e32 v122, 16, v18
	v_mul_u32_u24_e32 v17, 0x10001, v17
	v_pk_fma_f16 v16, v15, v123, v74
	v_pk_fma_f16 v75, v14, v123, v75
	v_lshrrev_b32_e32 v123, 16, v19
	v_mul_u32_u24_e32 v122, 0x10001, v122
	v_pk_fma_f16 v74, v15, v17, v13
	v_pk_fma_f16 v121, v14, v17, v12
	v_and_b32_e32 v17, 0xffff, v18
	v_and_b32_e32 v124, 0xffff, v19
	v_mul_u32_u24_e32 v123, 0x10001, v123
	ds_load_b128 v[12:15], v97 offset:400
	v_mul_u32_u24_e32 v17, 0x10001, v17
	v_mul_u32_u24_e32 v124, 0x10001, v124
	s_wait_dscnt 0x7
	s_delay_alu instid0(VALU_DEP_2)
	v_pk_fma_f16 v125, v21, v17, v16
	v_pk_fma_f16 v75, v20, v17, v75
	;; [unrolled: 1-line block ×4, first 2 shown]
	ds_load_2addr_b64 v[16:19], v117 offset0:128 offset1:160
	v_pk_fma_f16 v74, v23, v124, v125
	v_pk_fma_f16 v75, v22, v124, v75
	;; [unrolled: 1-line block ×4, first 2 shown]
	s_wait_dscnt 0x7
	v_and_b32_e32 v123, 0xffff, v66
	v_lshrrev_b32_e32 v66, 16, v66
	v_and_b32_e32 v124, 0xffff, v67
	v_lshrrev_b32_e32 v67, 16, v67
	ds_load_2addr_b64 v[20:23], v117 offset0:192 offset1:224
	v_mul_u32_u24_e32 v123, 0x10001, v123
	v_mul_u32_u24_e32 v66, 0x10001, v66
	s_wait_dscnt 0x7
	s_delay_alu instid0(VALU_DEP_2)
	v_pk_fma_f16 v74, v25, v123, v74
	v_pk_fma_f16 v75, v24, v123, v75
	v_mul_u32_u24_e32 v123, 0x10001, v124
	v_pk_fma_f16 v25, v25, v66, v121
	v_pk_fma_f16 v24, v24, v66, v122
	v_lshrrev_b32_e32 v122, 16, v68
	v_mul_u32_u24_e32 v67, 0x10001, v67
	v_pk_fma_f16 v66, v27, v123, v74
	v_pk_fma_f16 v75, v26, v123, v75
	v_lshrrev_b32_e32 v123, 16, v69
	v_mul_u32_u24_e32 v122, 0x10001, v122
	v_pk_fma_f16 v74, v27, v67, v25
	v_pk_fma_f16 v121, v26, v67, v24
	v_and_b32_e32 v67, 0xffff, v68
	v_and_b32_e32 v124, 0xffff, v69
	v_mul_u32_u24_e32 v123, 0x10001, v123
	ds_load_b128 v[24:27], v97 offset:416
	s_wait_dscnt 0x7
	v_lshrrev_b32_e32 v126, 16, v3
	v_mul_u32_u24_e32 v67, 0x10001, v67
	v_mul_u32_u24_e32 v124, 0x10001, v124
	v_and_b32_e32 v3, 0xffff, v3
	s_wait_dscnt 0x6
	s_delay_alu instid0(VALU_DEP_3)
	v_pk_fma_f16 v125, v71, v67, v66
	v_pk_fma_f16 v75, v70, v67, v75
	;; [unrolled: 1-line block ×4, first 2 shown]
	v_mul_u32_u24_e32 v3, 0x10001, v3
	v_pk_fma_f16 v74, v73, v124, v125
	v_pk_fma_f16 v75, v72, v124, v75
	;; [unrolled: 1-line block ×4, first 2 shown]
	v_and_b32_e32 v123, 0xffff, v0
	v_lshrrev_b32_e32 v0, 16, v0
	v_and_b32_e32 v124, 0xffff, v1
	v_lshrrev_b32_e32 v1, 16, v1
	ds_load_2addr_b64 v[66:69], v118 offset1:32
	v_mul_u32_u24_e32 v123, 0x10001, v123
	v_mul_u32_u24_e32 v0, 0x10001, v0
	ds_load_2addr_b64 v[70:73], v118 offset0:64 offset1:96
	v_mul_u32_u24_e32 v1, 0x10001, v1
	s_wait_dscnt 0x7
	v_pk_fma_f16 v74, v5, v123, v74
	v_pk_fma_f16 v5, v5, v0, v121
	;; [unrolled: 1-line block ×4, first 2 shown]
	v_mul_u32_u24_e32 v123, 0x10001, v124
	s_delay_alu instid0(VALU_DEP_4) | instskip(NEXT) | instid1(VALU_DEP_4)
	v_pk_fma_f16 v121, v7, v1, v5
	v_pk_fma_f16 v0, v6, v1, v0
	v_and_b32_e32 v1, 0xffff, v2
	s_delay_alu instid0(VALU_DEP_4)
	v_pk_fma_f16 v74, v7, v123, v74
	v_pk_fma_f16 v75, v6, v123, v75
	v_lshrrev_b32_e32 v2, 16, v2
	ds_load_b128 v[4:7], v97 offset:432
	v_mul_u32_u24_e32 v1, 0x10001, v1
	ds_load_2addr_b64 v[122:125], v118 offset0:128 offset1:160
	v_mul_u32_u24_e32 v2, 0x10001, v2
	s_wait_dscnt 0x8
	v_pk_fma_f16 v74, v9, v1, v74
	v_pk_fma_f16 v1, v8, v1, v75
	v_mul_u32_u24_e32 v75, 0x10001, v126
	v_pk_fma_f16 v9, v9, v2, v121
	v_pk_fma_f16 v0, v8, v2, v0
	v_pk_fma_f16 v2, v11, v3, v74
	v_pk_fma_f16 v1, v10, v3, v1
	s_wait_dscnt 0x7
	v_and_b32_e32 v3, 0xffff, v12
	v_pk_fma_f16 v8, v11, v75, v9
	v_lshrrev_b32_e32 v9, 16, v12
	v_pk_fma_f16 v0, v10, v75, v0
	v_and_b32_e32 v10, 0xffff, v13
	v_mul_u32_u24_e32 v3, 0x10001, v3
	v_and_b32_e32 v11, 0xffff, v15
	v_mul_u32_u24_e32 v9, 0x10001, v9
	ds_load_2addr_b64 v[126:129], v118 offset0:192 offset1:224
	v_mul_u32_u24_e32 v10, 0x10001, v10
	s_wait_dscnt 0x7
	v_pk_fma_f16 v2, v17, v3, v2
	v_pk_fma_f16 v1, v16, v3, v1
	v_lshrrev_b32_e32 v3, 16, v13
	v_pk_fma_f16 v8, v17, v9, v8
	v_pk_fma_f16 v0, v16, v9, v0
	v_lshrrev_b32_e32 v9, 16, v14
	v_pk_fma_f16 v2, v19, v10, v2
	v_mul_u32_u24_e32 v3, 0x10001, v3
	v_pk_fma_f16 v1, v18, v10, v1
	v_lshrrev_b32_e32 v10, 16, v15
	s_delay_alu instid0(VALU_DEP_3)
	v_pk_fma_f16 v8, v19, v3, v8
	v_pk_fma_f16 v0, v18, v3, v0
	v_and_b32_e32 v3, 0xffff, v14
	ds_load_b128 v[16:19], v97 offset:448
	s_wait_dscnt 0x3
	v_lshrrev_b32_e32 v74, 16, v6
	ds_load_2addr_b64 v[12:15], v119 offset1:32
	v_and_b32_e32 v121, 0xffff, v7
	v_mul_u32_u24_e32 v3, 0x10001, v3
	v_lshrrev_b32_e32 v75, 16, v7
	v_mul_u32_u24_e32 v74, 0x10001, v74
	s_delay_alu instid0(VALU_DEP_4) | instskip(NEXT) | instid1(VALU_DEP_4)
	v_mul_u32_u24_e32 v121, 0x10001, v121
	v_pk_fma_f16 v2, v21, v3, v2
	v_pk_fma_f16 v1, v20, v3, v1
	v_mul_u32_u24_e32 v3, 0x10001, v9
	v_mul_u32_u24_e32 v9, 0x10001, v11
	s_delay_alu instid0(VALU_DEP_2) | instskip(SKIP_2) | instid1(VALU_DEP_4)
	v_pk_fma_f16 v0, v20, v3, v0
	v_and_b32_e32 v20, 0xffff, v24
	v_pk_fma_f16 v8, v21, v3, v8
	v_pk_fma_f16 v2, v23, v9, v2
	;; [unrolled: 1-line block ×3, first 2 shown]
	v_lshrrev_b32_e32 v21, 16, v24
	v_mul_u32_u24_e32 v10, 0x10001, v10
	v_mul_u32_u24_e32 v20, 0x10001, v20
	v_and_b32_e32 v24, 0xffff, v26
	s_delay_alu instid0(VALU_DEP_4) | instskip(NEXT) | instid1(VALU_DEP_4)
	v_mul_u32_u24_e32 v21, 0x10001, v21
	v_pk_fma_f16 v3, v23, v10, v8
	v_pk_fma_f16 v0, v22, v10, v0
	v_and_b32_e32 v22, 0xffff, v25
	v_pk_fma_f16 v2, v67, v20, v2
	v_pk_fma_f16 v1, v66, v20, v1
	v_lshrrev_b32_e32 v20, 16, v25
	v_pk_fma_f16 v3, v67, v21, v3
	v_mul_u32_u24_e32 v22, 0x10001, v22
	v_pk_fma_f16 v0, v66, v21, v0
	v_lshrrev_b32_e32 v66, 16, v26
	v_mul_u32_u24_e32 v20, 0x10001, v20
	v_lshrrev_b32_e32 v67, 16, v27
	v_pk_fma_f16 v1, v68, v22, v1
	v_mul_u32_u24_e32 v24, 0x10001, v24
	v_mul_u32_u24_e32 v66, 0x10001, v66
	v_pk_fma_f16 v3, v69, v20, v3
	v_pk_fma_f16 v0, v68, v20, v0
	;; [unrolled: 1-line block ×3, first 2 shown]
	v_and_b32_e32 v68, 0xffff, v27
	v_pk_fma_f16 v1, v70, v24, v1
	v_pk_fma_f16 v3, v71, v66, v3
	;; [unrolled: 1-line block ×3, first 2 shown]
	v_and_b32_e32 v70, 0xffff, v4
	v_lshrrev_b32_e32 v4, 16, v4
	v_mul_u32_u24_e32 v67, 0x10001, v67
	v_pk_fma_f16 v2, v71, v24, v2
	v_mul_u32_u24_e32 v68, 0x10001, v68
	v_and_b32_e32 v71, 0xffff, v5
	v_lshrrev_b32_e32 v5, 16, v5
	v_pk_fma_f16 v69, v73, v67, v3
	v_pk_fma_f16 v67, v72, v67, v0
	v_mul_u32_u24_e32 v4, 0x10001, v4
	v_pk_fma_f16 v66, v73, v68, v2
	v_pk_fma_f16 v68, v72, v68, v1
	v_mul_u32_u24_e32 v70, 0x10001, v70
	v_mul_u32_u24_e32 v5, 0x10001, v5
	s_wait_dscnt 0x3
	v_pk_fma_f16 v69, v123, v4, v69
	v_pk_fma_f16 v4, v122, v4, v67
	ds_load_2addr_b64 v[8:11], v119 offset0:64 offset1:96
	v_pk_fma_f16 v66, v123, v70, v66
	v_pk_fma_f16 v68, v122, v70, v68
	v_mul_u32_u24_e32 v70, 0x10001, v71
	v_pk_fma_f16 v73, v124, v5, v4
	v_and_b32_e32 v4, 0xffff, v6
	v_pk_fma_f16 v72, v125, v5, v69
	ds_load_b128 v[20:23], v97 offset:464
	v_pk_fma_f16 v71, v125, v70, v66
	v_pk_fma_f16 v70, v124, v70, v68
	v_mul_u32_u24_e32 v4, 0x10001, v4
	s_wait_dscnt 0x4
	v_pk_fma_f16 v72, v127, v74, v72
	v_pk_fma_f16 v73, v126, v74, v73
	s_wait_dscnt 0x3
	v_and_b32_e32 v74, 0xffff, v16
	v_dual_lshrrev_b32 v122, 16, v17 :: v_dual_lshrrev_b32 v124, 16, v18
	v_pk_fma_f16 v71, v127, v4, v71
	v_pk_fma_f16 v70, v126, v4, v70
	v_and_b32_e32 v123, 0xffff, v18
	ds_load_2addr_b64 v[24:27], v119 offset0:128 offset1:160
	v_and_b32_e32 v126, 0xffff, v19
	v_pk_fma_f16 v71, v129, v121, v71
	v_pk_fma_f16 v70, v128, v121, v70
	v_lshrrev_b32_e32 v121, 16, v16
	v_mul_u32_u24_e32 v16, 0x10001, v75
	v_and_b32_e32 v75, 0xffff, v17
	ds_load_b128 v[66:69], v97 offset:480
	v_lshrrev_b32_e32 v125, 16, v19
	ds_load_2addr_b64 v[0:3], v119 offset0:192 offset1:224
	v_pk_fma_f16 v72, v129, v16, v72
	v_pk_fma_f16 v73, v128, v16, v73
	v_mul_u32_u24_e32 v16, 0x10001, v74
	v_mul_u32_u24_e32 v74, 0x10001, v121
	ds_load_2addr_b64 v[4:7], v120 offset1:32
	s_wait_dscnt 0x4
	v_and_b32_e32 v121, 0xffff, v22
	v_lshrrev_b32_e32 v22, 16, v22
	v_pk_fma_f16 v71, v13, v16, v71
	v_pk_fma_f16 v70, v12, v16, v70
	;; [unrolled: 1-line block ×3, first 2 shown]
	v_mul_u32_u24_e32 v73, 0x10001, v75
	v_pk_fma_f16 v13, v13, v74, v72
	v_and_b32_e32 v72, 0xffff, v20
	v_lshrrev_b32_e32 v20, 16, v20
	v_and_b32_e32 v75, 0xffff, v21
	v_pk_fma_f16 v71, v15, v73, v71
	v_pk_fma_f16 v70, v14, v73, v70
	v_mul_u32_u24_e32 v73, 0x10001, v122
	v_lshrrev_b32_e32 v21, 16, v21
	v_mul_u32_u24_e32 v20, 0x10001, v20
	v_lshrrev_b32_e32 v122, 16, v23
	v_and_b32_e32 v23, 0xffff, v23
	v_pk_fma_f16 v74, v15, v73, v13
	v_pk_fma_f16 v73, v14, v73, v12
	v_mul_u32_u24_e32 v12, 0x10001, v123
	v_mul_u32_u24_e32 v123, 0x10001, v124
	;; [unrolled: 1-line block ×3, first 2 shown]
	ds_load_2addr_b64 v[16:19], v120 offset0:64 offset1:96
	v_mul_u32_u24_e32 v23, 0x10001, v23
	v_pk_fma_f16 v71, v9, v12, v71
	v_pk_fma_f16 v70, v8, v12, v70
	ds_load_b128 v[12:15], v97 offset:496
	v_pk_fma_f16 v9, v9, v123, v74
	v_mul_u32_u24_e32 v74, 0x10001, v126
	v_pk_fma_f16 v8, v8, v123, v73
	s_wait_dscnt 0x4
	v_lshrrev_b32_e32 v126, 16, v69
	v_and_b32_e32 v73, 0xffff, v66
	v_lshrrev_b32_e32 v66, 16, v66
	v_pk_fma_f16 v71, v11, v74, v71
	v_pk_fma_f16 v70, v10, v74, v70
	v_mul_u32_u24_e32 v74, 0x10001, v125
	v_and_b32_e32 v124, 0xffff, v67
	v_lshrrev_b32_e32 v67, 16, v67
	v_mul_u32_u24_e32 v73, 0x10001, v73
	v_mul_u32_u24_e32 v66, 0x10001, v66
	v_pk_fma_f16 v123, v11, v74, v9
	v_pk_fma_f16 v74, v10, v74, v8
	v_mul_u32_u24_e32 v8, 0x10001, v72
	v_mul_u32_u24_e32 v72, 0x10001, v75
	v_and_b32_e32 v125, 0xffff, v68
	v_lshrrev_b32_e32 v68, 16, v68
	v_mul_u32_u24_e32 v67, 0x10001, v67
	v_pk_fma_f16 v71, v25, v8, v71
	v_pk_fma_f16 v70, v24, v8, v70
	;; [unrolled: 1-line block ×4, first 2 shown]
	s_wait_dscnt 0x0
	v_and_b32_e32 v24, 0xffff, v12
	v_pk_fma_f16 v71, v27, v72, v71
	v_pk_fma_f16 v70, v26, v72, v70
	v_lshrrev_b32_e32 v72, 16, v12
	v_mul_u32_u24_e32 v12, 0x10001, v21
	ds_load_2addr_b64 v[8:11], v120 offset0:128 offset1:160
	v_and_b32_e32 v69, 0xffff, v69
	v_mul_u32_u24_e32 v68, 0x10001, v68
	v_lshrrev_b32_e32 v74, 16, v14
	v_pk_fma_f16 v21, v27, v12, v25
	v_pk_fma_f16 v20, v26, v12, v20
	v_mul_u32_u24_e32 v12, 0x10001, v121
	v_mul_u32_u24_e32 v121, 0x10001, v122
	;; [unrolled: 1-line block ×4, first 2 shown]
	v_and_b32_e32 v25, 0xffff, v13
	v_pk_fma_f16 v71, v1, v12, v71
	v_pk_fma_f16 v70, v0, v12, v70
	;; [unrolled: 1-line block ×4, first 2 shown]
	v_lshrrev_b32_e32 v26, 16, v13
	v_pk_fma_f16 v21, v3, v23, v71
	v_and_b32_e32 v27, 0xffff, v14
	v_pk_fma_f16 v1, v3, v121, v1
	v_pk_fma_f16 v3, v2, v23, v70
	;; [unrolled: 1-line block ×4, first 2 shown]
	v_lshrrev_b32_e32 v75, 16, v15
	v_pk_fma_f16 v1, v5, v66, v1
	v_pk_fma_f16 v3, v4, v73, v3
	;; [unrolled: 1-line block ×4, first 2 shown]
	v_and_b32_e32 v123, 0xffff, v15
	v_pk_fma_f16 v1, v7, v67, v1
	v_pk_fma_f16 v3, v6, v122, v3
	;; [unrolled: 1-line block ×3, first 2 shown]
	ds_load_2addr_b64 v[12:15], v120 offset0:192 offset1:224
	v_mul_u32_u24_e32 v69, 0x10001, v69
	v_mul_u32_u24_e32 v125, 0x10001, v126
	v_pk_fma_f16 v5, v17, v124, v5
	v_pk_fma_f16 v1, v17, v68, v1
	;; [unrolled: 1-line block ×4, first 2 shown]
	s_wait_dscnt 0x0
	s_barrier_signal -1
	s_barrier_wait -1
	s_load_b32 s2, s[38:39], 0x4
	v_mul_u32_u24_e32 v20, 0x10001, v24
	v_mul_u32_u24_e32 v2, 0x10001, v72
	v_pk_fma_f16 v5, v19, v69, v5
	v_pk_fma_f16 v1, v19, v125, v1
	v_pk_fma_f16 v3, v18, v69, v3
	v_pk_fma_f16 v0, v18, v125, v0
	v_mul_u32_u24_e32 v4, 0x10001, v25
	v_mul_u32_u24_e32 v6, 0x10001, v26
	v_pk_fma_f16 v5, v9, v20, v5
	v_pk_fma_f16 v1, v9, v2, v1
	v_pk_fma_f16 v3, v8, v20, v3
	v_pk_fma_f16 v0, v8, v2, v0
	;; [unrolled: 6-line block ×4, first 2 shown]
	s_wait_kmcnt 0x0
	s_lshl_b32 s2, s2, 7
	v_pk_fma_f16 v124, v15, v2, v5
	v_pk_fma_f16 v121, v15, v4, v1
	;; [unrolled: 1-line block ×4, first 2 shown]
	s_add_co_i32 s10, s2, s10
	s_delay_alu instid0(SALU_CYCLE_1)
	s_cmp_ge_i32 s10, s34
	s_cbranch_scc0 .LBB40_9
; %bb.10:
	v_mov_b32_e32 v3, v81
.LBB40_11:
	v_cmp_lt_i32_e32 vcc_lo, v91, v82
	s_cmp_lg_u64 s[12:13], 0
	s_cselect_b32 s2, -1, 0
	s_cmp_eq_u32 s33, 0
	v_cndmask_b32_e32 v0, v3, v91, vcc_lo
	v_cmp_lt_i32_e32 vcc_lo, v88, v82
	s_cselect_b32 s3, -1, 0
	s_delay_alu instid0(SALU_CYCLE_1) | instskip(SKIP_3) | instid1(VALU_DEP_3)
	s_and_b32 s2, s3, s2
	v_cndmask_b32_e32 v2, v3, v88, vcc_lo
	v_lshlrev_b32_e32 v1, 2, v0
	v_cmp_lt_i32_e32 vcc_lo, v86, v82
	v_lshlrev_b32_e32 v2, 2, v2
	ds_bpermute_b32 v0, v1, v52
	ds_bpermute_b32 v1, v1, v53
	s_wait_dscnt 0x0
	v_pk_add_f32 v[0:1], v[52:53], v[0:1]
	ds_bpermute_b32 v4, v2, v0
	ds_bpermute_b32 v5, v2, v1
	v_cndmask_b32_e32 v2, v3, v86, vcc_lo
	v_cmp_lt_i32_e32 vcc_lo, v85, v82
	s_delay_alu instid0(VALU_DEP_2)
	v_lshlrev_b32_e32 v2, 2, v2
	s_wait_dscnt 0x0
	v_pk_add_f32 v[0:1], v[0:1], v[4:5]
	ds_bpermute_b32 v4, v2, v0
	ds_bpermute_b32 v5, v2, v1
	v_cndmask_b32_e32 v2, v3, v85, vcc_lo
	v_cmp_lt_i32_e32 vcc_lo, v83, v82
	s_delay_alu instid0(VALU_DEP_2)
	v_lshlrev_b32_e32 v2, 2, v2
	s_wait_dscnt 0x0
	v_pk_add_f32 v[0:1], v[0:1], v[4:5]
	ds_bpermute_b32 v4, v2, v0
	ds_bpermute_b32 v5, v2, v1
	v_cndmask_b32_e32 v2, v3, v83, vcc_lo
	s_and_b32 vcc_lo, exec_lo, s2
	s_delay_alu instid0(VALU_DEP_1)
	v_lshlrev_b32_e32 v3, 2, v2
	s_wait_dscnt 0x0
	v_pk_add_f32 v[0:1], v[0:1], v[4:5]
	ds_bpermute_b32 v2, v3, v0
	ds_bpermute_b32 v3, v3, v1
	s_wait_dscnt 0x0
	v_pk_add_f32 v[0:1], v[0:1], v[2:3]
	s_cbranch_vccz .LBB40_13
; %bb.12:
	s_ashr_i32 s31, s30, 31
	v_dual_mov_b32 v2, 0 :: v_dual_max_num_f32 v4, v64, v64
	s_lshl_b64 s[2:3], s[30:31], 2
	v_max_num_f32_e32 v6, v65, v65
	s_add_nc_u64 s[2:3], s[12:13], s[2:3]
	global_load_b64 v[2:3], v2, s[2:3]
	s_wait_loadcnt 0x0
	v_dual_max_num_f32 v5, v2, v2 :: v_dual_max_num_f32 v7, v3, v3
	s_delay_alu instid0(VALU_DEP_1) | instskip(NEXT) | instid1(VALU_DEP_1)
	v_dual_max_num_f32 v4, v4, v5 :: v_dual_max_num_f32 v5, v6, v7
	v_dual_sub_f32 v6, v64, v4 :: v_dual_sub_f32 v7, v2, v4
	s_delay_alu instid0(VALU_DEP_2) | instskip(SKIP_1) | instid1(VALU_DEP_3)
	v_dual_sub_f32 v8, v65, v5 :: v_dual_sub_f32 v9, v3, v5
	v_mov_b64_e32 v[64:65], v[4:5]
	v_dual_mul_f32 v2, 0x3fb8aa3b, v6 :: v_dual_mul_f32 v3, 0x3fb8aa3b, v7
	s_delay_alu instid0(VALU_DEP_3) | instskip(SKIP_1) | instid1(VALU_DEP_3)
	v_mul_f32_e32 v10, 0x3fb8aa3b, v8
	v_cmp_ngt_f32_e32 vcc_lo, 0xc2ce8ed0, v6
	v_fma_f32 v12, 0x3fb8aa3b, v6, -v2
	v_rndne_f32_e32 v13, v2
	v_rndne_f32_e32 v15, v3
	v_fma_f32 v14, 0x3fb8aa3b, v7, -v3
	v_fma_f32 v16, 0x3fb8aa3b, v8, -v10
	v_fmac_f32_e32 v12, 0x32a5705f, v6
	s_delay_alu instid0(VALU_DEP_4) | instskip(SKIP_3) | instid1(VALU_DEP_4)
	v_dual_sub_f32 v2, v2, v13 :: v_dual_sub_f32 v3, v3, v15
	v_mul_f32_e32 v11, 0x3fb8aa3b, v9
	v_rndne_f32_e32 v17, v10
	v_cvt_i32_f32_e32 v13, v13
	v_add_f32_e32 v2, v2, v12
	v_fmac_f32_e32 v14, 0x32a5705f, v7
	v_fma_f32 v18, 0x3fb8aa3b, v9, -v11
	v_rndne_f32_e32 v19, v11
	v_fmac_f32_e32 v16, 0x32a5705f, v8
	v_exp_f32_e32 v2, v2
	s_delay_alu instid0(VALU_DEP_3) | instskip(NEXT) | instid1(VALU_DEP_3)
	v_dual_add_f32 v3, v3, v14 :: v_dual_fmac_f32 v18, 0x32a5705f, v9
	v_dual_sub_f32 v11, v11, v19 :: v_dual_sub_f32 v10, v10, v17
	v_cvt_i32_f32_e32 v14, v17
	s_delay_alu instid0(VALU_DEP_3) | instskip(NEXT) | instid1(TRANS32_DEP_2)
	v_exp_f32_e32 v3, v3
	v_ldexp_f32 v2, v2, v13
	s_delay_alu instid0(VALU_DEP_3) | instskip(SKIP_2) | instid1(VALU_DEP_4)
	v_dual_add_f32 v11, v11, v18 :: v_dual_add_f32 v10, v10, v16
	v_cvt_i32_f32_e32 v12, v15
	v_cvt_i32_f32_e32 v15, v19
	v_cndmask_b32_e32 v2, 0, v2, vcc_lo
	v_cmp_ngt_f32_e32 vcc_lo, 0xc2ce8ed0, v8
	v_exp_f32_e32 v10, v10
	v_exp_f32_e32 v11, v11
	s_delay_alu instid0(TRANS32_DEP_2) | instskip(NEXT) | instid1(VALU_DEP_1)
	v_ldexp_f32 v10, v10, v14
	v_cndmask_b32_e32 v10, 0, v10, vcc_lo
	v_cmp_nlt_f32_e32 vcc_lo, 0x42b17218, v6
	v_ldexp_f32 v6, v3, v12
	v_cndmask_b32_e32 v2, 0x7f800000, v2, vcc_lo
	v_cmp_nlt_f32_e32 vcc_lo, 0x42b17218, v8
	v_ldexp_f32 v8, v11, v15
	v_cndmask_b32_e32 v3, 0x7f800000, v10, vcc_lo
	v_cmp_ngt_f32_e32 vcc_lo, 0xc2ce8ed0, v7
	v_cvt_f16_f32_e32 v10, v2
	s_delay_alu instid0(VALU_DEP_3) | instskip(SKIP_2) | instid1(VALU_DEP_4)
	v_cvt_f16_f32_e32 v11, v3
	v_cndmask_b32_e32 v6, 0, v6, vcc_lo
	v_cmp_ngt_f32_e32 vcc_lo, 0xc2ce8ed0, v9
	v_and_b32_e32 v10, 0xffff, v10
	s_delay_alu instid0(VALU_DEP_4)
	v_and_b32_e32 v11, 0xffff, v11
	v_cndmask_b32_e32 v8, 0, v8, vcc_lo
	v_cmp_nlt_f32_e32 vcc_lo, 0x42b17218, v7
	v_cndmask_b32_e32 v6, 0x7f800000, v6, vcc_lo
	v_cmp_nlt_f32_e32 vcc_lo, 0x42b17218, v9
	v_mul_u32_u24_e32 v9, 0x10001, v11
	v_cndmask_b32_e32 v7, 0x7f800000, v8, vcc_lo
	v_mul_u32_u24_e32 v8, 0x10001, v10
	s_delay_alu instid0(VALU_DEP_3) | instskip(SKIP_1) | instid1(VALU_DEP_4)
	v_pk_mul_f16 v122, v122, v9
	v_pk_mul_f16 v121, v121, v9
	v_pk_fma_f32 v[0:1], v[0:1], v[2:3], v[6:7]
	s_delay_alu instid0(VALU_DEP_4)
	v_pk_mul_f16 v123, v123, v8
	v_pk_mul_f16 v124, v124, v8
.LBB40_13:
	s_mov_b32 s2, exec_lo
	v_cmpx_gt_i32_e64 s22, v77
	s_cbranch_execz .LBB40_22
; %bb.14:
	s_load_b32 s0, s[0:1], 0xd4
	v_mov_b32_e32 v2, 1.0
	s_wait_kmcnt 0x0
	s_cmp_lg_u32 s0, 1
	s_cselect_b32 s2, -1, 0
	s_cmp_eq_u32 s0, 1
	s_cselect_b32 s1, -1, 0
	s_and_b32 vcc_lo, exec_lo, s2
	s_cbranch_vccnz .LBB40_16
; %bb.15:
	v_div_scale_f32 v2, null, v0, v0, 1.0
	s_delay_alu instid0(VALU_DEP_1) | instskip(SKIP_1) | instid1(TRANS32_DEP_1)
	v_rcp_f32_e32 v3, v2
	v_nop
	v_fma_f32 v4, -v2, v3, 1.0
	s_delay_alu instid0(VALU_DEP_1) | instskip(SKIP_1) | instid1(VALU_DEP_1)
	v_fmac_f32_e32 v3, v4, v3
	v_div_scale_f32 v4, vcc_lo, 1.0, v0, 1.0
	v_mul_f32_e32 v5, v4, v3
	s_delay_alu instid0(VALU_DEP_1) | instskip(NEXT) | instid1(VALU_DEP_1)
	v_fma_f32 v6, -v2, v5, v4
	v_fmac_f32_e32 v5, v6, v3
	s_delay_alu instid0(VALU_DEP_1) | instskip(NEXT) | instid1(VALU_DEP_1)
	v_fma_f32 v2, -v2, v5, v4
	v_div_fmas_f32 v2, v2, v3, v5
	s_delay_alu instid0(VALU_DEP_1)
	v_div_fixup_f32 v2, v2, v0, 1.0
.LBB40_16:
	v_mad_u32 v3, s28, s22, v77
	v_dual_lshrrev_b32 v5, 16, v123 :: v_dual_mov_b32 v7, 0
	v_lshrrev_b32_e32 v9, 16, v124
	v_cvt_f32_f16_e32 v4, v123
	v_cvt_f32_f16_e32 v8, v124
	s_delay_alu instid0(VALU_DEP_4) | instskip(SKIP_4) | instid1(VALU_DEP_1)
	v_cvt_f32_f16_e32 v5, v5
	v_cmp_eq_u32_e32 vcc_lo, 0, v76
	v_cvt_f32_f16_e32 v9, v9
	v_mad_u32 v3, v3, s23, s30
	s_and_b32 s2, vcc_lo, s2
	v_mad_u32 v3, s0, v3, s33
	s_delay_alu instid0(VALU_DEP_1) | instskip(SKIP_1) | instid1(VALU_DEP_2)
	v_lshl_add_u32 v6, v3, 7, v78
	v_pk_mul_f32 v[4:5], v[2:3], v[4:5] op_sel_hi:[0,1]
	v_lshl_add_u64 v[10:11], v[6:7], 2, s[16:17]
	v_pk_mul_f32 v[6:7], v[2:3], v[8:9] op_sel_hi:[0,1]
	global_store_b128 v[10:11], v[4:7], off
	s_wait_xcnt 0x0
	s_and_saveexec_b32 s3, s2
	s_cbranch_execz .LBB40_18
; %bb.17:
	v_dual_mov_b32 v4, v64 :: v_dual_mov_b32 v5, v0
	global_store_b64 v3, v[4:5], s[18:19] scale_offset
.LBB40_18:
	s_wait_xcnt 0x0
	s_or_b32 exec_lo, exec_lo, s3
	v_mov_b32_e32 v0, 1.0
	s_and_not1_b32 vcc_lo, exec_lo, s1
	s_cbranch_vccnz .LBB40_20
; %bb.19:
	v_div_scale_f32 v0, null, v1, v1, 1.0
	s_delay_alu instid0(VALU_DEP_1) | instskip(SKIP_1) | instid1(TRANS32_DEP_1)
	v_rcp_f32_e32 v2, v0
	v_nop
	v_fma_f32 v4, -v0, v2, 1.0
	s_delay_alu instid0(VALU_DEP_1) | instskip(SKIP_1) | instid1(VALU_DEP_1)
	v_fmac_f32_e32 v2, v4, v2
	v_div_scale_f32 v4, vcc_lo, 1.0, v1, 1.0
	v_mul_f32_e32 v5, v4, v2
	s_delay_alu instid0(VALU_DEP_1) | instskip(NEXT) | instid1(VALU_DEP_1)
	v_fma_f32 v6, -v0, v5, v4
	v_fmac_f32_e32 v5, v6, v2
	s_delay_alu instid0(VALU_DEP_1) | instskip(NEXT) | instid1(VALU_DEP_1)
	v_fma_f32 v0, -v0, v5, v4
	v_div_fmas_f32 v0, v0, v2, v5
	s_delay_alu instid0(VALU_DEP_1)
	v_div_fixup_f32 v0, v0, v1, 1.0
.LBB40_20:
	v_dual_add_nc_u32 v2, s0, v3 :: v_dual_lshrrev_b32 v3, 16, v122
	v_dual_mov_b32 v5, 0 :: v_dual_lshrrev_b32 v9, 16, v121
	v_cvt_f32_f16_e32 v6, v122
	s_delay_alu instid0(VALU_DEP_3) | instskip(NEXT) | instid1(VALU_DEP_4)
	v_lshl_add_u32 v4, v2, 7, v78
	v_cvt_f32_f16_e32 v7, v3
	v_cvt_f32_f16_e32 v8, v121
	;; [unrolled: 1-line block ×3, first 2 shown]
	s_delay_alu instid0(VALU_DEP_4) | instskip(NEXT) | instid1(VALU_DEP_4)
	v_lshl_add_u64 v[10:11], v[4:5], 2, s[16:17]
	v_pk_mul_f32 v[4:5], v[0:1], v[6:7] op_sel_hi:[0,1]
	s_delay_alu instid0(VALU_DEP_3)
	v_pk_mul_f32 v[6:7], v[0:1], v[8:9] op_sel_hi:[0,1]
	global_store_b128 v[10:11], v[4:7], off
	s_wait_xcnt 0x0
	s_and_b32 exec_lo, exec_lo, s2
	s_cbranch_execz .LBB40_22
; %bb.21:
	v_mov_b32_e32 v0, v65
	global_store_b64 v2, v[0:1], s[18:19] scale_offset
.LBB40_22:
	s_sendmsg sendmsg(MSG_DEALLOC_VGPRS)
	s_endpgm
	.section	.rodata,"a",@progbits
	.p2align	6, 0x0
	.amdhsa_kernel _ZL15flash_attn_tileILi128ELi128ELi8ELi2ELb0EEvPKcS1_S1_S1_S1_PKiPfP15HIP_vector_typeIfLj2EEffffjfiS5_IjLj3EEiiiiiiiiiiiliiliiiiil
		.amdhsa_group_segment_fixed_size 43008
		.amdhsa_private_segment_fixed_size 0
		.amdhsa_kernarg_size 464
		.amdhsa_user_sgpr_count 2
		.amdhsa_user_sgpr_dispatch_ptr 0
		.amdhsa_user_sgpr_queue_ptr 0
		.amdhsa_user_sgpr_kernarg_segment_ptr 1
		.amdhsa_user_sgpr_dispatch_id 0
		.amdhsa_user_sgpr_kernarg_preload_length 0
		.amdhsa_user_sgpr_kernarg_preload_offset 0
		.amdhsa_user_sgpr_private_segment_size 0
		.amdhsa_wavefront_size32 1
		.amdhsa_uses_dynamic_stack 0
		.amdhsa_enable_private_segment 0
		.amdhsa_system_sgpr_workgroup_id_x 1
		.amdhsa_system_sgpr_workgroup_id_y 1
		.amdhsa_system_sgpr_workgroup_id_z 1
		.amdhsa_system_sgpr_workgroup_info 0
		.amdhsa_system_vgpr_workitem_id 1
		.amdhsa_next_free_vgpr 138
		.amdhsa_next_free_sgpr 43
		.amdhsa_named_barrier_count 0
		.amdhsa_reserve_vcc 1
		.amdhsa_float_round_mode_32 0
		.amdhsa_float_round_mode_16_64 0
		.amdhsa_float_denorm_mode_32 3
		.amdhsa_float_denorm_mode_16_64 3
		.amdhsa_fp16_overflow 0
		.amdhsa_memory_ordered 1
		.amdhsa_forward_progress 1
		.amdhsa_inst_pref_size 125
		.amdhsa_round_robin_scheduling 0
		.amdhsa_exception_fp_ieee_invalid_op 0
		.amdhsa_exception_fp_denorm_src 0
		.amdhsa_exception_fp_ieee_div_zero 0
		.amdhsa_exception_fp_ieee_overflow 0
		.amdhsa_exception_fp_ieee_underflow 0
		.amdhsa_exception_fp_ieee_inexact 0
		.amdhsa_exception_int_div_zero 0
	.end_amdhsa_kernel
	.section	.text._ZL15flash_attn_tileILi128ELi128ELi8ELi2ELb0EEvPKcS1_S1_S1_S1_PKiPfP15HIP_vector_typeIfLj2EEffffjfiS5_IjLj3EEiiiiiiiiiiiliiliiiiil,"axG",@progbits,_ZL15flash_attn_tileILi128ELi128ELi8ELi2ELb0EEvPKcS1_S1_S1_S1_PKiPfP15HIP_vector_typeIfLj2EEffffjfiS5_IjLj3EEiiiiiiiiiiiliiliiiiil,comdat
.Lfunc_end40:
	.size	_ZL15flash_attn_tileILi128ELi128ELi8ELi2ELb0EEvPKcS1_S1_S1_S1_PKiPfP15HIP_vector_typeIfLj2EEffffjfiS5_IjLj3EEiiiiiiiiiiiliiliiiiil, .Lfunc_end40-_ZL15flash_attn_tileILi128ELi128ELi8ELi2ELb0EEvPKcS1_S1_S1_S1_PKiPfP15HIP_vector_typeIfLj2EEffffjfiS5_IjLj3EEiiiiiiiiiiiliiliiiiil
                                        ; -- End function
	.set _ZL15flash_attn_tileILi128ELi128ELi8ELi2ELb0EEvPKcS1_S1_S1_S1_PKiPfP15HIP_vector_typeIfLj2EEffffjfiS5_IjLj3EEiiiiiiiiiiiliiliiiiil.num_vgpr, 138
	.set _ZL15flash_attn_tileILi128ELi128ELi8ELi2ELb0EEvPKcS1_S1_S1_S1_PKiPfP15HIP_vector_typeIfLj2EEffffjfiS5_IjLj3EEiiiiiiiiiiiliiliiiiil.num_agpr, 0
	.set _ZL15flash_attn_tileILi128ELi128ELi8ELi2ELb0EEvPKcS1_S1_S1_S1_PKiPfP15HIP_vector_typeIfLj2EEffffjfiS5_IjLj3EEiiiiiiiiiiiliiliiiiil.numbered_sgpr, 43
	.set _ZL15flash_attn_tileILi128ELi128ELi8ELi2ELb0EEvPKcS1_S1_S1_S1_PKiPfP15HIP_vector_typeIfLj2EEffffjfiS5_IjLj3EEiiiiiiiiiiiliiliiiiil.num_named_barrier, 0
	.set _ZL15flash_attn_tileILi128ELi128ELi8ELi2ELb0EEvPKcS1_S1_S1_S1_PKiPfP15HIP_vector_typeIfLj2EEffffjfiS5_IjLj3EEiiiiiiiiiiiliiliiiiil.private_seg_size, 0
	.set _ZL15flash_attn_tileILi128ELi128ELi8ELi2ELb0EEvPKcS1_S1_S1_S1_PKiPfP15HIP_vector_typeIfLj2EEffffjfiS5_IjLj3EEiiiiiiiiiiiliiliiiiil.uses_vcc, 1
	.set _ZL15flash_attn_tileILi128ELi128ELi8ELi2ELb0EEvPKcS1_S1_S1_S1_PKiPfP15HIP_vector_typeIfLj2EEffffjfiS5_IjLj3EEiiiiiiiiiiiliiliiiiil.uses_flat_scratch, 0
	.set _ZL15flash_attn_tileILi128ELi128ELi8ELi2ELb0EEvPKcS1_S1_S1_S1_PKiPfP15HIP_vector_typeIfLj2EEffffjfiS5_IjLj3EEiiiiiiiiiiiliiliiiiil.has_dyn_sized_stack, 0
	.set _ZL15flash_attn_tileILi128ELi128ELi8ELi2ELb0EEvPKcS1_S1_S1_S1_PKiPfP15HIP_vector_typeIfLj2EEffffjfiS5_IjLj3EEiiiiiiiiiiiliiliiiiil.has_recursion, 0
	.set _ZL15flash_attn_tileILi128ELi128ELi8ELi2ELb0EEvPKcS1_S1_S1_S1_PKiPfP15HIP_vector_typeIfLj2EEffffjfiS5_IjLj3EEiiiiiiiiiiiliiliiiiil.has_indirect_call, 0
	.section	.AMDGPU.csdata,"",@progbits
; Kernel info:
; codeLenInByte = 15876
; TotalNumSgprs: 45
; NumVgprs: 138
; ScratchSize: 0
; MemoryBound: 0
; FloatMode: 240
; IeeeMode: 1
; LDSByteSize: 43008 bytes/workgroup (compile time only)
; SGPRBlocks: 0
; VGPRBlocks: 8
; NumSGPRsForWavesPerEU: 45
; NumVGPRsForWavesPerEU: 138
; NamedBarCnt: 0
; Occupancy: 7
; WaveLimiterHint : 1
; COMPUTE_PGM_RSRC2:SCRATCH_EN: 0
; COMPUTE_PGM_RSRC2:USER_SGPR: 2
; COMPUTE_PGM_RSRC2:TRAP_HANDLER: 0
; COMPUTE_PGM_RSRC2:TGID_X_EN: 1
; COMPUTE_PGM_RSRC2:TGID_Y_EN: 1
; COMPUTE_PGM_RSRC2:TGID_Z_EN: 1
; COMPUTE_PGM_RSRC2:TIDIG_COMP_CNT: 1
	.section	.text._ZL33flash_attn_stream_k_fixup_uniformILi128ELi8ELi2EEvPfPK15HIP_vector_typeIfLj2EEiiiiiiS1_IjLj3EES5_S5_,"axG",@progbits,_ZL33flash_attn_stream_k_fixup_uniformILi128ELi8ELi2EEvPfPK15HIP_vector_typeIfLj2EEiiiiiiS1_IjLj3EES5_S5_,comdat
	.globl	_ZL33flash_attn_stream_k_fixup_uniformILi128ELi8ELi2EEvPfPK15HIP_vector_typeIfLj2EEiiiiiiS1_IjLj3EES5_S5_ ; -- Begin function _ZL33flash_attn_stream_k_fixup_uniformILi128ELi8ELi2EEvPfPK15HIP_vector_typeIfLj2EEiiiiiiS1_IjLj3EES5_S5_
	.p2align	8
	.type	_ZL33flash_attn_stream_k_fixup_uniformILi128ELi8ELi2EEvPfPK15HIP_vector_typeIfLj2EEiiiiiiS1_IjLj3EES5_S5_,@function
_ZL33flash_attn_stream_k_fixup_uniformILi128ELi8ELi2EEvPfPK15HIP_vector_typeIfLj2EEiiiiiiS1_IjLj3EES5_S5_: ; @_ZL33flash_attn_stream_k_fixup_uniformILi128ELi8ELi2EEvPfPK15HIP_vector_typeIfLj2EEiiiiiiS1_IjLj3EES5_S5_
; %bb.0:
	s_load_b256 s[4:11], s[0:1], 0x1c
	s_bfe_u32 s2, ttmp6, 0x40014
	s_lshr_b32 s3, ttmp7, 16
	s_add_co_i32 s2, s2, 1
	s_bfe_u32 s13, ttmp6, 0x40010
	s_mul_i32 s2, s3, s2
	s_bfe_u32 s12, ttmp6, 0x40008
	s_and_b32 s15, ttmp7, 0xffff
	s_add_co_i32 s13, s13, 1
	s_bfe_u32 s14, ttmp6, 0x4000c
	s_add_co_i32 s12, s12, s2
	s_mul_i32 s2, s15, s13
	s_bfe_u32 s13, ttmp6, 0x40004
	s_add_co_i32 s14, s14, 1
	s_add_co_i32 s13, s13, s2
	s_and_b32 s2, ttmp6, 15
	s_mul_i32 s14, ttmp9, s14
	s_getreg_b32 s20, hwreg(HW_REG_IB_STS2, 6, 4)
	s_add_co_i32 s2, s2, s14
	s_load_b128 s[16:19], s[0:1], 0x3c
	s_cmp_eq_u32 s20, 0
	s_cselect_b32 s14, ttmp9, s2
	s_cselect_b32 s13, s15, s13
	s_wait_kmcnt 0x0
	s_mul_hi_u32 s2, s7, s14
	s_cselect_b32 s12, s3, s12
	s_add_co_i32 s2, s14, s2
	s_delay_alu instid0(SALU_CYCLE_1) | instskip(NEXT) | instid1(SALU_CYCLE_1)
	s_lshr_b32 s7, s2, s8
	s_mul_i32 s2, s7, s9
	s_delay_alu instid0(SALU_CYCLE_1) | instskip(NEXT) | instid1(SALU_CYCLE_1)
	s_sub_co_i32 s8, s14, s2
	s_mul_hi_u32 s2, s8, s10
	s_delay_alu instid0(SALU_CYCLE_1) | instskip(SKIP_2) | instid1(SALU_CYCLE_1)
	s_add_co_i32 s9, s8, s2
	s_load_b64 s[2:3], s[0:1], 0x10
	s_lshr_b32 s15, s9, s11
	s_mul_i32 s9, s15, s16
	s_delay_alu instid0(SALU_CYCLE_1) | instskip(NEXT) | instid1(SALU_CYCLE_1)
	s_sub_co_i32 s8, s8, s9
	s_mul_hi_u32 s9, s8, s17
	s_delay_alu instid0(SALU_CYCLE_1) | instskip(NEXT) | instid1(SALU_CYCLE_1)
	s_add_co_i32 s9, s8, s9
	s_lshr_b32 s9, s9, s18
	s_delay_alu instid0(SALU_CYCLE_1) | instskip(SKIP_2) | instid1(SALU_CYCLE_1)
	s_mul_i32 s10, s9, s19
	s_lshl_b32 s17, s9, 1
	s_sub_co_i32 s16, s8, s10
	s_lshl_b32 s8, s16, 3
	s_delay_alu instid0(SALU_CYCLE_1) | instskip(SKIP_4) | instid1(SALU_CYCLE_1)
	s_add_co_i32 s8, s8, s13
	s_wait_kmcnt 0x0
	s_cmp_lt_i32 s8, s2
	s_cselect_b32 s8, -1, 0
	s_add_co_i32 s9, s17, s12
	s_cmp_lt_i32 s9, s5
	s_cselect_b32 s9, -1, 0
	s_delay_alu instid0(SALU_CYCLE_1) | instskip(NEXT) | instid1(SALU_CYCLE_1)
	s_and_b32 s8, s8, s9
	s_and_not1_b32 vcc_lo, exec_lo, s8
	s_cbranch_vccnz .LBB41_6
; %bb.1:
	s_mul_i32 s2, s7, s2
	s_load_b128 s[8:11], s[0:1], 0x0
	s_wait_xcnt 0x0
	s_add_co_i32 s0, s2, s13
	s_mul_i32 s15, s15, s5
	s_mul_i32 s0, s0, s3
	;; [unrolled: 1-line block ×3, first 2 shown]
	s_add_co_i32 s0, s0, s12
	s_lshl_b32 s1, s1, 10
	s_add_co_i32 s0, s0, s15
	s_mul_i32 s7, s6, s14
	s_add_co_i32 s0, s0, s17
	s_lshl_b32 s5, s13, 1
	s_lshl_b32 s0, s0, 7
	s_add_co_i32 s15, s7, s6
	s_add_co_i32 s1, s1, s0
	s_add_co_i32 s0, s5, s12
	v_or_b32_e32 v4, s1, v0
	s_lshl_b32 s1, s15, 4
	s_add_co_i32 s2, s15, -2
	s_add_co_i32 s0, s0, s1
	s_delay_alu instid0(SALU_CYCLE_1)
	s_add_co_i32 s0, s0, -16
	s_wait_kmcnt 0x0
	global_load_b32 v3, v4, s[8:9] scale_offset
	s_ashr_i32 s1, s0, 31
	v_ashrrev_i32_e32 v5, 31, v4
	s_lshl_b64 s[0:1], s[0:1], 3
	s_cmp_lt_i32 s2, s7
	s_add_nc_u64 s[0:1], s[10:11], s[0:1]
	s_load_b32 s16, s[0:1], 0x4
	s_cbranch_scc1 .LBB41_4
; %bb.2:
	s_wait_xcnt 0x0
	s_load_b32 s0, s[0:1], 0x0
	s_add_co_i32 s14, s14, 1
	s_lshl_b32 s3, s13, 8
	s_wait_xcnt 0x0
	s_mul_i32 s1, s6, s14
	s_lshl_b32 s6, s12, 7
	s_lshl_b32 s13, s1, 11
	s_add_co_i32 s6, s6, s3
	s_lshl_b32 s1, s1, 4
	s_add_co_i32 s6, s6, s13
	s_lshl_b32 s2, s4, 6
	s_wait_kmcnt 0x0
	v_dual_mov_b32 v2, s16 :: v_dual_bitop2_b32 v0, s6, v0 bitop3:0x54
	s_add_co_i32 s1, s12, s1
	s_lshl_b32 s4, s4, 4
	s_ashr_i32 s3, s2, 31
	s_add_co_i32 s1, s1, s4
	v_add_nc_u32_e32 v0, 0xfffff000, v0
	s_lshl_b64 s[2:3], s[2:3], 2
	s_add_co_i32 s4, s1, s5
	s_add_nc_u64 s[2:3], s[10:11], s[2:3]
	s_add_co_i32 s1, s15, -1
	s_sub_co_i32 s4, s4, 32
.LBB41_3:                               ; =>This Inner Loop Header: Depth=1
	global_load_b32 v7, v0, s[2:3] scale_offset
	s_ashr_i32 s5, s4, 31
	v_max_num_f32_e64 v1, s0, s0
	s_lshl_b64 s[12:13], s[4:5], 3
	s_delay_alu instid0(SALU_CYCLE_1) | instskip(SKIP_1) | instid1(VALU_DEP_1)
	s_add_nc_u64 s[12:13], s[10:11], s[12:13]
	s_load_b64 s[12:13], s[12:13], 0x0
	v_readfirstlane_b32 s5, v1
	v_add_nc_u32_e32 v0, 0xfffff800, v0
	s_wait_kmcnt 0x0
	v_max_num_f32_e64 v1, s12, s12
	s_delay_alu instid0(VALU_DEP_1) | instskip(SKIP_1) | instid1(SALU_CYCLE_3)
	v_readfirstlane_b32 s6, v1
	s_max_num_f32 s5, s5, s6
	s_sub_f32 s0, s0, s5
	s_sub_f32 s6, s12, s5
	s_delay_alu instid0(SALU_CYCLE_2) | instskip(NEXT) | instid1(SALU_CYCLE_2)
	s_mul_f32 s12, s0, 0x3fb8aa3b
	s_mul_f32 s14, s6, 0x3fb8aa3b
	s_delay_alu instid0(SALU_CYCLE_2)
	s_xor_b32 s15, s12, 0x80000000
	s_rndne_f32 s16, s12
	s_fmamk_f32 s15, s0, 0x3fb8aa3b, s15
	s_cmp_nlt_f32 s0, 0xc2ce8ed0
	s_rndne_f32 s17, s14
	s_sub_f32 s12, s12, s16
	s_fmamk_f32 s15, s0, 0x32a5705f, s15
	s_cselect_b32 vcc_lo, -1, 0
	s_cmp_ngt_f32 s0, 0x42b17218
	s_delay_alu instid0(SALU_CYCLE_1) | instskip(SKIP_2) | instid1(SALU_CYCLE_1)
	s_add_f32 s12, s12, s15
	s_cvt_i32_f32 s15, s16
	s_sub_f32 s16, s14, s17
	v_s_exp_f32 s12, s12
	v_nop
	s_delay_alu instid0(TRANS32_DEP_1) | instskip(SKIP_1) | instid1(VALU_DEP_1)
	v_ldexp_f32 v1, s12, s15
	s_cvt_i32_f32 s12, s17
	v_cndmask_b32_e32 v1, 0, v1, vcc_lo
	s_cselect_b32 vcc_lo, -1, 0
	s_cmp_ge_f32 s0, 0xc1a00000
	s_delay_alu instid0(VALU_DEP_1)
	v_cndmask_b32_e32 v1, 0x7f800000, v1, vcc_lo
	s_cselect_b32 vcc_lo, -1, 0
	s_xor_b32 s0, s14, 0x80000000
	s_cmp_nlt_f32 s6, 0xc2ce8ed0
	s_fmamk_f32 s0, s6, 0x3fb8aa3b, s0
	v_cndmask_b32_e32 v10, 0, v1, vcc_lo
	s_delay_alu instid0(SALU_CYCLE_2) | instskip(NEXT) | instid1(SALU_CYCLE_3)
	s_fmamk_f32 s0, s6, 0x32a5705f, s0
	s_add_f32 s0, s16, s0
	s_delay_alu instid0(SALU_CYCLE_3) | instskip(SKIP_1) | instid1(TRANS32_DEP_1)
	v_s_exp_f32 s0, s0
	v_nop
	v_ldexp_f32 v6, s0, s12
	s_cselect_b32 s0, -1, 0
	s_cmp_ngt_f32 s6, 0x42b17218
	s_delay_alu instid0(VALU_DEP_1) | instskip(SKIP_2) | instid1(VALU_DEP_1)
	v_cndmask_b32_e64 v6, 0, v6, s0
	s_cselect_b32 s0, -1, 0
	s_cmp_ge_f32 s6, 0xc1a00000
	v_cndmask_b32_e64 v8, 0x7f800000, v6, s0
	s_cselect_b32 s0, -1, 0
	v_mov_b32_e32 v6, s13
	s_add_co_i32 s1, s1, -1
	s_add_co_i32 s4, s4, -16
	v_cndmask_b32_e64 v8, 0, v8, s0
	s_cmp_le_i32 s1, s7
	s_mov_b32 s0, s5
	s_wait_loadcnt 0x0
	s_delay_alu instid0(VALU_DEP_1) | instskip(NEXT) | instid1(VALU_DEP_1)
	v_pk_mul_f32 v[6:7], v[6:7], v[8:9] op_sel_hi:[1,0]
	v_pk_fma_f32 v[2:3], v[2:3], v[10:11], v[6:7] op_sel_hi:[1,0,1]
	s_cbranch_scc0 .LBB41_3
	s_branch .LBB41_5
.LBB41_4:
	s_wait_kmcnt 0x0
	v_mov_b32_e32 v2, s16
.LBB41_5:
	v_lshl_add_u64 v[0:1], v[4:5], 2, s[8:9]
	s_wait_loadcnt 0x0
	s_delay_alu instid0(VALU_DEP_2) | instskip(NEXT) | instid1(VALU_DEP_1)
	v_div_scale_f32 v4, null, v2, v2, v3
	v_rcp_f32_e32 v5, v4
	v_nop
	s_delay_alu instid0(TRANS32_DEP_1) | instskip(NEXT) | instid1(VALU_DEP_1)
	v_fma_f32 v6, -v4, v5, 1.0
	v_fmac_f32_e32 v5, v6, v5
	v_div_scale_f32 v6, vcc_lo, v3, v2, v3
	s_delay_alu instid0(VALU_DEP_1) | instskip(NEXT) | instid1(VALU_DEP_1)
	v_mul_f32_e32 v7, v6, v5
	v_fma_f32 v8, -v4, v7, v6
	s_delay_alu instid0(VALU_DEP_1) | instskip(NEXT) | instid1(VALU_DEP_1)
	v_fmac_f32_e32 v7, v8, v5
	v_fma_f32 v4, -v4, v7, v6
	s_delay_alu instid0(VALU_DEP_1) | instskip(NEXT) | instid1(VALU_DEP_1)
	v_div_fmas_f32 v4, v4, v5, v7
	v_div_fixup_f32 v2, v4, v2, v3
	global_store_b32 v[0:1], v2, off
.LBB41_6:
	s_endpgm
	.section	.rodata,"a",@progbits
	.p2align	6, 0x0
	.amdhsa_kernel _ZL33flash_attn_stream_k_fixup_uniformILi128ELi8ELi2EEvPfPK15HIP_vector_typeIfLj2EEiiiiiiS1_IjLj3EES5_S5_
		.amdhsa_group_segment_fixed_size 0
		.amdhsa_private_segment_fixed_size 0
		.amdhsa_kernarg_size 76
		.amdhsa_user_sgpr_count 2
		.amdhsa_user_sgpr_dispatch_ptr 0
		.amdhsa_user_sgpr_queue_ptr 0
		.amdhsa_user_sgpr_kernarg_segment_ptr 1
		.amdhsa_user_sgpr_dispatch_id 0
		.amdhsa_user_sgpr_kernarg_preload_length 0
		.amdhsa_user_sgpr_kernarg_preload_offset 0
		.amdhsa_user_sgpr_private_segment_size 0
		.amdhsa_wavefront_size32 1
		.amdhsa_uses_dynamic_stack 0
		.amdhsa_enable_private_segment 0
		.amdhsa_system_sgpr_workgroup_id_x 1
		.amdhsa_system_sgpr_workgroup_id_y 1
		.amdhsa_system_sgpr_workgroup_id_z 1
		.amdhsa_system_sgpr_workgroup_info 0
		.amdhsa_system_vgpr_workitem_id 0
		.amdhsa_next_free_vgpr 12
		.amdhsa_next_free_sgpr 21
		.amdhsa_named_barrier_count 0
		.amdhsa_reserve_vcc 1
		.amdhsa_float_round_mode_32 0
		.amdhsa_float_round_mode_16_64 0
		.amdhsa_float_denorm_mode_32 3
		.amdhsa_float_denorm_mode_16_64 3
		.amdhsa_fp16_overflow 0
		.amdhsa_memory_ordered 1
		.amdhsa_forward_progress 1
		.amdhsa_inst_pref_size 9
		.amdhsa_round_robin_scheduling 0
		.amdhsa_exception_fp_ieee_invalid_op 0
		.amdhsa_exception_fp_denorm_src 0
		.amdhsa_exception_fp_ieee_div_zero 0
		.amdhsa_exception_fp_ieee_overflow 0
		.amdhsa_exception_fp_ieee_underflow 0
		.amdhsa_exception_fp_ieee_inexact 0
		.amdhsa_exception_int_div_zero 0
	.end_amdhsa_kernel
	.section	.text._ZL33flash_attn_stream_k_fixup_uniformILi128ELi8ELi2EEvPfPK15HIP_vector_typeIfLj2EEiiiiiiS1_IjLj3EES5_S5_,"axG",@progbits,_ZL33flash_attn_stream_k_fixup_uniformILi128ELi8ELi2EEvPfPK15HIP_vector_typeIfLj2EEiiiiiiS1_IjLj3EES5_S5_,comdat
.Lfunc_end41:
	.size	_ZL33flash_attn_stream_k_fixup_uniformILi128ELi8ELi2EEvPfPK15HIP_vector_typeIfLj2EEiiiiiiS1_IjLj3EES5_S5_, .Lfunc_end41-_ZL33flash_attn_stream_k_fixup_uniformILi128ELi8ELi2EEvPfPK15HIP_vector_typeIfLj2EEiiiiiiS1_IjLj3EES5_S5_
                                        ; -- End function
	.set _ZL33flash_attn_stream_k_fixup_uniformILi128ELi8ELi2EEvPfPK15HIP_vector_typeIfLj2EEiiiiiiS1_IjLj3EES5_S5_.num_vgpr, 12
	.set _ZL33flash_attn_stream_k_fixup_uniformILi128ELi8ELi2EEvPfPK15HIP_vector_typeIfLj2EEiiiiiiS1_IjLj3EES5_S5_.num_agpr, 0
	.set _ZL33flash_attn_stream_k_fixup_uniformILi128ELi8ELi2EEvPfPK15HIP_vector_typeIfLj2EEiiiiiiS1_IjLj3EES5_S5_.numbered_sgpr, 21
	.set _ZL33flash_attn_stream_k_fixup_uniformILi128ELi8ELi2EEvPfPK15HIP_vector_typeIfLj2EEiiiiiiS1_IjLj3EES5_S5_.num_named_barrier, 0
	.set _ZL33flash_attn_stream_k_fixup_uniformILi128ELi8ELi2EEvPfPK15HIP_vector_typeIfLj2EEiiiiiiS1_IjLj3EES5_S5_.private_seg_size, 0
	.set _ZL33flash_attn_stream_k_fixup_uniformILi128ELi8ELi2EEvPfPK15HIP_vector_typeIfLj2EEiiiiiiS1_IjLj3EES5_S5_.uses_vcc, 1
	.set _ZL33flash_attn_stream_k_fixup_uniformILi128ELi8ELi2EEvPfPK15HIP_vector_typeIfLj2EEiiiiiiS1_IjLj3EES5_S5_.uses_flat_scratch, 0
	.set _ZL33flash_attn_stream_k_fixup_uniformILi128ELi8ELi2EEvPfPK15HIP_vector_typeIfLj2EEiiiiiiS1_IjLj3EES5_S5_.has_dyn_sized_stack, 0
	.set _ZL33flash_attn_stream_k_fixup_uniformILi128ELi8ELi2EEvPfPK15HIP_vector_typeIfLj2EEiiiiiiS1_IjLj3EES5_S5_.has_recursion, 0
	.set _ZL33flash_attn_stream_k_fixup_uniformILi128ELi8ELi2EEvPfPK15HIP_vector_typeIfLj2EEiiiiiiS1_IjLj3EES5_S5_.has_indirect_call, 0
	.section	.AMDGPU.csdata,"",@progbits
; Kernel info:
; codeLenInByte = 1092
; TotalNumSgprs: 23
; NumVgprs: 12
; ScratchSize: 0
; MemoryBound: 0
; FloatMode: 240
; IeeeMode: 1
; LDSByteSize: 0 bytes/workgroup (compile time only)
; SGPRBlocks: 0
; VGPRBlocks: 0
; NumSGPRsForWavesPerEU: 23
; NumVGPRsForWavesPerEU: 12
; NamedBarCnt: 0
; Occupancy: 16
; WaveLimiterHint : 0
; COMPUTE_PGM_RSRC2:SCRATCH_EN: 0
; COMPUTE_PGM_RSRC2:USER_SGPR: 2
; COMPUTE_PGM_RSRC2:TRAP_HANDLER: 0
; COMPUTE_PGM_RSRC2:TGID_X_EN: 1
; COMPUTE_PGM_RSRC2:TGID_Y_EN: 1
; COMPUTE_PGM_RSRC2:TGID_Z_EN: 1
; COMPUTE_PGM_RSRC2:TIDIG_COMP_CNT: 0
	.section	.text._ZL33flash_attn_stream_k_fixup_generalILi128ELi8ELi2EEvPfPK15HIP_vector_typeIfLj2EEiiiiS1_IjLj3EES5_S5_S5_,"axG",@progbits,_ZL33flash_attn_stream_k_fixup_generalILi128ELi8ELi2EEvPfPK15HIP_vector_typeIfLj2EEiiiiS1_IjLj3EES5_S5_S5_,comdat
	.globl	_ZL33flash_attn_stream_k_fixup_generalILi128ELi8ELi2EEvPfPK15HIP_vector_typeIfLj2EEiiiiS1_IjLj3EES5_S5_S5_ ; -- Begin function _ZL33flash_attn_stream_k_fixup_generalILi128ELi8ELi2EEvPfPK15HIP_vector_typeIfLj2EEiiiiS1_IjLj3EES5_S5_S5_
	.p2align	8
	.type	_ZL33flash_attn_stream_k_fixup_generalILi128ELi8ELi2EEvPfPK15HIP_vector_typeIfLj2EEiiiiS1_IjLj3EES5_S5_S5_,@function
_ZL33flash_attn_stream_k_fixup_generalILi128ELi8ELi2EEvPfPK15HIP_vector_typeIfLj2EEiiiiS1_IjLj3EES5_S5_S5_: ; @_ZL33flash_attn_stream_k_fixup_generalILi128ELi8ELi2EEvPfPK15HIP_vector_typeIfLj2EEiiiiS1_IjLj3EES5_S5_S5_
; %bb.0:
	s_clause 0x1
	s_load_b128 s[4:7], s[0:1], 0x10
	s_load_b32 s16, s[0:1], 0x50
	s_bfe_u32 s2, ttmp6, 0x4000c
	s_and_b32 s3, ttmp6, 15
	s_add_co_i32 s2, s2, 1
	s_getreg_b32 s15, hwreg(HW_REG_IB_STS2, 6, 4)
	s_mul_i32 s2, ttmp9, s2
	s_mov_b32 s17, 0
	s_add_co_i32 s3, s3, s2
	s_cmp_eq_u32 s15, 0
	s_cselect_b32 s2, ttmp9, s3
	s_delay_alu instid0(SALU_CYCLE_1) | instskip(SKIP_3) | instid1(SALU_CYCLE_1)
	s_ashr_i32 s3, s2, 31
	s_wait_kmcnt 0x0
	s_ashr_i32 s19, s7, 31
	s_mov_b32 s18, s7
	s_mul_u64 s[8:9], s[18:19], s[2:3]
	s_delay_alu instid0(SALU_CYCLE_1) | instskip(NEXT) | instid1(SALU_CYCLE_1)
	s_and_b64 s[10:11], s[8:9], 0xffffffff00000000
	s_cmp_lg_u64 s[10:11], 0
	s_cbranch_scc0 .LBB42_21
; %bb.1:
	s_add_nc_u64 s[10:11], s[16:17], 0
	s_mov_b32 s23, s17
	s_xor_b64 s[10:11], s[10:11], 0
	s_mov_b32 s27, s17
	s_cvt_f32_u32 s3, s10
	s_cvt_f32_u32 s7, s11
	s_sub_nc_u64 s[20:21], 0, s[10:11]
	s_delay_alu instid0(SALU_CYCLE_2) | instskip(NEXT) | instid1(SALU_CYCLE_3)
	s_fmamk_f32 s3, s7, 0x4f800000, s3
	v_s_rcp_f32 s3, s3
	s_delay_alu instid0(TRANS32_DEP_1) | instskip(NEXT) | instid1(SALU_CYCLE_3)
	s_mul_f32 s3, s3, 0x5f7ffffc
	s_mul_f32 s7, s3, 0x2f800000
	s_delay_alu instid0(SALU_CYCLE_3) | instskip(NEXT) | instid1(SALU_CYCLE_3)
	s_trunc_f32 s7, s7
	s_fmamk_f32 s3, s7, 0xcf800000, s3
	s_cvt_u32_f32 s13, s7
	s_delay_alu instid0(SALU_CYCLE_2) | instskip(NEXT) | instid1(SALU_CYCLE_3)
	s_cvt_u32_f32 s12, s3
	s_mul_u64 s[24:25], s[20:21], s[12:13]
	s_delay_alu instid0(SALU_CYCLE_1)
	s_mul_hi_u32 s29, s12, s25
	s_mul_i32 s28, s12, s25
	s_mul_hi_u32 s22, s12, s24
	s_mul_i32 s7, s13, s24
	s_add_nc_u64 s[22:23], s[22:23], s[28:29]
	s_mul_hi_u32 s3, s13, s24
	s_mul_hi_u32 s14, s13, s25
	s_add_co_u32 s7, s22, s7
	s_add_co_ci_u32 s26, s23, s3
	s_mul_i32 s24, s13, s25
	s_add_co_ci_u32 s25, s14, 0
	s_delay_alu instid0(SALU_CYCLE_1) | instskip(SKIP_3) | instid1(SALU_CYCLE_1)
	s_add_nc_u64 s[22:23], s[26:27], s[24:25]
	s_mov_b32 s25, s17
	s_add_co_u32 s12, s12, s22
	s_cselect_b32 s3, -1, 0
	s_cmp_lg_u32 s3, 0
	s_add_co_ci_u32 s13, s13, s23
	s_mov_b32 s23, s17
	s_mul_u64 s[20:21], s[20:21], s[12:13]
	s_delay_alu instid0(SALU_CYCLE_1)
	s_mul_hi_u32 s27, s12, s21
	s_mul_i32 s26, s12, s21
	s_mul_hi_u32 s22, s12, s20
	s_mul_i32 s7, s13, s20
	s_add_nc_u64 s[22:23], s[22:23], s[26:27]
	s_mul_hi_u32 s3, s13, s20
	s_mul_hi_u32 s14, s13, s21
	s_add_co_u32 s7, s22, s7
	s_add_co_ci_u32 s24, s23, s3
	s_mul_i32 s20, s13, s21
	s_add_co_ci_u32 s21, s14, 0
	s_mov_b32 s23, s17
	s_add_nc_u64 s[20:21], s[24:25], s[20:21]
	s_delay_alu instid0(SALU_CYCLE_1) | instskip(SKIP_1) | instid1(SALU_CYCLE_1)
	s_add_co_u32 s3, s12, s20
	s_cselect_b32 s7, -1, 0
	s_cmp_lg_u32 s7, 0
	s_add_co_ci_u32 s7, s13, s21
	s_ashr_i32 s12, s9, 31
	s_delay_alu instid0(SALU_CYCLE_1) | instskip(NEXT) | instid1(SALU_CYCLE_1)
	s_mov_b32 s13, s12
	s_add_nc_u64 s[20:21], s[8:9], s[12:13]
	s_delay_alu instid0(SALU_CYCLE_1) | instskip(NEXT) | instid1(SALU_CYCLE_1)
	s_xor_b64 s[20:21], s[20:21], s[12:13]
	s_mul_hi_u32 s27, s20, s7
	s_mul_i32 s26, s20, s7
	s_mul_hi_u32 s22, s20, s3
	s_mul_hi_u32 s14, s21, s3
	s_mul_i32 s3, s21, s3
	s_add_nc_u64 s[22:23], s[22:23], s[26:27]
	s_mul_hi_u32 s9, s21, s7
	s_add_co_u32 s3, s22, s3
	s_add_co_ci_u32 s24, s23, s14
	s_mul_i32 s26, s21, s7
	s_add_co_ci_u32 s27, s9, 0
	s_delay_alu instid0(SALU_CYCLE_1) | instskip(NEXT) | instid1(SALU_CYCLE_1)
	s_add_nc_u64 s[22:23], s[24:25], s[26:27]
	s_and_b64 s[24:25], s[22:23], 0xffffffff00000000
	s_delay_alu instid0(SALU_CYCLE_1) | instskip(NEXT) | instid1(SALU_CYCLE_1)
	s_or_b32 s24, s24, s22
	s_mul_u64 s[22:23], s[10:11], s[24:25]
	s_add_nc_u64 s[26:27], s[24:25], 1
	s_sub_co_u32 s3, s20, s22
	s_cselect_b32 s7, -1, 0
	s_sub_co_i32 s9, s21, s23
	s_cmp_lg_u32 s7, 0
	s_add_nc_u64 s[28:29], s[24:25], 2
	s_sub_co_ci_u32 s9, s9, s11
	s_sub_co_u32 s14, s3, s10
	s_cselect_b32 s20, -1, 0
	s_delay_alu instid0(SALU_CYCLE_1) | instskip(SKIP_1) | instid1(SALU_CYCLE_1)
	s_cmp_lg_u32 s20, 0
	s_sub_co_ci_u32 s9, s9, 0
	s_cmp_ge_u32 s9, s11
	s_cselect_b32 s20, -1, 0
	s_cmp_ge_u32 s14, s10
	s_cselect_b32 s14, -1, 0
	s_cmp_eq_u32 s9, s11
	s_cselect_b32 s9, s14, s20
	s_delay_alu instid0(SALU_CYCLE_1) | instskip(SKIP_4) | instid1(SALU_CYCLE_1)
	s_cmp_lg_u32 s9, 0
	s_cselect_b32 s9, s28, s26
	s_cselect_b32 s14, s29, s27
	s_cmp_lg_u32 s7, 0
	s_sub_co_ci_u32 s7, s21, s23
	s_cmp_ge_u32 s7, s11
	s_cselect_b32 s20, -1, 0
	s_cmp_ge_u32 s3, s10
	s_cselect_b32 s3, -1, 0
	s_cmp_eq_u32 s7, s11
	s_cselect_b32 s3, s3, s20
	s_delay_alu instid0(SALU_CYCLE_1) | instskip(SKIP_4) | instid1(SALU_CYCLE_1)
	s_cmp_lg_u32 s3, 0
	s_mov_b32 s3, s17
	s_cselect_b32 s11, s14, s25
	s_cselect_b32 s10, s9, s24
	s_xor_b64 s[12:13], s[12:13], 0
	s_xor_b64 s[10:11], s[10:11], s[12:13]
	s_delay_alu instid0(SALU_CYCLE_1)
	s_sub_nc_u64 s[20:21], s[10:11], s[12:13]
	s_and_not1_b32 vcc_lo, exec_lo, s3
	s_cbranch_vccnz .LBB42_3
.LBB42_2:
	v_cvt_f32_u32_e32 v1, s16
	s_sub_co_i32 s7, 0, s16
	s_mov_b32 s21, 0
	s_delay_alu instid0(VALU_DEP_1) | instskip(SKIP_1) | instid1(TRANS32_DEP_1)
	v_rcp_iflag_f32_e32 v1, v1
	v_nop
	v_mul_f32_e32 v1, 0x4f7ffffe, v1
	s_delay_alu instid0(VALU_DEP_1) | instskip(NEXT) | instid1(VALU_DEP_1)
	v_cvt_u32_f32_e32 v1, v1
	v_readfirstlane_b32 s3, v1
	s_mul_i32 s7, s7, s3
	s_delay_alu instid0(SALU_CYCLE_1) | instskip(NEXT) | instid1(SALU_CYCLE_1)
	s_mul_hi_u32 s7, s3, s7
	s_add_co_i32 s3, s3, s7
	s_delay_alu instid0(SALU_CYCLE_1) | instskip(NEXT) | instid1(SALU_CYCLE_1)
	s_mul_hi_u32 s3, s8, s3
	s_mul_i32 s7, s3, s16
	s_delay_alu instid0(SALU_CYCLE_1)
	s_sub_co_i32 s7, s8, s7
	s_add_co_i32 s8, s3, 1
	s_sub_co_i32 s9, s7, s16
	s_cmp_ge_u32 s7, s16
	s_cselect_b32 s3, s8, s3
	s_cselect_b32 s7, s9, s7
	s_add_co_i32 s8, s3, 1
	s_cmp_ge_u32 s7, s16
	s_cselect_b32 s20, s8, s3
.LBB42_3:
	s_add_co_i32 s8, s2, 1
	s_delay_alu instid0(SALU_CYCLE_1) | instskip(NEXT) | instid1(SALU_CYCLE_1)
	s_ashr_i32 s9, s8, 31
	s_mul_u64 s[8:9], s[18:19], s[8:9]
	s_delay_alu instid0(SALU_CYCLE_1) | instskip(NEXT) | instid1(SALU_CYCLE_1)
	s_and_b64 s[10:11], s[8:9], 0xffffffff00000000
	s_cmp_lg_u64 s[10:11], 0
	s_cbranch_scc0 .LBB42_22
; %bb.4:
	s_add_nc_u64 s[10:11], s[16:17], 0
	s_delay_alu instid0(SALU_CYCLE_1) | instskip(SKIP_4) | instid1(SALU_CYCLE_2)
	s_xor_b64 s[12:13], s[10:11], 0
	s_mov_b32 s11, 0
	s_cvt_f32_u32 s3, s12
	s_cvt_f32_u32 s7, s13
	s_sub_nc_u64 s[24:25], 0, s[12:13]
	s_fmamk_f32 s3, s7, 0x4f800000, s3
	s_delay_alu instid0(SALU_CYCLE_3) | instskip(NEXT) | instid1(TRANS32_DEP_1)
	v_s_rcp_f32 s3, s3
	s_mul_f32 s3, s3, 0x5f7ffffc
	s_delay_alu instid0(SALU_CYCLE_3) | instskip(NEXT) | instid1(SALU_CYCLE_3)
	s_mul_f32 s7, s3, 0x2f800000
	s_trunc_f32 s7, s7
	s_delay_alu instid0(SALU_CYCLE_3) | instskip(SKIP_1) | instid1(SALU_CYCLE_2)
	s_fmamk_f32 s3, s7, 0xcf800000, s3
	s_cvt_u32_f32 s23, s7
	s_cvt_u32_f32 s22, s3
	s_delay_alu instid0(SALU_CYCLE_3) | instskip(NEXT) | instid1(SALU_CYCLE_1)
	s_mul_u64 s[26:27], s[24:25], s[22:23]
	s_mul_hi_u32 s29, s22, s27
	s_mul_i32 s28, s22, s27
	s_mul_hi_u32 s10, s22, s26
	s_mul_i32 s7, s23, s26
	s_add_nc_u64 s[28:29], s[10:11], s[28:29]
	s_mul_hi_u32 s3, s23, s26
	s_mul_hi_u32 s14, s23, s27
	s_add_co_u32 s7, s28, s7
	s_add_co_ci_u32 s10, s29, s3
	s_mul_i32 s26, s23, s27
	s_add_co_ci_u32 s27, s14, 0
	s_delay_alu instid0(SALU_CYCLE_1) | instskip(NEXT) | instid1(SALU_CYCLE_1)
	s_add_nc_u64 s[26:27], s[10:11], s[26:27]
	s_add_co_u32 s22, s22, s26
	s_cselect_b32 s3, -1, 0
	s_delay_alu instid0(SALU_CYCLE_1) | instskip(SKIP_1) | instid1(SALU_CYCLE_1)
	s_cmp_lg_u32 s3, 0
	s_add_co_ci_u32 s23, s23, s27
	s_mul_u64 s[24:25], s[24:25], s[22:23]
	s_delay_alu instid0(SALU_CYCLE_1)
	s_mul_hi_u32 s27, s22, s25
	s_mul_i32 s26, s22, s25
	s_mul_hi_u32 s10, s22, s24
	s_mul_i32 s7, s23, s24
	s_add_nc_u64 s[26:27], s[10:11], s[26:27]
	s_mul_hi_u32 s3, s23, s24
	s_mul_hi_u32 s14, s23, s25
	s_add_co_u32 s7, s26, s7
	s_add_co_ci_u32 s10, s27, s3
	s_mul_i32 s24, s23, s25
	s_add_co_ci_u32 s25, s14, 0
	s_delay_alu instid0(SALU_CYCLE_1) | instskip(NEXT) | instid1(SALU_CYCLE_1)
	s_add_nc_u64 s[24:25], s[10:11], s[24:25]
	s_add_co_u32 s3, s22, s24
	s_cselect_b32 s7, -1, 0
	s_delay_alu instid0(SALU_CYCLE_1) | instskip(SKIP_2) | instid1(SALU_CYCLE_1)
	s_cmp_lg_u32 s7, 0
	s_add_co_ci_u32 s7, s23, s25
	s_ashr_i32 s22, s9, 31
	s_mov_b32 s23, s22
	s_delay_alu instid0(SALU_CYCLE_1) | instskip(NEXT) | instid1(SALU_CYCLE_1)
	s_add_nc_u64 s[24:25], s[8:9], s[22:23]
	s_xor_b64 s[24:25], s[24:25], s[22:23]
	s_delay_alu instid0(SALU_CYCLE_1)
	s_mul_hi_u32 s27, s24, s7
	s_mul_i32 s26, s24, s7
	s_mul_hi_u32 s10, s24, s3
	s_mul_hi_u32 s14, s25, s3
	s_mul_i32 s3, s25, s3
	s_add_nc_u64 s[26:27], s[10:11], s[26:27]
	s_mul_hi_u32 s9, s25, s7
	s_add_co_u32 s3, s26, s3
	s_add_co_ci_u32 s10, s27, s14
	s_mul_i32 s28, s25, s7
	s_add_co_ci_u32 s29, s9, 0
	s_delay_alu instid0(SALU_CYCLE_1) | instskip(NEXT) | instid1(SALU_CYCLE_1)
	s_add_nc_u64 s[26:27], s[10:11], s[28:29]
	s_and_b64 s[28:29], s[26:27], 0xffffffff00000000
	s_delay_alu instid0(SALU_CYCLE_1) | instskip(NEXT) | instid1(SALU_CYCLE_1)
	s_or_b32 s28, s28, s26
	s_mul_u64 s[26:27], s[12:13], s[28:29]
	s_add_nc_u64 s[30:31], s[28:29], 1
	s_sub_co_u32 s3, s24, s26
	s_cselect_b32 s7, -1, 0
	s_sub_co_i32 s9, s25, s27
	s_cmp_lg_u32 s7, 0
	s_add_nc_u64 s[34:35], s[28:29], 2
	s_sub_co_ci_u32 s9, s9, s13
	s_sub_co_u32 s10, s3, s12
	s_cselect_b32 s14, -1, 0
	s_delay_alu instid0(SALU_CYCLE_1) | instskip(SKIP_1) | instid1(SALU_CYCLE_1)
	s_cmp_lg_u32 s14, 0
	s_sub_co_ci_u32 s9, s9, 0
	s_cmp_ge_u32 s9, s13
	s_cselect_b32 s14, -1, 0
	s_cmp_ge_u32 s10, s12
	s_cselect_b32 s10, -1, 0
	s_cmp_eq_u32 s9, s13
	s_cselect_b32 s9, s10, s14
	s_delay_alu instid0(SALU_CYCLE_1) | instskip(SKIP_4) | instid1(SALU_CYCLE_1)
	s_cmp_lg_u32 s9, 0
	s_cselect_b32 s9, s34, s30
	s_cselect_b32 s10, s35, s31
	s_cmp_lg_u32 s7, 0
	s_sub_co_ci_u32 s7, s25, s27
	s_cmp_ge_u32 s7, s13
	s_cselect_b32 s14, -1, 0
	s_cmp_ge_u32 s3, s12
	s_cselect_b32 s3, -1, 0
	s_cmp_eq_u32 s7, s13
	s_cselect_b32 s3, s3, s14
	s_delay_alu instid0(SALU_CYCLE_1) | instskip(SKIP_3) | instid1(SALU_CYCLE_1)
	s_cmp_lg_u32 s3, 0
	s_cselect_b32 s13, s10, s29
	s_cselect_b32 s12, s9, s28
	s_xor_b64 s[22:23], s[22:23], 0
	s_xor_b64 s[12:13], s[12:13], s[22:23]
	s_delay_alu instid0(SALU_CYCLE_1)
	s_sub_nc_u64 s[24:25], s[12:13], s[22:23]
	s_load_b96 s[12:14], s[0:1], 0x44
	s_cbranch_execnz .LBB42_6
.LBB42_5:
	v_cvt_f32_u32_e32 v1, s16
	s_sub_co_i32 s7, 0, s16
	s_delay_alu instid0(VALU_DEP_1) | instskip(SKIP_1) | instid1(TRANS32_DEP_1)
	v_rcp_iflag_f32_e32 v1, v1
	v_nop
	v_mul_f32_e32 v1, 0x4f7ffffe, v1
	s_delay_alu instid0(VALU_DEP_1) | instskip(NEXT) | instid1(VALU_DEP_1)
	v_cvt_u32_f32_e32 v1, v1
	v_readfirstlane_b32 s3, v1
	s_mul_i32 s7, s7, s3
	s_delay_alu instid0(SALU_CYCLE_1) | instskip(NEXT) | instid1(SALU_CYCLE_1)
	s_mul_hi_u32 s7, s3, s7
	s_add_co_i32 s3, s3, s7
	s_delay_alu instid0(SALU_CYCLE_1) | instskip(NEXT) | instid1(SALU_CYCLE_1)
	s_mul_hi_u32 s3, s8, s3
	s_mul_i32 s7, s3, s16
	s_delay_alu instid0(SALU_CYCLE_1)
	s_sub_co_i32 s7, s8, s7
	s_add_co_i32 s8, s3, 1
	s_sub_co_i32 s9, s7, s16
	s_cmp_ge_u32 s7, s16
	s_cselect_b32 s3, s8, s3
	s_cselect_b32 s7, s9, s7
	s_add_co_i32 s8, s3, 1
	s_cmp_ge_u32 s7, s16
	s_cselect_b32 s24, s8, s3
.LBB42_6:
	s_delay_alu instid0(SALU_CYCLE_1)
	s_cmp_eq_u32 s20, s24
	s_mov_b64 s[8:9], 0xffffffff
	s_cselect_b32 s3, -1, 0
	s_and_b64 s[8:9], s[20:21], s[8:9]
	s_mov_b32 s23, 0
	s_wait_kmcnt 0x0
	s_mov_b32 s22, s12
	s_mov_b32 s25, s23
	s_mul_u64 s[10:11], s[8:9], s[22:23]
	s_delay_alu instid0(SALU_CYCLE_1) | instskip(SKIP_2) | instid1(SALU_CYCLE_1)
	s_add_co_i32 s7, s11, s20
	s_mul_u64 s[10:11], s[24:25], s[22:23]
	s_lshr_b32 s12, s7, s13
	s_mul_i32 s7, s12, s14
	s_delay_alu instid0(SALU_CYCLE_1) | instskip(SKIP_2) | instid1(SALU_CYCLE_1)
	s_cmp_eq_u32 s7, s20
	s_cselect_b32 s7, -1, 0
	s_add_co_i32 s10, s11, s24
	s_lshr_b32 s10, s10, s13
	s_delay_alu instid0(SALU_CYCLE_1)
	s_cmp_eq_u32 s12, s10
	s_mul_i32 s10, s10, s14
	s_cselect_b32 s11, -1, 0
	s_cmp_lg_u32 s10, s24
	s_cselect_b32 s10, -1, 0
	s_or_b32 s3, s3, s7
	s_and_b32 s10, s11, s10
	s_delay_alu instid0(SALU_CYCLE_1) | instskip(NEXT) | instid1(SALU_CYCLE_1)
	s_or_b32 s3, s3, s10
	s_and_b32 vcc_lo, exec_lo, s3
	s_cbranch_vccnz .LBB42_24
; %bb.7:
	s_load_b256 s[24:31], s[0:1], 0x20
	s_bfe_u32 s7, ttmp6, 0x40014
	s_bfe_u32 s33, ttmp6, 0x40010
	s_lshr_b32 s3, ttmp7, 16
	s_add_co_i32 s7, s7, 1
	s_and_b32 s21, ttmp7, 0xffff
	s_add_co_i32 s33, s33, 1
	s_bfe_u32 s10, ttmp6, 0x40008
	s_mul_i32 s7, s3, s7
	s_bfe_u32 s34, ttmp6, 0x40004
	s_mul_i32 s33, s21, s33
	s_mov_b32 s11, s23
	s_add_co_i32 s35, s10, s7
	s_add_co_i32 s34, s34, s33
	s_cmp_eq_u32 s15, 0
	s_cselect_b32 s7, s21, s34
	s_cselect_b32 s3, s3, s35
	s_wait_kmcnt 0x0
	s_mov_b32 s10, s24
	s_delay_alu instid0(SALU_CYCLE_1) | instskip(NEXT) | instid1(SALU_CYCLE_1)
	s_mul_u64 s[8:9], s[8:9], s[10:11]
	s_add_co_i32 s8, s9, s20
	s_load_b32 s9, s[0:1], 0x40
	s_lshr_b32 s8, s8, s25
	s_delay_alu instid0(SALU_CYCLE_1) | instskip(NEXT) | instid1(SALU_CYCLE_1)
	s_mul_i32 s10, s8, s26
	s_sub_co_i32 s10, s20, s10
	s_delay_alu instid0(SALU_CYCLE_1) | instskip(NEXT) | instid1(SALU_CYCLE_1)
	s_mul_hi_u32 s11, s10, s27
	s_add_co_i32 s11, s10, s11
	s_delay_alu instid0(SALU_CYCLE_1) | instskip(NEXT) | instid1(SALU_CYCLE_1)
	s_lshr_b32 s15, s11, s28
	s_mul_i32 s11, s15, s29
	s_delay_alu instid0(SALU_CYCLE_1) | instskip(NEXT) | instid1(SALU_CYCLE_1)
	s_sub_co_i32 s10, s10, s11
	s_mul_hi_u32 s11, s10, s30
	s_delay_alu instid0(SALU_CYCLE_1) | instskip(NEXT) | instid1(SALU_CYCLE_1)
	s_add_co_i32 s11, s10, s11
	s_lshr_b32 s26, s11, s31
	s_mov_b32 s11, s23
	s_wait_kmcnt 0x0
	s_mul_i32 s9, s26, s9
	s_delay_alu instid0(SALU_CYCLE_1) | instskip(NEXT) | instid1(SALU_CYCLE_1)
	s_sub_co_i32 s10, s10, s9
	s_mul_u64 s[24:25], s[10:11], s[22:23]
	s_lshl_b32 s24, s26, 1
	s_add_co_i32 s9, s10, s25
	s_delay_alu instid0(SALU_CYCLE_1) | instskip(NEXT) | instid1(SALU_CYCLE_1)
	s_lshr_b32 s21, s9, s13
	s_lshl_b32 s9, s21, 3
	s_delay_alu instid0(SALU_CYCLE_1) | instskip(NEXT) | instid1(SALU_CYCLE_1)
	s_add_co_i32 s9, s9, s7
	s_cmp_lt_i32 s9, s4
	s_cselect_b32 s9, -1, 0
	s_add_co_i32 s10, s24, s3
	s_delay_alu instid0(SALU_CYCLE_1) | instskip(SKIP_1) | instid1(SALU_CYCLE_1)
	s_cmp_lt_i32 s10, s6
	s_cselect_b32 s10, -1, 0
	s_and_b32 s9, s9, s10
	s_delay_alu instid0(SALU_CYCLE_1)
	s_and_not1_b32 vcc_lo, exec_lo, s9
	s_cbranch_vccnz .LBB42_24
; %bb.8:
	s_mul_i32 s4, s8, s4
	s_load_b128 s[8:11], s[0:1], 0x0
	s_wait_xcnt 0x0
	s_add_co_i32 s0, s4, s7
	s_mul_i32 s15, s15, s6
	s_mul_i32 s0, s0, s5
	;; [unrolled: 1-line block ×3, first 2 shown]
	s_add_co_i32 s0, s0, s3
	s_lshl_b32 s1, s1, 10
	s_add_co_i32 s0, s0, s15
	s_lshl_b32 s15, s7, 1
	s_add_co_i32 s0, s0, s24
	s_add_co_i32 s15, s15, s3
	s_lshl_b32 s0, s0, 7
	v_lshl_or_b32 v6, s15, 7, v0
	s_add_co_i32 s1, s1, s0
	v_cvt_f32_u32_e32 v4, s16
	v_or_b32_e32 v2, s1, v0
	s_add_nc_u64 s[0:1], s[16:17], 0
	s_lshl_b32 s24, s16, 6
	s_xor_b64 s[6:7], s[0:1], 0
	s_lshl_b32 s0, s2, 4
	s_cvt_f32_u32 s3, s6
	s_add_co_i32 s0, s15, s0
	s_cvt_f32_u32 s4, s7
	s_ashr_i32 s1, s0, 31
	v_rcp_iflag_f32_e32 v4, v4
	s_lshl_b64 s[0:1], s[0:1], 3
	s_fmamk_f32 s3, s4, 0x4f800000, s3
	s_wait_kmcnt 0x0
	s_add_nc_u64 s[0:1], s[10:11], s[0:1]
	s_mov_b32 s25, 0
	s_load_b64 s[28:29], s[0:1], 0x0
	v_s_rcp_f32 s3, s3
	s_wait_xcnt 0x0
	s_lshl_b64 s[0:1], s[24:25], 2
	s_add_co_i32 s36, s2, -1
	s_add_nc_u64 s[26:27], s[10:11], s[0:1]
	s_sub_nc_u64 s[34:35], 0, s[6:7]
	v_mul_f32_e32 v4, 0x4f7ffffe, v4
	s_delay_alu instid0(TRANS32_DEP_1) | instskip(NEXT) | instid1(VALU_DEP_1)
	s_mul_f32 s3, s3, 0x5f7ffffc
	v_cvt_u32_f32_e32 v7, v4
	s_delay_alu instid0(SALU_CYCLE_2) | instskip(NEXT) | instid1(SALU_CYCLE_3)
	s_mul_f32 s4, s3, 0x2f800000
	s_trunc_f32 s4, s4
	s_wait_kmcnt 0x0
	v_mov_b32_e32 v0, s29
	global_load_b32 v1, v2, s[8:9] scale_offset
	v_ashrrev_i32_e32 v3, 31, v2
	s_fmamk_f32 s0, s4, 0xcf800000, s3
	s_cvt_u32_f32 s31, s4
	s_wait_xcnt 0x0
	s_delay_alu instid0(VALU_DEP_1)
	v_lshl_add_u64 v[2:3], v[2:3], 2, s[8:9]
	s_cvt_u32_f32 s30, s0
	s_mov_b64 s[8:9], 0xffffffff
.LBB42_9:                               ; =>This Inner Loop Header: Depth=1
	s_ashr_i32 s37, s36, 31
                                        ; implicit-def: $sgpr40_sgpr41
	s_delay_alu instid0(SALU_CYCLE_1) | instskip(NEXT) | instid1(SALU_CYCLE_1)
	s_mul_u64 s[0:1], s[36:37], s[18:19]
	s_and_b64 s[2:3], s[0:1], 0xffffffff00000000
	s_delay_alu instid0(SALU_CYCLE_1)
	s_cmp_lg_u64 s[2:3], 0
	s_mov_b32 s2, -1
	s_cbranch_scc0 .LBB42_11
; %bb.10:                               ;   in Loop: Header=BB42_9 Depth=1
	s_mul_u64 s[2:3], s[34:35], s[30:31]
	s_delay_alu instid0(SALU_CYCLE_1)
	s_mul_hi_u32 s5, s30, s3
	s_mul_i32 s4, s30, s3
	s_mul_hi_u32 s24, s30, s2
	s_mul_hi_u32 s17, s31, s2
	s_add_nc_u64 s[4:5], s[24:25], s[4:5]
	s_mul_i32 s2, s31, s2
	s_mul_hi_u32 s21, s31, s3
	s_add_co_u32 s2, s4, s2
	s_add_co_ci_u32 s24, s5, s17
	s_add_co_ci_u32 s5, s21, 0
	s_mul_i32 s4, s31, s3
	s_delay_alu instid0(SALU_CYCLE_1) | instskip(NEXT) | instid1(SALU_CYCLE_1)
	s_add_nc_u64 s[2:3], s[24:25], s[4:5]
	s_add_co_u32 s2, s30, s2
	s_cselect_b32 s4, -1, 0
	s_delay_alu instid0(SALU_CYCLE_1) | instskip(SKIP_1) | instid1(SALU_CYCLE_1)
	s_cmp_lg_u32 s4, 0
	s_add_co_ci_u32 s3, s31, s3
	s_mul_u64 s[4:5], s[34:35], s[2:3]
	s_delay_alu instid0(SALU_CYCLE_1)
	s_mul_hi_u32 s39, s2, s5
	s_mul_i32 s38, s2, s5
	s_mul_hi_u32 s24, s2, s4
	s_mul_hi_u32 s17, s3, s4
	s_mul_i32 s4, s3, s4
	s_add_nc_u64 s[38:39], s[24:25], s[38:39]
	s_mul_hi_u32 s21, s3, s5
	s_add_co_u32 s4, s38, s4
	s_add_co_ci_u32 s24, s39, s17
	s_mul_i32 s4, s3, s5
	s_add_co_ci_u32 s5, s21, 0
	s_delay_alu instid0(SALU_CYCLE_1) | instskip(NEXT) | instid1(SALU_CYCLE_1)
	s_add_nc_u64 s[4:5], s[24:25], s[4:5]
	s_add_co_u32 s17, s2, s4
	s_cselect_b32 s2, -1, 0
	s_delay_alu instid0(SALU_CYCLE_1) | instskip(SKIP_2) | instid1(SALU_CYCLE_1)
	s_cmp_lg_u32 s2, 0
	s_add_co_ci_u32 s21, s3, s5
	s_ashr_i32 s2, s1, 31
	s_mov_b32 s3, s2
	s_delay_alu instid0(SALU_CYCLE_1) | instskip(NEXT) | instid1(SALU_CYCLE_1)
	s_add_nc_u64 s[4:5], s[0:1], s[2:3]
	s_xor_b64 s[4:5], s[4:5], s[2:3]
	s_delay_alu instid0(SALU_CYCLE_1)
	s_mul_hi_u32 s39, s4, s21
	s_mul_i32 s38, s4, s21
	s_mul_hi_u32 s24, s4, s17
	s_mul_hi_u32 s29, s5, s17
	s_mul_i32 s17, s5, s17
	s_add_nc_u64 s[38:39], s[24:25], s[38:39]
	s_mul_hi_u32 s1, s5, s21
	s_add_co_u32 s17, s38, s17
	s_add_co_ci_u32 s24, s39, s29
	s_mul_i32 s40, s5, s21
	s_add_co_ci_u32 s41, s1, 0
	s_delay_alu instid0(SALU_CYCLE_1) | instskip(NEXT) | instid1(SALU_CYCLE_1)
	s_add_nc_u64 s[38:39], s[24:25], s[40:41]
	s_and_b64 s[40:41], s[38:39], 0xffffffff00000000
	s_delay_alu instid0(SALU_CYCLE_1) | instskip(NEXT) | instid1(SALU_CYCLE_1)
	s_or_b32 s40, s40, s38
	s_mul_u64 s[38:39], s[6:7], s[40:41]
	s_add_nc_u64 s[42:43], s[40:41], 1
	s_sub_co_u32 s1, s4, s38
	s_cselect_b32 s4, -1, 0
	s_sub_co_i32 s17, s5, s39
	s_cmp_lg_u32 s4, 0
	s_add_nc_u64 s[44:45], s[40:41], 2
	s_sub_co_ci_u32 s17, s17, s7
	s_sub_co_u32 s21, s1, s6
	s_cselect_b32 s24, -1, 0
	s_delay_alu instid0(SALU_CYCLE_1) | instskip(SKIP_1) | instid1(SALU_CYCLE_1)
	s_cmp_lg_u32 s24, 0
	s_sub_co_ci_u32 s17, s17, 0
	s_cmp_ge_u32 s17, s7
	s_cselect_b32 s24, -1, 0
	s_cmp_ge_u32 s21, s6
	s_cselect_b32 s21, -1, 0
	s_cmp_eq_u32 s17, s7
	s_cselect_b32 s17, s21, s24
	s_delay_alu instid0(SALU_CYCLE_1) | instskip(SKIP_4) | instid1(SALU_CYCLE_1)
	s_cmp_lg_u32 s17, 0
	s_cselect_b32 s17, s44, s42
	s_cselect_b32 s21, s45, s43
	s_cmp_lg_u32 s4, 0
	s_sub_co_ci_u32 s4, s5, s39
	s_cmp_ge_u32 s4, s7
	s_cselect_b32 s5, -1, 0
	s_cmp_ge_u32 s1, s6
	s_cselect_b32 s1, -1, 0
	s_cmp_eq_u32 s4, s7
	s_cselect_b32 s1, s1, s5
	s_delay_alu instid0(SALU_CYCLE_1) | instskip(SKIP_3) | instid1(SALU_CYCLE_1)
	s_cmp_lg_u32 s1, 0
	s_cselect_b32 s5, s21, s41
	s_cselect_b32 s4, s17, s40
	s_xor_b64 s[2:3], s[2:3], 0
	s_xor_b64 s[4:5], s[4:5], s[2:3]
	s_delay_alu instid0(SALU_CYCLE_1)
	s_sub_nc_u64 s[40:41], s[4:5], s[2:3]
	s_mov_b32 s2, 0
.LBB42_11:                              ;   in Loop: Header=BB42_9 Depth=1
	s_delay_alu instid0(SALU_CYCLE_1)
	s_and_not1_b32 vcc_lo, exec_lo, s2
	s_cbranch_vccnz .LBB42_13
; %bb.12:                               ;   in Loop: Header=BB42_9 Depth=1
	v_readfirstlane_b32 s1, v7
	s_sub_co_i32 s2, 0, s16
	s_delay_alu instid0(SALU_CYCLE_1) | instskip(NEXT) | instid1(SALU_CYCLE_1)
	s_mul_i32 s2, s2, s1
	s_mul_hi_u32 s2, s1, s2
	s_delay_alu instid0(SALU_CYCLE_1) | instskip(NEXT) | instid1(SALU_CYCLE_1)
	s_add_co_i32 s1, s1, s2
	s_mul_hi_u32 s1, s0, s1
	s_delay_alu instid0(SALU_CYCLE_1) | instskip(NEXT) | instid1(SALU_CYCLE_1)
	s_mul_i32 s2, s1, s16
	s_sub_co_i32 s0, s0, s2
	s_add_co_i32 s2, s1, 1
	s_sub_co_i32 s3, s0, s16
	s_cmp_ge_u32 s0, s16
	s_cselect_b32 s1, s2, s1
	s_cselect_b32 s0, s3, s0
	s_add_co_i32 s2, s1, 1
	s_cmp_ge_u32 s0, s16
	s_cselect_b32 s24, s2, s1
	s_delay_alu instid0(SALU_CYCLE_1)
	s_mov_b64 s[40:41], s[24:25]
.LBB42_13:                              ;   in Loop: Header=BB42_9 Depth=1
	s_delay_alu instid0(SALU_CYCLE_1)
	s_cmp_lg_u32 s20, s40
	s_mov_b32 s0, -1
                                        ; implicit-def: $vgpr4_vgpr5
                                        ; implicit-def: $sgpr24
                                        ; implicit-def: $sgpr17
                                        ; implicit-def: $sgpr21
                                        ; implicit-def: $sgpr29
	s_cbranch_scc0 .LBB42_18
; %bb.14:                               ;   in Loop: Header=BB42_9 Depth=1
	s_add_co_i32 s0, s36, s16
	v_max_num_f32_e64 v4, s28, s28
	s_lshl_b32 s0, s0, 4
	s_mov_b32 s29, s20
	s_add_co_i32 s0, s0, s15
	s_load_b64 s[38:39], s[10:11], s0 offset:0x0 scale_offset
	s_wait_xcnt 0x0
	v_readfirstlane_b32 s0, v4
	s_wait_kmcnt 0x0
	v_max_num_f32_e64 v5, s38, s38
	s_delay_alu instid0(VALU_DEP_1) | instskip(SKIP_1) | instid1(SALU_CYCLE_3)
	v_readfirstlane_b32 s1, v5
	s_max_num_f32 s17, s0, s1
	s_sub_f32 s33, s28, s17
	s_sub_f32 s37, s38, s17
	s_delay_alu instid0(SALU_CYCLE_2)
	s_cmp_nlt_f32 s33, 0xc2ce8ed0
	s_cselect_b32 s1, -1, 0
	s_cmp_ngt_f32 s33, 0x42b17218
	s_cselect_b32 s2, -1, 0
	s_cmp_ge_f32 s33, 0xc1a00000
	s_cselect_b32 s0, -1, 0
	s_cmp_nlt_f32 s37, 0xc2ce8ed0
	s_cselect_b32 s3, -1, 0
	s_cmp_ngt_f32 s37, 0x42b17218
	s_cselect_b32 s4, -1, 0
	s_cmp_ge_f32 s37, 0xc1a00000
	s_cselect_b32 s5, -1, 0
	s_and_b64 s[42:43], s[40:41], s[8:9]
	s_delay_alu instid0(SALU_CYCLE_1) | instskip(NEXT) | instid1(SALU_CYCLE_1)
	s_mul_u64 s[42:43], s[42:43], s[22:23]
	s_add_co_i32 s21, s43, s40
	s_delay_alu instid0(SALU_CYCLE_1) | instskip(NEXT) | instid1(SALU_CYCLE_1)
	s_lshr_b32 s21, s21, s13
	s_mul_i32 s24, s21, s14
	s_delay_alu instid0(SALU_CYCLE_1) | instskip(SKIP_3) | instid1(SALU_CYCLE_1)
	s_cmp_eq_u32 s24, s40
	s_cselect_b32 s24, -1, 0
	s_cmp_lt_u32 s21, s12
	s_cselect_b32 s21, -1, 0
	s_or_b32 s21, s21, s24
	s_mov_b32 s24, -1
	s_and_b32 vcc_lo, exec_lo, s21
	s_mov_b32 s21, s36
	s_cbranch_vccnz .LBB42_16
; %bb.15:                               ;   in Loop: Header=BB42_9 Depth=1
	s_add_co_i32 s21, s36, -1
	s_mov_b32 s24, 0
	s_mov_b32 s29, s40
.LBB42_16:                              ;   in Loop: Header=BB42_9 Depth=1
	v_lshl_add_u32 v4, s36, 11, v6
	s_mul_f32 s40, s33, 0x3fb8aa3b
	s_mul_f32 s38, s37, 0x3fb8aa3b
	s_delay_alu instid0(SALU_CYCLE_2)
	s_xor_b32 s42, s40, 0x80000000
	global_load_b32 v5, v4, s[26:27] scale_offset
	s_fmamk_f32 s42, s33, 0x3fb8aa3b, s42
	s_rndne_f32 s44, s40
	s_xor_b32 s41, s38, 0x80000000
	s_rndne_f32 s43, s38
	s_fmamk_f32 s33, s33, 0x32a5705f, s42
	s_sub_f32 s40, s40, s44
	s_fmamk_f32 s41, s37, 0x3fb8aa3b, s41
	s_sub_f32 s38, s38, s43
	s_delay_alu instid0(SALU_CYCLE_1) | instskip(NEXT) | instid1(SALU_CYCLE_1)
	s_add_f32 s33, s40, s33
	s_fmamk_f32 s37, s37, 0x32a5705f, s41
	s_cvt_i32_f32 s40, s44
	s_delay_alu instid0(SALU_CYCLE_1) | instskip(NEXT) | instid1(SALU_CYCLE_1)
	v_s_exp_f32 s33, s33
	s_add_f32 s37, s38, s37
	s_cvt_i32_f32 s38, s43
	s_delay_alu instid0(SALU_CYCLE_2) | instskip(NEXT) | instid1(TRANS32_DEP_2)
	v_s_exp_f32 s37, s37
	v_ldexp_f32 v8, s33, s40
	s_wait_xcnt 0x0
	s_delay_alu instid0(TRANS32_DEP_1) | instskip(NEXT) | instid1(VALU_DEP_2)
	v_ldexp_f32 v4, s37, s38
	v_cndmask_b32_e64 v8, 0, v8, s1
	s_delay_alu instid0(VALU_DEP_1) | instskip(NEXT) | instid1(VALU_DEP_1)
	v_cndmask_b32_e64 v9, 0x7f800000, v8, s2
	v_dual_cndmask_b32 v4, 0, v4, s3 :: v_dual_cndmask_b32 v10, 0, v9, s0
	s_delay_alu instid0(VALU_DEP_1) | instskip(NEXT) | instid1(VALU_DEP_1)
	v_cndmask_b32_e64 v4, 0x7f800000, v4, s4
	v_dual_cndmask_b32 v8, 0, v4, s5 :: v_dual_mov_b32 v4, s39
	s_wait_loadcnt 0x0
	s_delay_alu instid0(VALU_DEP_1) | instskip(NEXT) | instid1(VALU_DEP_1)
	v_pk_mul_f32 v[4:5], v[4:5], v[8:9] op_sel_hi:[1,0]
	v_pk_fma_f32 v[4:5], v[0:1], v[10:11], v[4:5] op_sel_hi:[1,0,1]
	s_cbranch_execz .LBB42_19
.LBB42_17:                              ;   in Loop: Header=BB42_9 Depth=1
	s_and_not1_b32 vcc_lo, exec_lo, s24
	s_cbranch_vccnz .LBB42_20
	s_branch .LBB42_23
.LBB42_18:                              ;   in Loop: Header=BB42_9 Depth=1
	s_and_not1_b32 vcc_lo, exec_lo, s0
	s_cbranch_vccnz .LBB42_17
.LBB42_19:                              ;   in Loop: Header=BB42_9 Depth=1
	s_wait_loadcnt 0x0
	v_mov_b64_e32 v[4:5], v[0:1]
	s_add_co_i32 s21, s36, -1
	s_mov_b32 s29, s20
	s_mov_b32 s17, s28
	s_cbranch_execz .LBB42_23
.LBB42_20:                              ;   in Loop: Header=BB42_9 Depth=1
	s_wait_loadcnt 0x0
	s_delay_alu instid0(VALU_DEP_1)
	v_mov_b64_e32 v[0:1], v[4:5]
	s_mov_b32 s20, s29
	s_mov_b32 s36, s21
	;; [unrolled: 1-line block ×3, first 2 shown]
	s_branch .LBB42_9
.LBB42_21:
                                        ; implicit-def: $sgpr20_sgpr21
	s_branch .LBB42_2
.LBB42_22:
                                        ; implicit-def: $sgpr24_sgpr25
	s_load_b96 s[12:14], s[0:1], 0x44
	s_branch .LBB42_5
.LBB42_23:
	s_delay_alu instid0(VALU_DEP_1) | instskip(SKIP_1) | instid1(VALU_DEP_1)
	v_div_scale_f32 v0, null, v4, v4, v5
	s_wait_loadcnt 0x0
	v_rcp_f32_e32 v1, v0
	v_nop
	s_delay_alu instid0(TRANS32_DEP_1) | instskip(NEXT) | instid1(VALU_DEP_1)
	v_fma_f32 v6, -v0, v1, 1.0
	v_fmac_f32_e32 v1, v6, v1
	v_div_scale_f32 v6, vcc_lo, v5, v4, v5
	s_delay_alu instid0(VALU_DEP_1) | instskip(NEXT) | instid1(VALU_DEP_1)
	v_mul_f32_e32 v7, v6, v1
	v_fma_f32 v8, -v0, v7, v6
	s_delay_alu instid0(VALU_DEP_1) | instskip(NEXT) | instid1(VALU_DEP_1)
	v_fmac_f32_e32 v7, v8, v1
	v_fma_f32 v0, -v0, v7, v6
	s_delay_alu instid0(VALU_DEP_1) | instskip(NEXT) | instid1(VALU_DEP_1)
	v_div_fmas_f32 v0, v0, v1, v7
	v_div_fixup_f32 v0, v0, v4, v5
	global_store_b32 v[2:3], v0, off
.LBB42_24:
	s_endpgm
	.section	.rodata,"a",@progbits
	.p2align	6, 0x0
	.amdhsa_kernel _ZL33flash_attn_stream_k_fixup_generalILi128ELi8ELi2EEvPfPK15HIP_vector_typeIfLj2EEiiiiS1_IjLj3EES5_S5_S5_
		.amdhsa_group_segment_fixed_size 0
		.amdhsa_private_segment_fixed_size 0
		.amdhsa_kernarg_size 336
		.amdhsa_user_sgpr_count 2
		.amdhsa_user_sgpr_dispatch_ptr 0
		.amdhsa_user_sgpr_queue_ptr 0
		.amdhsa_user_sgpr_kernarg_segment_ptr 1
		.amdhsa_user_sgpr_dispatch_id 0
		.amdhsa_user_sgpr_kernarg_preload_length 0
		.amdhsa_user_sgpr_kernarg_preload_offset 0
		.amdhsa_user_sgpr_private_segment_size 0
		.amdhsa_wavefront_size32 1
		.amdhsa_uses_dynamic_stack 0
		.amdhsa_enable_private_segment 0
		.amdhsa_system_sgpr_workgroup_id_x 1
		.amdhsa_system_sgpr_workgroup_id_y 1
		.amdhsa_system_sgpr_workgroup_id_z 1
		.amdhsa_system_sgpr_workgroup_info 0
		.amdhsa_system_vgpr_workitem_id 0
		.amdhsa_next_free_vgpr 12
		.amdhsa_next_free_sgpr 46
		.amdhsa_named_barrier_count 0
		.amdhsa_reserve_vcc 1
		.amdhsa_float_round_mode_32 0
		.amdhsa_float_round_mode_16_64 0
		.amdhsa_float_denorm_mode_32 3
		.amdhsa_float_denorm_mode_16_64 3
		.amdhsa_fp16_overflow 0
		.amdhsa_memory_ordered 1
		.amdhsa_forward_progress 1
		.amdhsa_inst_pref_size 27
		.amdhsa_round_robin_scheduling 0
		.amdhsa_exception_fp_ieee_invalid_op 0
		.amdhsa_exception_fp_denorm_src 0
		.amdhsa_exception_fp_ieee_div_zero 0
		.amdhsa_exception_fp_ieee_overflow 0
		.amdhsa_exception_fp_ieee_underflow 0
		.amdhsa_exception_fp_ieee_inexact 0
		.amdhsa_exception_int_div_zero 0
	.end_amdhsa_kernel
	.section	.text._ZL33flash_attn_stream_k_fixup_generalILi128ELi8ELi2EEvPfPK15HIP_vector_typeIfLj2EEiiiiS1_IjLj3EES5_S5_S5_,"axG",@progbits,_ZL33flash_attn_stream_k_fixup_generalILi128ELi8ELi2EEvPfPK15HIP_vector_typeIfLj2EEiiiiS1_IjLj3EES5_S5_S5_,comdat
.Lfunc_end42:
	.size	_ZL33flash_attn_stream_k_fixup_generalILi128ELi8ELi2EEvPfPK15HIP_vector_typeIfLj2EEiiiiS1_IjLj3EES5_S5_S5_, .Lfunc_end42-_ZL33flash_attn_stream_k_fixup_generalILi128ELi8ELi2EEvPfPK15HIP_vector_typeIfLj2EEiiiiS1_IjLj3EES5_S5_S5_
                                        ; -- End function
	.set _ZL33flash_attn_stream_k_fixup_generalILi128ELi8ELi2EEvPfPK15HIP_vector_typeIfLj2EEiiiiS1_IjLj3EES5_S5_S5_.num_vgpr, 12
	.set _ZL33flash_attn_stream_k_fixup_generalILi128ELi8ELi2EEvPfPK15HIP_vector_typeIfLj2EEiiiiS1_IjLj3EES5_S5_S5_.num_agpr, 0
	.set _ZL33flash_attn_stream_k_fixup_generalILi128ELi8ELi2EEvPfPK15HIP_vector_typeIfLj2EEiiiiS1_IjLj3EES5_S5_S5_.numbered_sgpr, 46
	.set _ZL33flash_attn_stream_k_fixup_generalILi128ELi8ELi2EEvPfPK15HIP_vector_typeIfLj2EEiiiiS1_IjLj3EES5_S5_S5_.num_named_barrier, 0
	.set _ZL33flash_attn_stream_k_fixup_generalILi128ELi8ELi2EEvPfPK15HIP_vector_typeIfLj2EEiiiiS1_IjLj3EES5_S5_S5_.private_seg_size, 0
	.set _ZL33flash_attn_stream_k_fixup_generalILi128ELi8ELi2EEvPfPK15HIP_vector_typeIfLj2EEiiiiS1_IjLj3EES5_S5_S5_.uses_vcc, 1
	.set _ZL33flash_attn_stream_k_fixup_generalILi128ELi8ELi2EEvPfPK15HIP_vector_typeIfLj2EEiiiiS1_IjLj3EES5_S5_S5_.uses_flat_scratch, 0
	.set _ZL33flash_attn_stream_k_fixup_generalILi128ELi8ELi2EEvPfPK15HIP_vector_typeIfLj2EEiiiiS1_IjLj3EES5_S5_S5_.has_dyn_sized_stack, 0
	.set _ZL33flash_attn_stream_k_fixup_generalILi128ELi8ELi2EEvPfPK15HIP_vector_typeIfLj2EEiiiiS1_IjLj3EES5_S5_S5_.has_recursion, 0
	.set _ZL33flash_attn_stream_k_fixup_generalILi128ELi8ELi2EEvPfPK15HIP_vector_typeIfLj2EEiiiiS1_IjLj3EES5_S5_S5_.has_indirect_call, 0
	.section	.AMDGPU.csdata,"",@progbits
; Kernel info:
; codeLenInByte = 3360
; TotalNumSgprs: 48
; NumVgprs: 12
; ScratchSize: 0
; MemoryBound: 0
; FloatMode: 240
; IeeeMode: 1
; LDSByteSize: 0 bytes/workgroup (compile time only)
; SGPRBlocks: 0
; VGPRBlocks: 0
; NumSGPRsForWavesPerEU: 48
; NumVGPRsForWavesPerEU: 12
; NamedBarCnt: 0
; Occupancy: 16
; WaveLimiterHint : 0
; COMPUTE_PGM_RSRC2:SCRATCH_EN: 0
; COMPUTE_PGM_RSRC2:USER_SGPR: 2
; COMPUTE_PGM_RSRC2:TRAP_HANDLER: 0
; COMPUTE_PGM_RSRC2:TGID_X_EN: 1
; COMPUTE_PGM_RSRC2:TGID_Y_EN: 1
; COMPUTE_PGM_RSRC2:TGID_Z_EN: 1
; COMPUTE_PGM_RSRC2:TIDIG_COMP_CNT: 0
	.section	.text._ZL15flash_attn_tileILi128ELi128ELi4ELi2ELb0EEvPKcS1_S1_S1_S1_PKiPfP15HIP_vector_typeIfLj2EEffffjfiS5_IjLj3EEiiiiiiiiiiiliiliiiiil,"axG",@progbits,_ZL15flash_attn_tileILi128ELi128ELi4ELi2ELb0EEvPKcS1_S1_S1_S1_PKiPfP15HIP_vector_typeIfLj2EEffffjfiS5_IjLj3EEiiiiiiiiiiiliiliiiiil,comdat
	.globl	_ZL15flash_attn_tileILi128ELi128ELi4ELi2ELb0EEvPKcS1_S1_S1_S1_PKiPfP15HIP_vector_typeIfLj2EEffffjfiS5_IjLj3EEiiiiiiiiiiiliiliiiiil ; -- Begin function _ZL15flash_attn_tileILi128ELi128ELi4ELi2ELb0EEvPKcS1_S1_S1_S1_PKiPfP15HIP_vector_typeIfLj2EEffffjfiS5_IjLj3EEiiiiiiiiiiiliiliiiiil
	.p2align	8
	.type	_ZL15flash_attn_tileILi128ELi128ELi4ELi2ELb0EEvPKcS1_S1_S1_S1_PKiPfP15HIP_vector_typeIfLj2EEffffjfiS5_IjLj3EEiiiiiiiiiiiliiliiiiil,@function
_ZL15flash_attn_tileILi128ELi128ELi4ELi2ELb0EEvPKcS1_S1_S1_S1_PKiPfP15HIP_vector_typeIfLj2EEffffjfiS5_IjLj3EEiiiiiiiiiiiliiliiiiil: ; @_ZL15flash_attn_tileILi128ELi128ELi4ELi2ELb0EEvPKcS1_S1_S1_S1_PKiPfP15HIP_vector_typeIfLj2EEffffjfiS5_IjLj3EEiiiiiiiiiiiliiliiiiil
; %bb.0:
	s_clause 0x1
	s_load_b128 s[20:23], s[0:1], 0x5c
	s_load_b64 s[34:35], s[0:1], 0x80
	s_bfe_u32 s5, ttmp6, 0x40014
	s_lshr_b32 s4, ttmp7, 16
	s_add_co_i32 s5, s5, 1
	s_bfe_u32 s6, ttmp6, 0x40008
	s_mul_i32 s5, s4, s5
	s_getreg_b32 s24, hwreg(HW_REG_IB_STS2, 6, 4)
	s_add_co_i32 s6, s6, s5
	s_load_b64 s[38:39], s[0:1], 0xb8
	s_mov_b64 s[36:37], 0
	s_wait_kmcnt 0x0
	s_lshr_b32 s2, s23, 31
	s_delay_alu instid0(SALU_CYCLE_1) | instskip(NEXT) | instid1(SALU_CYCLE_1)
	s_add_co_i32 s2, s23, s2
	s_ashr_i32 s2, s2, 1
	s_delay_alu instid0(SALU_CYCLE_1) | instskip(SKIP_1) | instid1(SALU_CYCLE_2)
	s_cvt_f32_u32 s3, s2
	s_sub_co_i32 s7, 0, s2
	v_rcp_iflag_f32_e32 v1, s3
	v_nop
	s_delay_alu instid0(TRANS32_DEP_1) | instskip(SKIP_1) | instid1(SALU_CYCLE_3)
	v_readfirstlane_b32 s3, v1
	s_mul_f32 s3, s3, 0x4f7ffffe
	s_cvt_u32_f32 s3, s3
	s_delay_alu instid0(SALU_CYCLE_3) | instskip(NEXT) | instid1(SALU_CYCLE_1)
	s_mul_i32 s7, s7, s3
	s_mul_hi_u32 s7, s3, s7
	s_delay_alu instid0(SALU_CYCLE_1) | instskip(SKIP_2) | instid1(SALU_CYCLE_1)
	s_add_co_i32 s3, s3, s7
	s_cmp_eq_u32 s24, 0
	s_cselect_b32 s4, s4, s6
	s_mul_hi_u32 s3, s4, s3
	s_delay_alu instid0(SALU_CYCLE_1) | instskip(SKIP_2) | instid1(SALU_CYCLE_1)
	s_mul_i32 s5, s3, s2
	s_add_co_i32 s6, s3, 1
	s_sub_co_i32 s5, s4, s5
	s_sub_co_i32 s7, s5, s2
	s_cmp_ge_u32 s5, s2
	s_cselect_b32 s3, s6, s3
	s_cselect_b32 s5, s7, s5
	s_add_co_i32 s6, s3, 1
	s_cmp_ge_u32 s5, s2
	s_cselect_b32 s28, s6, s3
	s_abs_i32 s2, s35
	s_abs_i32 s7, s23
	s_cvt_f32_u32 s3, s2
	s_sub_co_i32 s5, 0, s2
	s_lshl_b32 s4, s4, 1
	s_mul_i32 s6, s28, s23
	v_rcp_iflag_f32_e32 v1, s3
	s_sub_co_i32 s30, s4, s6
	s_xor_b32 s4, s23, s35
	s_delay_alu instid0(SALU_CYCLE_1) | instskip(SKIP_1) | instid1(TRANS32_DEP_1)
	s_ashr_i32 s25, s4, 31
	v_nop
	v_readfirstlane_b32 s3, v1
	s_mul_f32 s3, s3, 0x4f7ffffe
	s_delay_alu instid0(SALU_CYCLE_3) | instskip(NEXT) | instid1(SALU_CYCLE_3)
	s_cvt_u32_f32 s3, s3
	s_mul_i32 s5, s5, s3
	s_delay_alu instid0(SALU_CYCLE_1) | instskip(NEXT) | instid1(SALU_CYCLE_1)
	s_mul_hi_u32 s5, s3, s5
	s_add_co_i32 s3, s3, s5
	s_delay_alu instid0(SALU_CYCLE_1) | instskip(NEXT) | instid1(SALU_CYCLE_1)
	s_mul_hi_u32 s3, s7, s3
	s_mul_i32 s5, s3, s2
	s_delay_alu instid0(SALU_CYCLE_1)
	s_sub_co_i32 s4, s7, s5
	s_add_co_i32 s5, s3, 1
	s_sub_co_i32 s6, s4, s2
	s_cmp_ge_u32 s4, s2
	s_cselect_b32 s3, s5, s3
	s_cselect_b32 s4, s6, s4
	s_add_co_i32 s5, s3, 1
	s_cmp_ge_u32 s4, s2
	s_cselect_b32 s2, s5, s3
	s_load_b512 s[4:19], s[0:1], 0x0
	s_xor_b32 s2, s2, s25
	s_mov_b32 s3, 0
	s_sub_co_i32 s29, s2, s25
	s_delay_alu instid0(SALU_CYCLE_1) | instskip(NEXT) | instid1(SALU_CYCLE_1)
	s_abs_i32 s31, s29
	s_cvt_f32_u32 s2, s31
	s_delay_alu instid0(SALU_CYCLE_3) | instskip(SKIP_1) | instid1(TRANS32_DEP_1)
	v_rcp_iflag_f32_e32 v1, s2
	v_nop
	v_readfirstlane_b32 s2, v1
	s_wait_kmcnt 0x0
	s_cmp_eq_u64 s[10:11], 0
	s_cbranch_scc1 .LBB43_2
; %bb.1:
	s_abs_i32 s25, s38
	s_abs_i32 s33, s28
	s_cvt_f32_u32 s26, s25
	s_sub_co_i32 s27, 0, s25
	s_delay_alu instid0(SALU_CYCLE_2) | instskip(SKIP_1) | instid1(TRANS32_DEP_1)
	v_rcp_iflag_f32_e32 v1, s26
	v_nop
	v_readfirstlane_b32 s26, v1
	s_mul_f32 s26, s26, 0x4f7ffffe
	s_delay_alu instid0(SALU_CYCLE_3) | instskip(NEXT) | instid1(SALU_CYCLE_3)
	s_cvt_u32_f32 s26, s26
	s_mul_i32 s27, s27, s26
	s_delay_alu instid0(SALU_CYCLE_1) | instskip(NEXT) | instid1(SALU_CYCLE_1)
	s_mul_hi_u32 s27, s26, s27
	s_add_co_i32 s26, s26, s27
	s_delay_alu instid0(SALU_CYCLE_1) | instskip(SKIP_2) | instid1(SALU_CYCLE_1)
	s_mul_hi_u32 s35, s33, s26
	s_load_b64 s[26:27], s[0:1], 0xc8
	s_mul_i32 s35, s35, s25
	s_sub_co_i32 s33, s33, s35
	s_ashr_i32 s35, s28, 31
	s_sub_co_i32 s36, s33, s25
	s_cmp_ge_u32 s33, s25
	s_cselect_b32 s33, s36, s33
	s_delay_alu instid0(SALU_CYCLE_1) | instskip(SKIP_2) | instid1(SALU_CYCLE_1)
	s_sub_co_i32 s36, s33, s25
	s_cmp_ge_u32 s33, s25
	s_cselect_b32 s25, s36, s33
	s_xor_b32 s25, s25, s35
	s_delay_alu instid0(SALU_CYCLE_1) | instskip(NEXT) | instid1(SALU_CYCLE_1)
	s_sub_co_i32 s36, s25, s35
	s_ashr_i32 s37, s36, 31
	s_wait_kmcnt 0x0
	s_mul_u64 s[26:27], s[26:27], s[36:37]
	s_delay_alu instid0(SALU_CYCLE_1)
	s_add_nc_u64 s[36:37], s[10:11], s[26:27]
.LBB43_2:
	s_bfe_u32 s10, ttmp6, 0x4000c
	s_and_b32 s11, ttmp6, 15
	s_add_co_i32 s10, s10, 1
	v_bfe_u32 v1, v0, 10, 10
	s_mul_i32 s10, ttmp9, s10
	s_load_b96 s[40:42], s[0:1], 0x70
	s_add_co_i32 s11, s11, s10
	s_cmp_eq_u32 s24, 0
	v_and_b32_e32 v46, 0x3ff, v0
	s_cselect_b32 s10, ttmp9, s11
	v_lshl_add_u32 v49, v1, 9, 0x2400
	v_lshl_add_u32 v47, s10, 2, v1
	s_delay_alu instid0(VALU_DEP_3) | instskip(SKIP_1) | instid1(VALU_DEP_3)
	v_dual_mov_b32 v3, 0 :: v_dual_lshlrev_b32 v6, 4, v46
	v_lshlrev_b32_e32 v50, 3, v46
	v_mul_hi_u32 v2, s20, v47
	s_delay_alu instid0(VALU_DEP_3) | instskip(SKIP_3) | instid1(VALU_DEP_2)
	v_mov_b32_e32 v7, v3
	s_wait_kmcnt 0x0
	s_mul_i32 s20, s30, s41
	s_ashr_i32 s27, s41, 31
	v_add_nc_u32_e32 v2, v47, v2
	s_mov_b32 s26, s41
	s_ashr_i32 s41, s40, 31
	s_delay_alu instid0(SALU_CYCLE_1) | instskip(NEXT) | instid1(VALU_DEP_1)
	s_lshr_b64 s[40:41], s[40:41], 2
	v_lshrrev_b32_e32 v2, s21, v2
	s_ashr_i32 s21, s20, 31
	s_delay_alu instid0(VALU_DEP_1) | instskip(NEXT) | instid1(VALU_DEP_1)
	v_mul_lo_u32 v2, v2, s22
	v_sub_nc_u32_e32 v2, v47, v2
	s_delay_alu instid0(VALU_DEP_1) | instskip(SKIP_1) | instid1(SALU_CYCLE_1)
	v_mul_u64_e32 v[4:5], s[40:41], v[2:3]
	s_mul_i32 s40, s28, s42
	s_ashr_i32 s41, s40, 31
	s_delay_alu instid0(SALU_CYCLE_1) | instskip(NEXT) | instid1(SALU_CYCLE_1)
	s_add_nc_u64 s[4:5], s[4:5], s[40:41]
	s_add_nc_u64 s[4:5], s[4:5], s[20:21]
	s_delay_alu instid0(VALU_DEP_1) | instid1(SALU_CYCLE_1)
	v_lshl_add_u64 v[4:5], v[4:5], 2, s[4:5]
	s_and_b64 s[4:5], s[26:27], -4
	s_cmp_eq_u64 s[14:15], 0
	s_delay_alu instid0(VALU_DEP_1) | instskip(NEXT) | instid1(VALU_DEP_1)
	v_add_nc_u64_e32 v[12:13], v[4:5], v[6:7]
	v_add_nc_u64_e32 v[14:15], s[4:5], v[12:13]
	s_load_b32 s4, s[0:1], 0x40
	s_clause 0x1
	global_load_b128 v[4:7], v[12:13], off
	global_load_b128 v[8:11], v[14:15], off
	s_wait_loadcnt 0x1
	s_wait_kmcnt 0x0
	v_fma_mixlo_f16 v0, s4, v5, 0
	v_fma_mixlo_f16 v3, s4, v4, 0
	;; [unrolled: 1-line block ×4, first 2 shown]
	s_wait_loadcnt 0x0
	v_fma_mixlo_f16 v6, s4, v9, 0
	v_fma_mixlo_f16 v7, s4, v8, 0
	v_lshlrev_b32_e32 v0, 16, v0
	v_and_b32_e32 v3, 0xffff, v3
	s_delay_alu instid0(VALU_DEP_4)
	v_dual_lshlrev_b32 v5, 16, v5 :: v_dual_lshlrev_b32 v6, 16, v6
	v_fma_mixlo_f16 v8, s4, v10, 0
	v_fma_mixlo_f16 v9, s4, v11, 0
	v_and_b32_e32 v7, 0xffff, v7
	v_and_b32_e32 v4, 0xffff, v4
	v_or_b32_e32 v0, v0, v3
	v_and_b32_e32 v8, 0xffff, v8
	s_delay_alu instid0(VALU_DEP_4) | instskip(SKIP_3) | instid1(VALU_DEP_4)
	v_dual_lshlrev_b32 v3, 16, v9 :: v_dual_bitop2_b32 v6, v6, v7 bitop3:0x54
	v_add_nc_u32_e32 v9, v49, v50
	v_or3_b32 v5, v5, v4, 0
	v_or3_b32 v4, 0, 0, v0
	;; [unrolled: 1-line block ×4, first 2 shown]
	ds_store_2addr_b64 v9, v[4:5], v[6:7] offset1:32
	s_wait_dscnt 0x0
	s_barrier_signal -1
	s_barrier_wait -1
	s_cbranch_scc1 .LBB43_4
; %bb.3:
	s_load_b32 s4, s[0:1], 0xd0
	s_wait_kmcnt 0x0
	s_mul_i32 s4, s4, s28
	s_delay_alu instid0(SALU_CYCLE_1)
	s_add_co_i32 s4, s4, s10
	s_load_b32 s34, s[14:15], s4 offset:0x0 scale_offset
.LBB43_4:
	s_wait_xcnt 0x0
	s_bfe_u32 s4, ttmp6, 0x40010
	s_and_b32 s5, ttmp7, 0xffff
	s_add_co_i32 s4, s4, 1
	s_bfe_u32 s10, ttmp6, 0x40004
	s_mul_i32 s4, s5, s4
	v_mbcnt_lo_u32_b32 v51, -1, 0
	s_add_co_i32 s10, s10, s4
	s_cmp_eq_u32 s24, 0
	s_mov_b32 s4, 0
	s_cselect_b32 s33, s5, s10
	s_delay_alu instid0(SALU_CYCLE_1)
	s_lshl_b32 s10, s33, 6
	s_wait_kmcnt 0x0
	s_cmp_lt_i32 s10, s34
	s_cbranch_scc1 .LBB43_7
; %bb.5:
	v_mbcnt_lo_u32_b32 v3, -1, 0
	s_delay_alu instid0(VALU_DEP_1)
	v_dual_mov_b32 v0, 32 :: v_dual_bitop2_b32 v56, 16, v3 bitop3:0x14
	v_xor_b32_e32 v55, 8, v3
	v_xor_b32_e32 v54, 4, v3
	;; [unrolled: 1-line block ×3, first 2 shown]
	v_dual_lshlrev_b32 v48, 2, v46 :: v_dual_bitop2_b32 v52, 1, v3 bitop3:0x14
	s_and_not1_b32 vcc_lo, exec_lo, s4
	s_cbranch_vccz .LBB43_8
; %bb.6:
	v_dual_mov_b32 v39, 0xfeffffff :: v_dual_mov_b32 v74, 0
	v_dual_mov_b32 v19, 0 :: v_dual_mov_b32 v75, 0
	;; [unrolled: 1-line block ×3, first 2 shown]
	s_delay_alu instid0(VALU_DEP_2)
	v_dual_mov_b32 v38, v39 :: v_dual_mov_b32 v18, v19
	s_branch .LBB43_11
.LBB43_7:
                                        ; implicit-def: $vgpr3
                                        ; implicit-def: $vgpr0
                                        ; implicit-def: $vgpr56
                                        ; implicit-def: $vgpr55
                                        ; implicit-def: $vgpr54
                                        ; implicit-def: $vgpr53
                                        ; implicit-def: $vgpr52
	v_lshlrev_b32_e32 v48, 2, v46
.LBB43_8:
	s_clause 0x1
	s_load_b64 s[4:5], s[0:1], 0x8c
	s_load_b128 s[24:27], s[0:1], 0x98
	s_mul_f32 s2, s2, 0x4f7ffffe
	s_sub_co_i32 s11, 0, s31
	s_mov_b32 s15, s3
	v_dual_lshrrev_b32 v0, 3, v46 :: v_dual_lshrrev_b32 v4, 4, v46
	s_cvt_u32_f32 s14, s2
	s_abs_i32 s2, s30
	s_ashr_i32 s20, s30, 31
	s_ashr_i32 s21, s29, 31
	s_mul_i32 s11, s11, s14
	s_ashr_i32 s29, s28, 31
	s_mul_hi_u32 s11, s14, s11
	s_xor_b32 s21, s20, s21
	s_add_co_i32 s14, s14, s11
	s_ashr_i32 s11, s39, 1
	s_mul_u64 s[14:15], s[2:3], s[14:15]
	v_lshl_add_u32 v3, v1, 2, v0
	s_mul_i32 s3, s15, s31
	s_wait_kmcnt 0x0
	s_ashr_i32 s20, s4, 2
	s_sub_co_i32 s2, s2, s3
	s_ashr_i32 s14, s26, 2
	s_add_co_i32 s3, s15, 1
	s_sub_co_i32 s4, s2, s31
	s_cmp_ge_u32 s2, s31
	s_load_b64 s[40:41], s[0:1], 0xa8
	s_cselect_b32 s3, s3, s15
	s_cselect_b32 s2, s4, s2
	s_add_co_i32 s4, s3, 1
	v_mul_lo_u32 v16, s20, v3
	s_cmp_ge_u32 s2, s31
	v_lshl_add_u32 v7, v1, 1, v4
	s_cselect_b32 s2, s4, s3
	v_dual_mov_b32 v23, 0 :: v_dual_bitop2_b32 v0, 28, v48 bitop3:0x40
	s_xor_b32 s2, s2, s21
	s_delay_alu instid0(VALU_DEP_2)
	v_mul_lo_u32 v4, s14, v7
	s_sub_co_i32 s15, s2, s21
	s_mul_u64 s[2:3], s[24:25], s[28:29]
	s_mul_i32 s4, s15, s5
	s_add_nc_u64 s[2:3], s[6:7], s[2:3]
	s_lshl_b32 s6, s20, 4
	s_delay_alu instid0(SALU_CYCLE_1)
	v_dual_ashrrev_i32 v17, 31, v16 :: v_dual_add_nc_u32 v20, s6, v16
	s_ashr_i32 s5, s4, 31
	v_mad_u32 v63, v2, s11, v46
	s_add_nc_u64 s[24:25], s[2:3], s[4:5]
	s_wait_kmcnt 0x0
	s_mul_u64 s[2:3], s[40:41], s[28:29]
	v_dual_add_nc_u32 v24, s6, v20 :: v_dual_ashrrev_i32 v21, 31, v20
	s_mul_i32 s4, s15, s27
	s_add_nc_u64 s[2:3], s[8:9], s[2:3]
	s_ashr_i32 s5, s4, 31
	s_delay_alu instid0(VALU_DEP_1) | instskip(SKIP_3) | instid1(VALU_DEP_2)
	v_dual_ashrrev_i32 v25, 31, v24 :: v_dual_add_nc_u32 v26, s6, v24
	s_add_nc_u64 s[8:9], s[2:3], s[4:5]
	s_lshl_b32 s2, s14, 3
	v_and_b32_e32 v6, 60, v48
	v_dual_add_nc_u32 v8, s2, v4 :: v_dual_ashrrev_i32 v27, 31, v26
	v_lshlrev_b32_e32 v5, 2, v0
	v_lshl_add_u32 v64, v1, 8, 0x2c00
	v_mul_u32_u24_e32 v61, 0x90, v46
	v_dual_lshlrev_b32 v22, 2, v0 :: v_dual_bitop2_b32 v56, 16, v51 bitop3:0x14
	s_delay_alu instid0(VALU_DEP_4) | instskip(SKIP_3) | instid1(VALU_DEP_3)
	v_mad_u32_u24 v57, 0x90, v3, v5
	v_ashrrev_i32_e32 v5, 31, v4
	v_dual_add_nc_u32 v10, s2, v8 :: v_dual_ashrrev_i32 v9, 31, v8
	v_dual_mov_b32 v38, 0xfeffffff :: v_dual_lshlrev_b32 v3, 2, v6
	v_lshlrev_b64_e32 v[28:29], 2, v[4:5]
	s_delay_alu instid0(VALU_DEP_3) | instskip(NEXT) | instid1(VALU_DEP_3)
	v_dual_add_nc_u32 v2, s2, v10 :: v_dual_ashrrev_i32 v11, 31, v10
	v_lshl_or_b32 v62, v7, 8, v3
	v_lshlrev_b64_e32 v[32:33], 2, v[8:9]
	v_dual_mov_b32 v31, v23 :: v_dual_add_nc_u32 v58, 0x900, v57
	s_delay_alu instid0(VALU_DEP_4) | instskip(SKIP_3) | instid1(VALU_DEP_4)
	v_ashrrev_i32_e32 v3, 31, v2
	v_lshlrev_b64_e32 v[34:35], 2, v[10:11]
	v_dual_mov_b32 v72, v23 :: v_dual_add_nc_u32 v59, 0x1200, v57
	v_dual_mov_b32 v73, v23 :: v_dual_add_nc_u32 v60, 0x1b00, v57
	v_lshlrev_b64_e32 v[36:37], 2, v[2:3]
	v_dual_mov_b32 v74, v23 :: v_dual_add_nc_u32 v65, 0x800, v62
	v_dual_mov_b32 v75, v23 :: v_dual_add_nc_u32 v66, 0x1000, v62
	;; [unrolled: 1-line block ×3, first 2 shown]
	v_dual_add_nc_u32 v68, v64, v48 :: v_dual_bitop2_b32 v55, 8, v51 bitop3:0x14
	v_dual_lshlrev_b32 v30, 2, v6 :: v_dual_bitop2_b32 v54, 4, v51 bitop3:0x14
	v_dual_mov_b32 v39, v38 :: v_dual_bitop2_b32 v53, 2, v51 bitop3:0x14
	v_dual_mov_b32 v19, v23 :: v_dual_bitop2_b32 v52, 1, v51 bitop3:0x14
	v_add_nc_u32_e32 v69, 0x800, v50
	v_add_nc_u32_e32 v70, 0x1000, v50
	;; [unrolled: 1-line block ×3, first 2 shown]
	s_ashr_i32 s21, s20, 31
	s_ashr_i32 s15, s14, 31
	s_add_nc_u64 s[26:27], s[0:1], 0xd0
.LBB43_9:                               ; =>This Inner Loop Header: Depth=1
	v_cmp_gt_i32_e32 vcc_lo, 32, v56
	v_dual_mov_b32 v40, v39 :: v_dual_mov_b32 v41, v38
	v_add_nc_u32_e32 v38, s10, v63
	s_ashr_i32 s11, s10, 31
	v_cndmask_b32_e32 v0, v51, v56, vcc_lo
	v_cmp_gt_i32_e32 vcc_lo, 32, v55
	s_mul_u64 s[2:3], s[10:11], s[20:21]
	v_dual_mov_b32 v76, 0 :: v_dual_mov_b32 v77, 0
	s_lshl_b64 s[2:3], s[2:3], 2
	v_cndmask_b32_e32 v1, v51, v55, vcc_lo
	v_cmp_gt_i32_e32 vcc_lo, 32, v54
	s_add_nc_u64 s[6:7], s[24:25], s[2:3]
	v_dual_mov_b32 v78, 0 :: v_dual_mov_b32 v79, 0
	v_lshl_add_u64 v[6:7], v[26:27], 2, s[6:7]
	v_cndmask_b32_e32 v2, v51, v54, vcc_lo
	v_cmp_gt_i32_e32 vcc_lo, 32, v53
	v_dual_lshlrev_b32 v45, 2, v0 :: v_dual_lshlrev_b32 v44, 2, v1
	v_lshl_add_u64 v[0:1], v[16:17], 2, s[6:7]
	v_add_nc_u64_e32 v[6:7], v[6:7], v[22:23]
	v_cndmask_b32_e32 v3, v51, v53, vcc_lo
	v_cmp_gt_i32_e32 vcc_lo, 32, v52
	s_mul_u64 s[4:5], s[10:11], s[14:15]
	v_add_nc_u64_e32 v[0:1], v[0:1], v[22:23]
	s_lshl_b64 s[4:5], s[4:5], 2
	v_dual_cndmask_b32 v4, v51, v52 :: v_dual_lshlrev_b32 v43, 2, v2
	v_lshlrev_b32_e32 v42, 2, v3
	v_lshl_add_u64 v[2:3], v[20:21], 2, s[6:7]
	s_add_nc_u64 s[2:3], s[8:9], s[4:5]
	s_delay_alu instid0(VALU_DEP_3)
	v_lshlrev_b32_e32 v39, 2, v4
	v_lshl_add_u64 v[4:5], v[24:25], 2, s[6:7]
	v_add_nc_u64_e32 v[8:9], s[2:3], v[28:29]
	v_add_nc_u64_e32 v[2:3], v[2:3], v[22:23]
	;; [unrolled: 1-line block ×5, first 2 shown]
	s_clause 0x3
	global_load_b128 v[80:83], v[0:1], off
	global_load_b128 v[84:87], v[2:3], off
	;; [unrolled: 1-line block ×4, first 2 shown]
	v_add_nc_u64_e32 v[14:15], v[8:9], v[30:31]
	v_add_nc_u64_e32 v[8:9], v[12:13], v[30:31]
	;; [unrolled: 1-line block ×3, first 2 shown]
	s_wait_loadcnt 0x3
	ds_store_b128 v57, v[80:83]
	s_wait_loadcnt 0x2
	ds_store_b128 v58, v[84:87]
	;; [unrolled: 2-line block ×4, first 2 shown]
	s_wait_dscnt 0x0
	s_barrier_signal -1
	s_barrier_wait -1
	ds_load_b128 v[80:83], v61
	ds_load_b128 v[84:87], v49
	ds_load_b128 v[88:91], v49 offset:256
	ds_load_b128 v[92:95], v61 offset:4608
	s_wait_dscnt 0x2
	;;#ASMSTART
	v_dot2_f32_f16 v76, v80, v84, v76
	;;#ASMEND
	;;#ASMSTART
	v_dot2_f32_f16 v76, v81, v85, v76
	;;#ASMEND
	;;#ASMSTART
	v_dot2_f32_f16 v76, v82, v86, v76
	;;#ASMEND
	;;#ASMSTART
	v_dot2_f32_f16 v76, v83, v87, v76
	;;#ASMEND
	s_wait_dscnt 0x1
	;;#ASMSTART
	v_dot2_f32_f16 v77, v80, v88, v77
	;;#ASMEND
	;;#ASMSTART
	v_dot2_f32_f16 v77, v81, v89, v77
	;;#ASMEND
	;;#ASMSTART
	v_dot2_f32_f16 v77, v82, v90, v77
	;;#ASMEND
	;;#ASMSTART
	v_dot2_f32_f16 v77, v83, v91, v77
	;;#ASMEND
	s_wait_dscnt 0x0
	;;#ASMSTART
	v_dot2_f32_f16 v78, v92, v84, v78
	;;#ASMEND
	;;#ASMSTART
	v_dot2_f32_f16 v78, v93, v85, v78
	;;#ASMEND
	;;#ASMSTART
	v_dot2_f32_f16 v78, v94, v86, v78
	;;#ASMEND
	;;#ASMSTART
	v_dot2_f32_f16 v78, v95, v87, v78
	;;#ASMEND
	;;#ASMSTART
	v_dot2_f32_f16 v79, v92, v88, v79
	;;#ASMEND
	;;#ASMSTART
	v_dot2_f32_f16 v79, v93, v89, v79
	;;#ASMEND
	;;#ASMSTART
	v_dot2_f32_f16 v79, v94, v90, v79
	;;#ASMEND
	;;#ASMSTART
	v_dot2_f32_f16 v79, v95, v91, v79
	;;#ASMEND
	ds_load_b128 v[80:83], v61 offset:16
	ds_load_b128 v[84:87], v49 offset:16
	ds_load_b128 v[88:91], v49 offset:272
	ds_load_b128 v[92:95], v61 offset:4624
	s_wait_dscnt 0x2
	;;#ASMSTART
	v_dot2_f32_f16 v76, v80, v84, v76
	;;#ASMEND
	;;#ASMSTART
	v_dot2_f32_f16 v76, v81, v85, v76
	;;#ASMEND
	;;#ASMSTART
	v_dot2_f32_f16 v76, v82, v86, v76
	;;#ASMEND
	;;#ASMSTART
	v_dot2_f32_f16 v76, v83, v87, v76
	;;#ASMEND
	s_wait_dscnt 0x1
	;;#ASMSTART
	v_dot2_f32_f16 v77, v80, v88, v77
	;;#ASMEND
	;;#ASMSTART
	v_dot2_f32_f16 v77, v81, v89, v77
	;;#ASMEND
	;;#ASMSTART
	v_dot2_f32_f16 v77, v82, v90, v77
	;;#ASMEND
	;;#ASMSTART
	v_dot2_f32_f16 v77, v83, v91, v77
	;;#ASMEND
	s_wait_dscnt 0x0
	;;#ASMSTART
	v_dot2_f32_f16 v78, v92, v84, v78
	;;#ASMEND
	;;#ASMSTART
	v_dot2_f32_f16 v78, v93, v85, v78
	;;#ASMEND
	;;#ASMSTART
	v_dot2_f32_f16 v78, v94, v86, v78
	;;#ASMEND
	;;#ASMSTART
	v_dot2_f32_f16 v78, v95, v87, v78
	;;#ASMEND
	;;#ASMSTART
	v_dot2_f32_f16 v79, v92, v88, v79
	;;#ASMEND
	;;#ASMSTART
	v_dot2_f32_f16 v79, v93, v89, v79
	;;#ASMEND
	;;#ASMSTART
	v_dot2_f32_f16 v79, v94, v90, v79
	;;#ASMEND
	;;#ASMSTART
	v_dot2_f32_f16 v79, v95, v91, v79
	;;#ASMEND
	ds_load_b128 v[80:83], v61 offset:32
	ds_load_b128 v[84:87], v49 offset:32
	;; [unrolled: 55-line block ×7, first 2 shown]
	ds_load_b128 v[88:91], v49 offset:368
	ds_load_b128 v[92:95], v61 offset:4720
	s_wait_dscnt 0x2
	;;#ASMSTART
	v_dot2_f32_f16 v76, v80, v84, v76
	;;#ASMEND
	;;#ASMSTART
	v_dot2_f32_f16 v76, v81, v85, v76
	;;#ASMEND
	;; [unrolled: 3-line block ×4, first 2 shown]
	s_wait_dscnt 0x1
	;;#ASMSTART
	v_dot2_f32_f16 v77, v80, v88, v77
	;;#ASMEND
	;;#ASMSTART
	v_dot2_f32_f16 v77, v81, v89, v77
	;;#ASMEND
	;; [unrolled: 3-line block ×3, first 2 shown]
	v_add_nc_u64_e32 v[80:81], s[2:3], v[36:37]
	;;#ASMSTART
	v_dot2_f32_f16 v77, v83, v91, v77
	;;#ASMEND
	s_wait_dscnt 0x0
	;;#ASMSTART
	v_dot2_f32_f16 v78, v92, v84, v78
	;;#ASMEND
	;;#ASMSTART
	v_dot2_f32_f16 v78, v93, v85, v78
	;;#ASMEND
	;; [unrolled: 3-line block ×7, first 2 shown]
	v_add_nc_u64_e32 v[12:13], v[80:81], v[30:31]
	;;#ASMSTART
	v_dot2_f32_f16 v79, v95, v91, v79
	;;#ASMEND
	s_barrier_signal -1
	s_barrier_wait -1
	s_clause 0x3
	global_load_b128 v[80:83], v[0:1], off offset:128
	global_load_b128 v[0:3], v[2:3], off offset:128
	;; [unrolled: 1-line block ×4, first 2 shown]
	s_wait_loadcnt 0x3
	ds_store_b128 v57, v[80:83]
	s_wait_loadcnt 0x2
	ds_store_b128 v58, v[0:3]
	;; [unrolled: 2-line block ×4, first 2 shown]
	s_wait_dscnt 0x0
	s_barrier_signal -1
	s_barrier_wait -1
	ds_load_b128 v[0:3], v61
	ds_load_b128 v[4:7], v49 offset:128
	ds_load_b128 v[80:83], v49 offset:384
	ds_load_b128 v[84:87], v61 offset:4608
	s_wait_dscnt 0x2
	;;#ASMSTART
	v_dot2_f32_f16 v76, v0, v4, v76
	;;#ASMEND
	;;#ASMSTART
	v_dot2_f32_f16 v76, v1, v5, v76
	;;#ASMEND
	;;#ASMSTART
	v_dot2_f32_f16 v76, v2, v6, v76
	;;#ASMEND
	;;#ASMSTART
	v_dot2_f32_f16 v76, v3, v7, v76
	;;#ASMEND
	s_wait_dscnt 0x1
	;;#ASMSTART
	v_dot2_f32_f16 v77, v0, v80, v77
	;;#ASMEND
	;;#ASMSTART
	v_dot2_f32_f16 v77, v1, v81, v77
	;;#ASMEND
	;;#ASMSTART
	v_dot2_f32_f16 v77, v2, v82, v77
	;;#ASMEND
	;;#ASMSTART
	v_dot2_f32_f16 v77, v3, v83, v77
	;;#ASMEND
	s_wait_dscnt 0x0
	;;#ASMSTART
	v_dot2_f32_f16 v78, v84, v4, v78
	;;#ASMEND
	;;#ASMSTART
	v_dot2_f32_f16 v78, v85, v5, v78
	;;#ASMEND
	;;#ASMSTART
	v_dot2_f32_f16 v78, v86, v6, v78
	;;#ASMEND
	;;#ASMSTART
	v_dot2_f32_f16 v78, v87, v7, v78
	;;#ASMEND
	;;#ASMSTART
	v_dot2_f32_f16 v79, v84, v80, v79
	;;#ASMEND
	;;#ASMSTART
	v_dot2_f32_f16 v79, v85, v81, v79
	;;#ASMEND
	;;#ASMSTART
	v_dot2_f32_f16 v79, v86, v82, v79
	;;#ASMEND
	;;#ASMSTART
	v_dot2_f32_f16 v79, v87, v83, v79
	;;#ASMEND
	ds_load_b128 v[0:3], v61 offset:16
	ds_load_b128 v[4:7], v49 offset:144
	ds_load_b128 v[80:83], v49 offset:400
	ds_load_b128 v[84:87], v61 offset:4624
	s_wait_dscnt 0x2
	;;#ASMSTART
	v_dot2_f32_f16 v76, v0, v4, v76
	;;#ASMEND
	;;#ASMSTART
	v_dot2_f32_f16 v76, v1, v5, v76
	;;#ASMEND
	;;#ASMSTART
	v_dot2_f32_f16 v76, v2, v6, v76
	;;#ASMEND
	;;#ASMSTART
	v_dot2_f32_f16 v76, v3, v7, v76
	;;#ASMEND
	s_wait_dscnt 0x1
	;;#ASMSTART
	v_dot2_f32_f16 v77, v0, v80, v77
	;;#ASMEND
	;;#ASMSTART
	v_dot2_f32_f16 v77, v1, v81, v77
	;;#ASMEND
	;;#ASMSTART
	v_dot2_f32_f16 v77, v2, v82, v77
	;;#ASMEND
	;;#ASMSTART
	v_dot2_f32_f16 v77, v3, v83, v77
	;;#ASMEND
	s_wait_dscnt 0x0
	;;#ASMSTART
	v_dot2_f32_f16 v78, v84, v4, v78
	;;#ASMEND
	;;#ASMSTART
	v_dot2_f32_f16 v78, v85, v5, v78
	;;#ASMEND
	;;#ASMSTART
	v_dot2_f32_f16 v78, v86, v6, v78
	;;#ASMEND
	;;#ASMSTART
	v_dot2_f32_f16 v78, v87, v7, v78
	;;#ASMEND
	;;#ASMSTART
	v_dot2_f32_f16 v79, v84, v80, v79
	;;#ASMEND
	;;#ASMSTART
	v_dot2_f32_f16 v79, v85, v81, v79
	;;#ASMEND
	;;#ASMSTART
	v_dot2_f32_f16 v79, v86, v82, v79
	;;#ASMEND
	;;#ASMSTART
	v_dot2_f32_f16 v79, v87, v83, v79
	;;#ASMEND
	ds_load_b128 v[0:3], v61 offset:32
	;; [unrolled: 55-line block ×7, first 2 shown]
	ds_load_b128 v[4:7], v49 offset:240
	ds_load_b128 v[80:83], v49 offset:496
	;; [unrolled: 1-line block ×3, first 2 shown]
	s_wait_dscnt 0x2
	;;#ASMSTART
	v_dot2_f32_f16 v76, v0, v4, v76
	;;#ASMEND
	;;#ASMSTART
	v_dot2_f32_f16 v76, v1, v5, v76
	;;#ASMEND
	;;#ASMSTART
	v_dot2_f32_f16 v76, v2, v6, v76
	;;#ASMEND
	;;#ASMSTART
	v_dot2_f32_f16 v76, v3, v7, v76
	;;#ASMEND
	s_wait_dscnt 0x1
	;;#ASMSTART
	v_dot2_f32_f16 v77, v0, v80, v77
	;;#ASMEND
	;;#ASMSTART
	v_dot2_f32_f16 v77, v1, v81, v77
	;;#ASMEND
	;;#ASMSTART
	v_dot2_f32_f16 v77, v2, v82, v77
	;;#ASMEND
	;;#ASMSTART
	v_dot2_f32_f16 v77, v3, v83, v77
	;;#ASMEND
	;; [unrolled: 13-line block ×3, first 2 shown]
	;;#ASMSTART
	v_dot2_f32_f16 v79, v84, v80, v79
	;;#ASMEND
	;;#ASMSTART
	v_dot2_f32_f16 v79, v85, v81, v79
	;;#ASMEND
	;; [unrolled: 3-line block ×4, first 2 shown]
	s_clause 0x1
	global_load_u16 v80, v38, s[36:37] scale_offset
	global_load_u16 v38, v38, s[36:37] offset:64 scale_offset
	s_wait_loadcnt 0x0
	s_barrier_signal -1
	s_barrier_wait -1
	s_clause 0x3
	global_load_b128 v[0:3], v[14:15], off
	global_load_b128 v[4:7], v[10:11], off
	;; [unrolled: 1-line block ×4, first 2 shown]
	v_cvt_f32_f16_e32 v80, v80
	v_cvt_f32_f16_e32 v38, v38
	s_delay_alu instid0(VALU_DEP_2) | instskip(NEXT) | instid1(VALU_DEP_2)
	v_dual_add_f32 v76, v76, v80 :: v_dual_add_f32 v77, v77, v80
	v_dual_add_f32 v78, v78, v38 :: v_dual_add_f32 v79, v79, v38
	s_delay_alu instid0(VALU_DEP_2) | instskip(NEXT) | instid1(VALU_DEP_2)
	v_dual_add_f32 v38, 0x40051340, v76 :: v_dual_add_f32 v81, 0x40051340, v77
	v_add_f32_e32 v80, 0x40051340, v78
	s_delay_alu instid0(VALU_DEP_3) | instskip(NEXT) | instid1(VALU_DEP_2)
	v_add_f32_e32 v82, 0x40051340, v79
	v_max3_num_f32 v38, v41, v38, v80
	s_delay_alu instid0(VALU_DEP_2)
	v_max3_num_f32 v80, v40, v81, v82
	ds_bpermute_b32 v81, v45, v38
	ds_bpermute_b32 v45, v45, v80
	s_wait_dscnt 0x1
	v_max_num_f32_e32 v81, v81, v81
	s_wait_dscnt 0x0
	v_max_num_f32_e32 v45, v45, v45
	s_delay_alu instid0(VALU_DEP_2) | instskip(NEXT) | instid1(VALU_DEP_2)
	v_max_num_f32_e32 v38, v38, v81
	v_max_num_f32_e32 v45, v80, v45
	ds_bpermute_b32 v80, v44, v38
	ds_bpermute_b32 v44, v44, v45
	s_wait_dscnt 0x1
	v_max_num_f32_e32 v80, v80, v80
	s_wait_dscnt 0x0
	v_max_num_f32_e32 v44, v44, v44
	s_delay_alu instid0(VALU_DEP_2) | instskip(NEXT) | instid1(VALU_DEP_2)
	v_max_num_f32_e32 v38, v38, v80
	v_max_num_f32_e32 v44, v45, v44
	ds_bpermute_b32 v45, v43, v38
	s_wait_dscnt 0x0
	v_max_num_f32_e32 v45, v45, v45
	ds_bpermute_b32 v43, v43, v44
	s_wait_dscnt 0x0
	v_dual_max_num_f32 v38, v38, v45 :: v_dual_max_num_f32 v43, v43, v43
	s_delay_alu instid0(VALU_DEP_1)
	v_max_num_f32_e32 v43, v44, v43
	ds_bpermute_b32 v44, v42, v38
	s_wait_dscnt 0x0
	v_max_num_f32_e32 v44, v44, v44
	ds_bpermute_b32 v42, v42, v43
	s_wait_dscnt 0x0
	v_max_num_f32_e32 v42, v42, v42
	s_delay_alu instid0(VALU_DEP_1) | instskip(SKIP_4) | instid1(VALU_DEP_1)
	v_dual_max_num_f32 v38, v38, v44 :: v_dual_max_num_f32 v42, v43, v42
	ds_bpermute_b32 v43, v39, v38
	ds_bpermute_b32 v39, v39, v42
	s_wait_dscnt 0x1
	v_max_num_f32_e32 v43, v43, v43
	v_max_num_f32_e32 v38, v38, v43
	s_wait_dscnt 0x0
	v_max_num_f32_e32 v39, v39, v39
	s_delay_alu instid0(VALU_DEP_1) | instskip(NEXT) | instid1(VALU_DEP_1)
	v_max_num_f32_e32 v39, v42, v39
	v_dual_sub_f32 v43, v78, v38 :: v_dual_sub_f32 v44, v77, v39
	s_delay_alu instid0(VALU_DEP_1) | instskip(SKIP_2) | instid1(VALU_DEP_3)
	v_dual_mul_f32 v77, 0x3fb8aa3b, v43 :: v_dual_sub_f32 v42, v76, v38
	v_dual_sub_f32 v41, v41, v38 :: v_dual_sub_f32 v45, v79, v39
	v_sub_f32_e32 v40, v40, v39
	v_rndne_f32_e32 v87, v77
	s_delay_alu instid0(VALU_DEP_4) | instskip(NEXT) | instid1(VALU_DEP_4)
	v_mul_f32_e32 v76, 0x3fb8aa3b, v42
	v_dual_mul_f32 v78, 0x3fb8aa3b, v44 :: v_dual_mul_f32 v79, 0x3fb8aa3b, v45
	v_fma_f32 v83, 0x3fb8aa3b, v43, -v77
	s_delay_alu instid0(VALU_DEP_4) | instskip(NEXT) | instid1(VALU_DEP_4)
	v_sub_f32_e32 v77, v77, v87
	v_fma_f32 v82, 0x3fb8aa3b, v42, -v76
	s_delay_alu instid0(VALU_DEP_4)
	v_fma_f32 v84, 0x3fb8aa3b, v44, -v78
	v_rndne_f32_e32 v86, v76
	v_rndne_f32_e32 v88, v78
	v_dual_mul_f32 v80, 0x3fb8aa3b, v41 :: v_dual_mul_f32 v81, 0x3fb8aa3b, v40
	v_fma_f32 v85, 0x3fb8aa3b, v45, -v79
	v_dual_fmac_f32 v82, 0x32a5705f, v42 :: v_dual_fmac_f32 v83, 0x32a5705f, v43
	v_fmac_f32_e32 v84, 0x32a5705f, v44
	v_dual_sub_f32 v76, v76, v86 :: v_dual_sub_f32 v78, v78, v88
	v_rndne_f32_e32 v89, v79
	v_fma_f32 v90, 0x3fb8aa3b, v41, -v80
	v_rndne_f32_e32 v92, v80
	s_delay_alu instid0(VALU_DEP_4) | instskip(SKIP_4) | instid1(VALU_DEP_3)
	v_dual_fmac_f32 v85, 0x32a5705f, v45 :: v_dual_add_f32 v78, v78, v84
	v_add_f32_e32 v77, v77, v83
	v_fma_f32 v91, 0x3fb8aa3b, v40, -v81
	v_rndne_f32_e32 v93, v81
	v_dual_sub_f32 v79, v79, v89 :: v_dual_sub_f32 v80, v80, v92
	v_dual_fmac_f32 v90, 0x32a5705f, v41 :: v_dual_fmac_f32 v91, 0x32a5705f, v40
	v_exp_f32_e32 v77, v77
	v_cvt_i32_f32_e32 v87, v87
	v_dual_sub_f32 v81, v81, v93 :: v_dual_add_f32 v76, v76, v82
	s_delay_alu instid0(VALU_DEP_3)
	v_dual_add_f32 v79, v79, v85 :: v_dual_add_f32 v80, v80, v90
	v_exp_f32_e32 v78, v78
	s_delay_alu instid0(TRANS32_DEP_2) | instid1(VALU_DEP_3)
	v_ldexp_f32 v77, v77, v87
	s_delay_alu instid0(VALU_DEP_3) | instskip(NEXT) | instid1(VALU_DEP_2)
	v_exp_f32_e32 v76, v76
	v_exp_f32_e32 v79, v79
	v_exp_f32_e32 v80, v80
	v_cmp_ngt_f32_e64 s6, 0xc2ce8ed0, v43
	v_add_f32_e32 v81, v81, v91
	v_cvt_i32_f32_e32 v86, v86
	v_cvt_i32_f32_e32 v88, v88
	;; [unrolled: 1-line block ×4, first 2 shown]
	v_cndmask_b32_e64 v77, 0, v77, s6
	v_exp_f32_e32 v81, v81
	v_cvt_i32_f32_e32 v93, v93
	v_ldexp_f32 v78, v78, v88
	v_cmp_ngt_f32_e32 vcc_lo, 0xc2ce8ed0, v44
	v_ldexp_f32 v79, v79, v89
	v_cmp_ngt_f32_e64 s2, 0xc2ce8ed0, v45
	v_ldexp_f32 v76, v76, v86
	v_cmp_ngt_f32_e64 s3, 0xc2ce8ed0, v42
	;; [unrolled: 2-line block ×4, first 2 shown]
	v_cmp_nlt_f32_e64 s6, 0x42b17218, v43
	v_dual_cndmask_b32 v43, 0, v78, vcc_lo :: v_dual_cndmask_b32 v78, 0, v79, s2
	v_cmp_nlt_f32_e32 vcc_lo, 0x42b17218, v44
	v_cmp_nlt_f32_e64 s2, 0x42b17218, v45
	v_dual_cndmask_b32 v44, 0, v76, s3 :: v_dual_cndmask_b32 v76, 0, v81, s4
	v_cmp_nlt_f32_e64 s3, 0x42b17218, v40
	v_cndmask_b32_e64 v40, 0, v80, s5
	v_cmp_nlt_f32_e64 s5, 0x42b17218, v42
	v_cndmask_b32_e32 v43, 0x7f800000, v43, vcc_lo
	v_cndmask_b32_e64 v45, 0x7f800000, v78, s2
	v_cmp_nlt_f32_e64 s4, 0x42b17218, v41
	v_cndmask_b32_e64 v41, 0x7f800000, v76, s3
	v_cndmask_b32_e64 v42, 0x7f800000, v44, s5
	;; [unrolled: 1-line block ×3, first 2 shown]
	s_or_b32 s2, s10, 32
	s_delay_alu instid0(VALU_DEP_3) | instskip(NEXT) | instid1(VALU_DEP_3)
	v_cvt_f16_f32_e32 v76, v41
	v_cvt_pk_f16_f32 v78, v42, v43
	s_delay_alu instid0(VALU_DEP_3)
	v_cvt_pk_f16_f32 v79, v44, v45
	ds_store_2addr_b32 v68, v78, v79 offset1:32
	s_wait_loadcnt 0x3
	ds_store_b128 v62, v[0:3]
	s_wait_loadcnt 0x2
	ds_store_b128 v65, v[4:7]
	;; [unrolled: 2-line block ×4, first 2 shown]
	s_wait_dscnt 0x0
	s_barrier_signal -1
	s_barrier_wait -1
	ds_load_b128 v[0:3], v64
	ds_load_b128 v[4:7], v64 offset:16
	v_pk_add_f32 v[80:81], v[42:43], v[44:45]
	ds_load_2addr_b64 v[8:11], v50 offset1:32
	ds_load_b128 v[12:15], v64 offset:32
	ds_load_b128 v[42:45], v64 offset:48
	v_and_b32_e32 v76, 0xffff, v76
	s_ashr_i32 s3, s2, 31
	s_delay_alu instid0(SALU_CYCLE_1) | instskip(NEXT) | instid1(SALU_CYCLE_1)
	s_mul_u64 s[2:3], s[2:3], s[14:15]
	s_lshl_b64 s[2:3], s[2:3], 2
	s_delay_alu instid0(SALU_CYCLE_1)
	s_add_nc_u64 s[2:3], s[8:9], s[2:3]
	s_wait_dscnt 0x4
	v_lshrrev_b32_e32 v79, 16, v1
	v_cndmask_b32_e64 v40, 0x7f800000, v40, s4
	s_wait_dscnt 0x3
	v_dual_lshrrev_b32 v82, 16, v3 :: v_dual_lshrrev_b32 v85, 16, v4
	v_and_b32_e32 v84, 0xffff, v4
	v_and_b32_e32 v78, 0xffff, v1
	v_cvt_f16_f32_e32 v77, v40
	v_pk_fma_f32 v[18:19], v[18:19], v[40:41], v[80:81]
	v_and_b32_e32 v80, 0xffff, v2
	v_lshrrev_b32_e32 v81, 16, v2
	v_and_b32_e32 v83, 0xffff, v3
	v_and_b32_e32 v77, 0xffff, v77
	;; [unrolled: 1-line block ×3, first 2 shown]
	v_dual_lshrrev_b32 v87, 16, v5 :: v_dual_lshrrev_b32 v89, 16, v6
	v_and_b32_e32 v88, 0xffff, v6
	s_delay_alu instid0(VALU_DEP_4)
	v_mul_u32_u24_e32 v40, 0x10001, v77
	v_lshrrev_b32_e32 v77, 16, v0
	s_wait_dscnt 0x1
	v_and_b32_e32 v94, 0xffff, v14
	v_dual_lshrrev_b32 v95, 16, v14 :: v_dual_lshrrev_b32 v96, 16, v15
	v_pk_mul_f16 v41, v75, v40
	v_and_b32_e32 v75, 0xffff, v0
	v_mul_u32_u24_e32 v6, 0x10001, v76
	v_mul_u32_u24_e32 v14, 0x10001, v77
	v_lshrrev_b32_e32 v90, 16, v7
	v_and_b32_e32 v91, 0xffff, v7
	v_mul_u32_u24_e32 v4, 0x10001, v75
	v_and_b32_e32 v97, 0xffff, v15
	v_pk_mul_f16 v7, v73, v6
	v_mul_u32_u24_e32 v15, 0x10001, v78
	v_and_b32_e32 v93, 0xffff, v13
	v_pk_mul_f16 v0, v8, v4
	v_pk_fma_f16 v4, v9, v4, v41
	v_pk_mul_f16 v8, v8, v14
	v_pk_fma_f16 v9, v9, v14, v7
	v_lshrrev_b32_e32 v13, 16, v13
	v_pk_fma_f16 v5, v74, v40, v0
	ds_load_b128 v[0:3], v64 offset:64
	v_pk_fma_f16 v8, v72, v6, v8
	v_pk_fma_f16 v14, v11, v15, v4
	v_mul_u32_u24_e32 v40, 0x10001, v79
	v_pk_fma_f16 v15, v10, v15, v5
	ds_load_b128 v[4:7], v64 offset:80
	v_and_b32_e32 v92, 0xffff, v12
	v_lshrrev_b32_e32 v12, 16, v12
	v_pk_fma_f16 v8, v10, v40, v8
	v_mul_u32_u24_e32 v10, 0x10001, v80
	v_pk_fma_f16 v9, v11, v40, v9
	v_mul_u32_u24_e32 v40, 0x10001, v93
	v_mul_u32_u24_e32 v12, 0x10001, v12
	s_wait_dscnt 0x2
	v_and_b32_e32 v100, 0xffff, v44
	v_dual_lshrrev_b32 v101, 16, v44 :: v_dual_lshrrev_b32 v102, 16, v45
	v_and_b32_e32 v103, 0xffff, v45
	v_and_b32_e32 v98, 0xffff, v42
	v_lshrrev_b32_e32 v42, 16, v42
	v_and_b32_e32 v99, 0xffff, v43
	s_wait_dscnt 0x1
	v_and_b32_e32 v72, 0xffff, v0
	v_dual_lshrrev_b32 v73, 16, v0 :: v_dual_lshrrev_b32 v76, 16, v1
	v_and_b32_e32 v74, 0xffff, v1
	v_and_b32_e32 v77, 0xffff, v2
	v_dual_lshrrev_b32 v78, 16, v2 :: v_dual_lshrrev_b32 v104, 16, v3
	v_and_b32_e32 v79, 0xffff, v3
	ds_load_2addr_b64 v[0:3], v50 offset0:64 offset1:96
	s_wait_dscnt 0x1
	v_and_b32_e32 v80, 0xffff, v4
	v_and_b32_e32 v106, 0xffff, v6
	v_dual_lshrrev_b32 v107, 16, v6 :: v_dual_lshrrev_b32 v108, 16, v7
	v_mul_u32_u24_e32 v6, 0x10001, v85
	v_lshrrev_b32_e32 v105, 16, v5
	v_and_b32_e32 v109, 0xffff, v7
	v_lshrrev_b32_e32 v43, 16, v43
	v_mul_u32_u24_e32 v41, 0x10001, v42
	v_mul_u32_u24_e32 v42, 0x10001, v99
	;; [unrolled: 1-line block ×11, first 2 shown]
	s_wait_dscnt 0x0
	v_pk_fma_f16 v11, v1, v10, v14
	v_mul_u32_u24_e32 v14, 0x10001, v81
	v_pk_fma_f16 v10, v0, v10, v15
	v_lshrrev_b32_e32 v81, 16, v4
	v_mul_u32_u24_e32 v4, 0x10001, v84
	v_mul_u32_u24_e32 v84, 0x10001, v103
	v_pk_fma_f16 v0, v0, v14, v8
	v_mul_u32_u24_e32 v8, 0x10001, v83
	v_pk_fma_f16 v1, v1, v14, v9
	v_mul_u32_u24_e32 v14, 0x10001, v92
	v_mul_u32_u24_e32 v83, 0x10001, v101
	;; [unrolled: 1-line block ×3, first 2 shown]
	v_pk_fma_f16 v9, v3, v8, v11
	v_pk_fma_f16 v8, v2, v8, v10
	v_mul_u32_u24_e32 v10, 0x10001, v82
	v_and_b32_e32 v82, 0xffff, v5
	s_delay_alu instid0(VALU_DEP_2)
	v_pk_fma_f16 v11, v3, v10, v1
	v_pk_fma_f16 v10, v2, v10, v0
	ds_load_2addr_b64 v[0:3], v50 offset0:128 offset1:160
	v_mul_u32_u24_e32 v82, 0x10001, v82
	s_wait_dscnt 0x0
	v_pk_fma_f16 v5, v1, v4, v9
	v_pk_fma_f16 v4, v0, v4, v8
	;; [unrolled: 1-line block ×4, first 2 shown]
	v_mul_u32_u24_e32 v6, 0x10001, v86
	v_mul_u32_u24_e32 v8, 0x10001, v88
	;; [unrolled: 1-line block ×4, first 2 shown]
	s_delay_alu instid0(VALU_DEP_4) | instskip(SKIP_2) | instid1(VALU_DEP_1)
	v_pk_fma_f16 v5, v3, v6, v5
	v_pk_fma_f16 v4, v2, v6, v4
	v_mul_u32_u24_e32 v6, 0x10001, v87
	v_pk_fma_f16 v7, v3, v6, v1
	v_pk_fma_f16 v6, v2, v6, v0
	ds_load_2addr_b64 v[0:3], v50 offset0:192 offset1:224
	s_wait_dscnt 0x0
	v_pk_fma_f16 v9, v1, v8, v5
	v_pk_fma_f16 v8, v0, v8, v4
	;; [unrolled: 1-line block ×4, first 2 shown]
	v_mul_u32_u24_e32 v10, 0x10001, v90
	v_pk_fma_f16 v9, v3, v11, v9
	v_pk_fma_f16 v8, v2, v11, v8
	v_add_nc_u64_e32 v[4:5], s[2:3], v[28:29]
	v_add_nc_u64_e32 v[6:7], s[2:3], v[32:33]
	v_pk_fma_f16 v11, v3, v10, v1
	v_pk_fma_f16 v10, v2, v10, v0
	ds_load_2addr_b64 v[0:3], v69 offset1:32
	v_add_nc_u64_e32 v[44:45], v[6:7], v[30:31]
	s_wait_dscnt 0x0
	v_pk_fma_f16 v15, v1, v14, v9
	v_pk_fma_f16 v14, v0, v14, v8
	;; [unrolled: 1-line block ×4, first 2 shown]
	v_add_nc_u64_e32 v[8:9], s[2:3], v[34:35]
	v_pk_fma_f16 v12, v3, v40, v15
	v_pk_fma_f16 v40, v2, v40, v14
	v_add_nc_u64_e32 v[14:15], v[4:5], v[30:31]
	v_mul_u32_u24_e32 v4, 0x10001, v13
	v_add_nc_u64_e32 v[0:1], s[2:3], v[36:37]
	v_add_nc_u64_e32 v[88:89], v[8:9], v[30:31]
	v_mul_u32_u24_e32 v8, 0x10001, v94
	s_delay_alu instid0(VALU_DEP_4)
	v_pk_fma_f16 v6, v3, v4, v11
	v_pk_fma_f16 v7, v2, v4, v10
	ds_load_2addr_b64 v[2:5], v69 offset0:64 offset1:96
	v_mul_u32_u24_e32 v9, 0x10001, v95
	v_mul_u32_u24_e32 v10, 0x10001, v97
	v_add_nc_u64_e32 v[0:1], v[0:1], v[30:31]
	s_wait_dscnt 0x0
	v_pk_fma_f16 v11, v3, v8, v12
	v_pk_fma_f16 v3, v3, v9, v6
	;; [unrolled: 1-line block ×4, first 2 shown]
	v_mul_u32_u24_e32 v12, 0x10001, v96
	v_pk_fma_f16 v11, v5, v10, v11
	v_mul_u32_u24_e32 v40, 0x10001, v98
	v_pk_fma_f16 v10, v4, v10, v6
	ds_load_2addr_b64 v[6:9], v69 offset0:128 offset1:160
	v_pk_fma_f16 v13, v5, v12, v3
	v_pk_fma_f16 v12, v4, v12, v2
	ds_load_2addr_b64 v[2:5], v69 offset0:192 offset1:224
	s_wait_dscnt 0x1
	v_pk_fma_f16 v11, v7, v40, v11
	v_pk_fma_f16 v10, v6, v40, v10
	;; [unrolled: 1-line block ×4, first 2 shown]
	s_delay_alu instid0(VALU_DEP_4) | instskip(NEXT) | instid1(VALU_DEP_4)
	v_pk_fma_f16 v40, v9, v42, v11
	v_pk_fma_f16 v41, v8, v42, v10
	ds_load_2addr_b64 v[10:13], v70 offset1:32
	v_mul_u32_u24_e32 v42, 0x10001, v43
	s_wait_dscnt 0x1
	v_pk_fma_f16 v40, v3, v75, v40
	v_pk_fma_f16 v41, v2, v75, v41
	s_delay_alu instid0(VALU_DEP_3)
	v_pk_fma_f16 v43, v9, v42, v7
	v_pk_fma_f16 v42, v8, v42, v6
	ds_load_2addr_b64 v[6:9], v70 offset0:64 offset1:96
	v_pk_fma_f16 v75, v5, v84, v40
	v_pk_fma_f16 v3, v3, v83, v43
	v_pk_fma_f16 v2, v2, v83, v42
	v_pk_fma_f16 v83, v4, v84, v41
	v_mul_u32_u24_e32 v84, 0x10001, v102
	ds_load_2addr_b64 v[40:43], v70 offset0:128 offset1:160
	v_pk_fma_f16 v85, v5, v84, v3
	v_pk_fma_f16 v84, v4, v84, v2
	s_wait_dscnt 0x2
	v_pk_fma_f16 v75, v11, v72, v75
	v_pk_fma_f16 v72, v10, v72, v83
	ds_load_2addr_b64 v[2:5], v70 offset0:192 offset1:224
	v_pk_fma_f16 v11, v11, v73, v85
	v_pk_fma_f16 v10, v10, v73, v84
	;; [unrolled: 1-line block ×4, first 2 shown]
	ds_load_b128 v[72:75], v64 offset:96
	v_pk_fma_f16 v85, v13, v76, v11
	v_pk_fma_f16 v76, v12, v76, v10
	s_wait_dscnt 0x3
	v_pk_fma_f16 v83, v7, v77, v83
	v_pk_fma_f16 v77, v6, v77, v84
	ds_load_2addr_b64 v[10:13], v71 offset1:32
	v_pk_fma_f16 v7, v7, v78, v85
	v_pk_fma_f16 v6, v6, v78, v76
	v_mul_u32_u24_e32 v85, 0x10001, v104
	v_pk_fma_f16 v83, v9, v79, v83
	v_pk_fma_f16 v84, v8, v79, v77
	ds_load_2addr_b64 v[76:79], v71 offset0:64 offset1:96
	v_pk_fma_f16 v86, v9, v85, v7
	v_pk_fma_f16 v85, v8, v85, v6
	s_wait_dscnt 0x4
	v_pk_fma_f16 v83, v41, v80, v83
	v_pk_fma_f16 v80, v40, v80, v84
	ds_load_b128 v[6:9], v64 offset:112
	v_pk_fma_f16 v41, v41, v81, v86
	v_pk_fma_f16 v40, v40, v81, v85
	v_mul_u32_u24_e32 v86, 0x10001, v105
	v_pk_fma_f16 v84, v43, v82, v83
	v_pk_fma_f16 v85, v42, v82, v80
	ds_load_2addr_b64 v[80:83], v71 offset0:128 offset1:160
	s_wait_dscnt 0x4
	v_and_b32_e32 v94, 0xffff, v73
	v_pk_fma_f16 v90, v43, v86, v41
	v_pk_fma_f16 v91, v42, v86, v40
	v_mul_u32_u24_e32 v86, 0x10001, v106
	ds_load_2addr_b64 v[40:43], v71 offset0:192 offset1:224
	s_wait_dscnt 0x0
	s_barrier_signal -1
	s_barrier_wait -1
	v_pk_fma_f16 v92, v3, v86, v84
	v_pk_fma_f16 v93, v2, v86, v85
	global_load_b128 v[84:87], v[14:15], off
	s_wait_xcnt 0x0
	v_mul_u32_u24_e32 v14, 0x10001, v107
	v_mul_u32_u24_e32 v15, 0x10001, v109
	v_lshrrev_b32_e32 v95, 16, v73
	v_and_b32_e32 v96, 0xffff, v74
	v_dual_lshrrev_b32 v97, 16, v74 :: v_dual_lshrrev_b32 v98, 16, v75
	v_pk_fma_f16 v3, v3, v14, v90
	v_pk_fma_f16 v2, v2, v14, v91
	v_and_b32_e32 v14, 0xffff, v72
	v_pk_fma_f16 v90, v5, v15, v92
	v_pk_fma_f16 v15, v4, v15, v93
	v_lshrrev_b32_e32 v91, 16, v72
	v_mul_u32_u24_e32 v72, 0x10001, v108
	v_mul_u32_u24_e32 v14, 0x10001, v14
	v_and_b32_e32 v99, 0xffff, v75
	s_delay_alu instid0(VALU_DEP_3)
	v_pk_fma_f16 v92, v5, v72, v3
	v_pk_fma_f16 v93, v4, v72, v2
	s_clause 0x1
	global_load_b128 v[2:5], v[44:45], off
	global_load_b128 v[72:75], v[88:89], off
	s_wait_xcnt 0x1
	v_pk_fma_f16 v44, v11, v14, v90
	v_pk_fma_f16 v14, v10, v14, v15
	v_mul_u32_u24_e32 v15, 0x10001, v91
	v_mul_u32_u24_e32 v45, 0x10001, v94
	s_wait_xcnt 0x0
	v_and_b32_e32 v88, 0xffff, v8
	v_dual_lshrrev_b32 v89, 16, v8 :: v_dual_lshrrev_b32 v90, 16, v9
	v_pk_fma_f16 v11, v11, v15, v92
	v_pk_fma_f16 v10, v10, v15, v93
	v_and_b32_e32 v15, 0xffff, v6
	v_pk_fma_f16 v44, v13, v45, v44
	v_pk_fma_f16 v14, v12, v45, v14
	v_lshrrev_b32_e32 v45, 16, v6
	v_mul_u32_u24_e32 v6, 0x10001, v95
	v_and_b32_e32 v91, 0xffff, v9
	v_mul_u32_u24_e32 v92, 0x10001, v99
	v_mul_u32_u24_e32 v93, 0x10001, v98
	;; [unrolled: 1-line block ×3, first 2 shown]
	v_pk_fma_f16 v11, v13, v6, v11
	v_pk_fma_f16 v10, v12, v6, v10
	v_and_b32_e32 v12, 0xffff, v7
	v_lshrrev_b32_e32 v13, 16, v7
	global_load_b128 v[6:9], v[0:1], off
	s_wait_xcnt 0x0
	v_mul_u32_u24_e32 v0, 0x10001, v96
	v_mul_u32_u24_e32 v1, 0x10001, v97
	;; [unrolled: 1-line block ×5, first 2 shown]
	v_pk_fma_f16 v44, v77, v0, v44
	v_pk_fma_f16 v11, v77, v1, v11
	v_pk_fma_f16 v0, v76, v0, v14
	v_pk_fma_f16 v1, v76, v1, v10
	v_mul_u32_u24_e32 v88, 0x10001, v88
	v_pk_fma_f16 v10, v79, v92, v44
	v_pk_fma_f16 v11, v79, v93, v11
	v_pk_fma_f16 v0, v78, v92, v0
	v_pk_fma_f16 v1, v78, v93, v1
	v_mul_u32_u24_e32 v89, 0x10001, v89
	;; [unrolled: 5-line block ×4, first 2 shown]
	v_pk_fma_f16 v10, v41, v88, v10
	v_pk_fma_f16 v11, v41, v89, v11
	;; [unrolled: 1-line block ×4, first 2 shown]
	s_wait_loadcnt 0x3
	ds_store_b128 v62, v[84:87]
	s_wait_loadcnt 0x2
	ds_store_b128 v65, v[2:5]
	;; [unrolled: 2-line block ×4, first 2 shown]
	v_pk_fma_f16 v44, v43, v91, v10
	v_pk_fma_f16 v45, v43, v90, v11
	;; [unrolled: 1-line block ×4, first 2 shown]
	s_wait_dscnt 0x0
	s_barrier_signal -1
	s_barrier_wait -1
	ds_load_b128 v[4:7], v64 offset:128
	ds_load_b128 v[8:11], v64 offset:144
	;; [unrolled: 1-line block ×3, first 2 shown]
	ds_load_2addr_b64 v[0:3], v50 offset1:32
	ds_load_b128 v[40:43], v64 offset:176
	s_wait_dscnt 0x4
	v_and_b32_e32 v72, 0xffff, v4
	v_dual_lshrrev_b32 v73, 16, v4 :: v_dual_lshrrev_b32 v75, 16, v5
	v_and_b32_e32 v74, 0xffff, v5
	s_wait_dscnt 0x3
	v_and_b32_e32 v82, 0xffff, v8
	v_dual_lshrrev_b32 v83, 16, v8 :: v_dual_lshrrev_b32 v85, 16, v9
	v_and_b32_e32 v84, 0xffff, v9
	v_and_b32_e32 v86, 0xffff, v10
	v_dual_lshrrev_b32 v87, 16, v10 :: v_dual_lshrrev_b32 v88, 16, v11
	v_and_b32_e32 v89, 0xffff, v11
	s_wait_dscnt 0x0
	v_and_b32_e32 v11, 0xffff, v40
	v_dual_lshrrev_b32 v10, 16, v40 :: v_dual_lshrrev_b32 v8, 16, v41
	v_and_b32_e32 v9, 0xffff, v41
	v_mul_u32_u24_e32 v40, 0x10001, v72
	v_mul_u32_u24_e32 v41, 0x10001, v73
	v_and_b32_e32 v78, 0xffff, v6
	v_dual_lshrrev_b32 v79, 16, v6 :: v_dual_lshrrev_b32 v80, 16, v7
	v_and_b32_e32 v81, 0xffff, v7
	v_and_b32_e32 v90, 0xffff, v12
	v_dual_lshrrev_b32 v91, 16, v12 :: v_dual_lshrrev_b32 v93, 16, v13
	v_and_b32_e32 v92, 0xffff, v13
	v_and_b32_e32 v94, 0xffff, v14
	v_dual_lshrrev_b32 v95, 16, v14 :: v_dual_lshrrev_b32 v96, 16, v15
	v_and_b32_e32 v97, 0xffff, v15
	v_and_b32_e32 v6, 0xffff, v42
	v_dual_lshrrev_b32 v5, 16, v42 :: v_dual_lshrrev_b32 v4, 16, v43
	v_and_b32_e32 v7, 0xffff, v43
	ds_load_b128 v[12:15], v64 offset:192
	v_mul_u32_u24_e32 v42, 0x10001, v74
	v_pk_fma_f16 v43, v0, v40, v76
	v_pk_fma_f16 v40, v1, v40, v44
	;; [unrolled: 1-line block ×4, first 2 shown]
	v_mul_u32_u24_e32 v72, 0x10001, v75
	v_pk_fma_f16 v44, v2, v42, v43
	v_pk_fma_f16 v45, v3, v42, v40
	ds_load_b128 v[40:43], v64 offset:208
	v_mul_u32_u24_e32 v74, 0x10001, v90
	v_pk_fma_f16 v73, v2, v72, v0
	v_pk_fma_f16 v72, v3, v72, v1
	ds_load_2addr_b64 v[0:3], v50 offset0:64 offset1:96
	v_mul_u32_u24_e32 v75, 0x10001, v91
	v_mul_u32_u24_e32 v11, 0x10001, v11
	;; [unrolled: 1-line block ×6, first 2 shown]
	s_wait_dscnt 0x2
	v_and_b32_e32 v76, 0xffff, v12
	v_dual_lshrrev_b32 v77, 16, v12 :: v_dual_lshrrev_b32 v99, 16, v13
	v_and_b32_e32 v100, 0xffff, v14
	v_dual_lshrrev_b32 v101, 16, v14 :: v_dual_lshrrev_b32 v102, 16, v15
	v_mul_u32_u24_e32 v12, 0x10001, v78
	v_mul_u32_u24_e32 v14, 0x10001, v79
	v_and_b32_e32 v98, 0xffff, v13
	v_and_b32_e32 v103, 0xffff, v15
	s_wait_dscnt 0x1
	v_and_b32_e32 v78, 0xffff, v40
	v_lshrrev_b32_e32 v79, 16, v40
	v_mul_u32_u24_e32 v40, 0x10001, v82
	s_wait_dscnt 0x0
	v_pk_fma_f16 v13, v0, v12, v44
	v_pk_fma_f16 v12, v1, v12, v45
	;; [unrolled: 1-line block ×4, first 2 shown]
	v_mul_u32_u24_e32 v14, 0x10001, v81
	v_lshrrev_b32_e32 v81, 16, v41
	v_mul_u32_u24_e32 v82, 0x10001, v92
	v_mul_u32_u24_e32 v5, 0x10001, v5
	;; [unrolled: 1-line block ×3, first 2 shown]
	v_pk_fma_f16 v45, v3, v14, v12
	v_mul_u32_u24_e32 v12, 0x10001, v80
	v_pk_fma_f16 v44, v2, v14, v13
	v_and_b32_e32 v80, 0xffff, v41
	v_mul_u32_u24_e32 v4, 0x10001, v4
	s_delay_alu instid0(VALU_DEP_4)
	v_pk_fma_f16 v72, v2, v12, v0
	v_pk_fma_f16 v73, v3, v12, v1
	ds_load_2addr_b64 v[12:15], v50 offset0:128 offset1:160
	v_and_b32_e32 v2, 0xffff, v42
	v_dual_lshrrev_b32 v1, 16, v42 :: v_dual_lshrrev_b32 v0, 16, v43
	v_mul_u32_u24_e32 v42, 0x10001, v83
	v_and_b32_e32 v3, 0xffff, v43
	s_delay_alu instid0(VALU_DEP_4) | instskip(NEXT) | instid1(VALU_DEP_4)
	v_mul_u32_u24_e32 v2, 0x10001, v2
	v_mul_u32_u24_e32 v1, 0x10001, v1
	;; [unrolled: 1-line block ×3, first 2 shown]
	s_delay_alu instid0(VALU_DEP_4)
	v_mul_u32_u24_e32 v3, 0x10001, v3
	s_wait_dscnt 0x0
	v_pk_fma_f16 v41, v12, v40, v44
	v_pk_fma_f16 v40, v13, v40, v45
	;; [unrolled: 1-line block ×4, first 2 shown]
	v_mul_u32_u24_e32 v42, 0x10001, v84
	v_mul_u32_u24_e32 v44, 0x10001, v86
	;; [unrolled: 1-line block ×4, first 2 shown]
	s_delay_alu instid0(VALU_DEP_4) | instskip(SKIP_2) | instid1(VALU_DEP_1)
	v_pk_fma_f16 v41, v14, v42, v41
	v_pk_fma_f16 v40, v15, v42, v40
	v_mul_u32_u24_e32 v42, 0x10001, v85
	v_pk_fma_f16 v43, v14, v42, v12
	v_pk_fma_f16 v42, v15, v42, v13
	ds_load_2addr_b64 v[12:15], v50 offset0:192 offset1:224
	s_wait_dscnt 0x0
	v_pk_fma_f16 v41, v12, v44, v41
	v_pk_fma_f16 v40, v13, v44, v40
	;; [unrolled: 1-line block ×4, first 2 shown]
	s_delay_alu instid0(VALU_DEP_4) | instskip(NEXT) | instid1(VALU_DEP_4)
	v_pk_fma_f16 v44, v14, v72, v41
	v_pk_fma_f16 v45, v15, v72, v40
	ds_load_2addr_b64 v[40:43], v69 offset1:32
	v_mul_u32_u24_e32 v72, 0x10001, v88
	s_delay_alu instid0(VALU_DEP_1)
	v_pk_fma_f16 v73, v14, v72, v12
	v_pk_fma_f16 v72, v15, v72, v13
	ds_load_b128 v[12:15], v64 offset:224
	s_wait_dscnt 0x1
	v_pk_fma_f16 v44, v40, v74, v44
	v_pk_fma_f16 v45, v41, v74, v45
	;; [unrolled: 1-line block ×4, first 2 shown]
	ds_load_b128 v[72:75], v64 offset:240
	v_pk_fma_f16 v44, v42, v82, v44
	v_pk_fma_f16 v45, v43, v82, v45
	v_mul_u32_u24_e32 v82, 0x10001, v93
	s_wait_dscnt 0x1
	v_dual_lshrrev_b32 v83, 16, v12 :: v_dual_lshrrev_b32 v85, 16, v13
	v_and_b32_e32 v84, 0xffff, v13
	v_and_b32_e32 v86, 0xffff, v14
	v_pk_fma_f16 v40, v42, v82, v40
	v_pk_fma_f16 v41, v43, v82, v41
	v_and_b32_e32 v82, 0xffff, v12
	v_dual_lshrrev_b32 v87, 16, v14 :: v_dual_lshrrev_b32 v88, 16, v15
	v_and_b32_e32 v89, 0xffff, v15
	ds_load_2addr_b64 v[12:15], v69 offset0:64 offset1:96
	v_mul_u32_u24_e32 v42, 0x10001, v94
	s_wait_dscnt 0x1
	v_lshrrev_b32_e32 v90, 16, v73
	v_and_b32_e32 v91, 0xffff, v73
	v_dual_lshrrev_b32 v92, 16, v74 :: v_dual_lshrrev_b32 v94, 16, v75
	v_and_b32_e32 v93, 0xffff, v74
	v_mul_u32_u24_e32 v73, 0x10001, v101
	v_mul_u32_u24_e32 v74, 0x10001, v103
	s_wait_dscnt 0x0
	v_pk_fma_f16 v43, v12, v42, v44
	v_mul_u32_u24_e32 v44, 0x10001, v95
	v_pk_fma_f16 v42, v13, v42, v45
	v_and_b32_e32 v45, 0xffff, v72
	v_and_b32_e32 v95, 0xffff, v75
	s_delay_alu instid0(VALU_DEP_4) | instskip(SKIP_3) | instid1(VALU_DEP_3)
	v_pk_fma_f16 v12, v12, v44, v40
	v_mul_u32_u24_e32 v40, 0x10001, v97
	v_pk_fma_f16 v13, v13, v44, v41
	v_lshrrev_b32_e32 v44, 16, v72
	v_pk_fma_f16 v41, v14, v40, v43
	v_pk_fma_f16 v40, v15, v40, v42
	v_mul_u32_u24_e32 v42, 0x10001, v96
	s_delay_alu instid0(VALU_DEP_1)
	v_pk_fma_f16 v43, v14, v42, v12
	v_pk_fma_f16 v42, v15, v42, v13
	ds_load_2addr_b64 v[12:15], v69 offset0:128 offset1:160
	s_wait_dscnt 0x0
	v_pk_fma_f16 v41, v12, v11, v41
	v_pk_fma_f16 v11, v13, v11, v40
	;; [unrolled: 1-line block ×4, first 2 shown]
	v_mul_u32_u24_e32 v42, 0x10001, v98
	v_pk_fma_f16 v13, v14, v9, v41
	v_pk_fma_f16 v40, v15, v9, v11
	;; [unrolled: 1-line block ×4, first 2 shown]
	ds_load_2addr_b64 v[8:11], v69 offset0:192 offset1:224
	v_mul_u32_u24_e32 v41, 0x10001, v77
	v_mul_u32_u24_e32 v77, 0x10001, v79
	s_wait_dscnt 0x0
	v_pk_fma_f16 v13, v8, v6, v13
	v_pk_fma_f16 v6, v9, v6, v40
	;; [unrolled: 1-line block ×4, first 2 shown]
	s_delay_alu instid0(VALU_DEP_4) | instskip(NEXT) | instid1(VALU_DEP_4)
	v_pk_fma_f16 v14, v10, v7, v13
	v_pk_fma_f16 v15, v11, v7, v6
	ds_load_2addr_b64 v[6:9], v70 offset1:32
	v_pk_fma_f16 v40, v10, v4, v12
	v_pk_fma_f16 v4, v11, v4, v5
	ds_load_2addr_b64 v[10:13], v70 offset0:64 offset1:96
	v_mul_u32_u24_e32 v5, 0x10001, v76
	v_mul_u32_u24_e32 v76, 0x10001, v78
	v_mul_u32_u24_e32 v78, 0x10001, v80
	v_mul_u32_u24_e32 v80, 0x10001, v82
	v_mul_u32_u24_e32 v82, 0x10001, v84
	v_mul_u32_u24_e32 v84, 0x10001, v86
	v_mul_u32_u24_e32 v86, 0x10001, v89
	s_wait_dscnt 0x1
	v_pk_fma_f16 v14, v6, v5, v14
	v_pk_fma_f16 v5, v7, v5, v15
	;; [unrolled: 1-line block ×4, first 2 shown]
	v_mul_u32_u24_e32 v41, 0x10001, v99
	v_pk_fma_f16 v14, v8, v42, v14
	v_pk_fma_f16 v72, v9, v42, v5
	ds_load_2addr_b64 v[4:7], v70 offset0:128 offset1:160
	v_pk_fma_f16 v8, v8, v41, v15
	v_mul_u32_u24_e32 v15, 0x10001, v100
	v_pk_fma_f16 v9, v9, v41, v40
	ds_load_2addr_b64 v[40:43], v70 offset0:192 offset1:224
	s_wait_dscnt 0x2
	v_pk_fma_f16 v14, v10, v15, v14
	v_pk_fma_f16 v15, v11, v15, v72
	;; [unrolled: 1-line block ×4, first 2 shown]
	ds_load_2addr_b64 v[8:11], v71 offset1:32
	v_pk_fma_f16 v75, v12, v74, v14
	v_pk_fma_f16 v74, v13, v74, v15
	v_mul_u32_u24_e32 v14, 0x10001, v102
	s_delay_alu instid0(VALU_DEP_1)
	v_pk_fma_f16 v72, v12, v14, v72
	v_pk_fma_f16 v73, v13, v14, v73
	s_wait_dscnt 0x2
	v_pk_fma_f16 v75, v4, v76, v75
	v_pk_fma_f16 v74, v5, v76, v74
	ds_load_2addr_b64 v[12:15], v71 offset0:64 offset1:96
	v_pk_fma_f16 v4, v4, v77, v72
	v_pk_fma_f16 v5, v5, v77, v73
	;; [unrolled: 1-line block ×4, first 2 shown]
	v_mul_u32_u24_e32 v78, 0x10001, v81
	v_mul_u32_u24_e32 v81, 0x10001, v83
	ds_load_2addr_b64 v[72:75], v71 offset0:128 offset1:160
	s_wait_dscnt 0x3
	v_pk_fma_f16 v76, v40, v2, v76
	v_pk_fma_f16 v2, v41, v2, v77
	;; [unrolled: 1-line block ×4, first 2 shown]
	v_mul_u32_u24_e32 v83, 0x10001, v85
	v_mul_u32_u24_e32 v85, 0x10001, v87
	v_pk_fma_f16 v2, v43, v3, v2
	v_pk_fma_f16 v40, v40, v1, v79
	;; [unrolled: 1-line block ×3, first 2 shown]
	v_mul_u32_u24_e32 v41, 0x10001, v45
	v_pk_fma_f16 v45, v42, v3, v76
	s_wait_dscnt 0x2
	v_pk_fma_f16 v2, v9, v80, v2
	v_pk_fma_f16 v40, v42, v0, v40
	;; [unrolled: 1-line block ×3, first 2 shown]
	ds_load_2addr_b64 v[4:7], v71 offset0:192 offset1:224
	v_pk_fma_f16 v3, v8, v80, v45
	v_pk_fma_f16 v2, v11, v82, v2
	;; [unrolled: 1-line block ×4, first 2 shown]
	v_mul_u32_u24_e32 v87, 0x10001, v88
	v_pk_fma_f16 v3, v10, v82, v3
	s_wait_dscnt 0x2
	v_pk_fma_f16 v2, v13, v84, v2
	v_pk_fma_f16 v8, v10, v83, v8
	;; [unrolled: 1-line block ×3, first 2 shown]
	s_wait_dscnt 0x0
	v_pk_fma_f16 v3, v12, v84, v3
	s_barrier_signal -1
	v_pk_fma_f16 v8, v12, v85, v8
	v_pk_fma_f16 v0, v13, v85, v0
	s_barrier_wait -1
	s_load_b32 s2, s[26:27], 0x4
	v_mul_u32_u24_e32 v1, 0x10001, v44
	v_pk_fma_f16 v3, v14, v86, v3
	v_pk_fma_f16 v8, v14, v87, v8
	v_pk_fma_f16 v2, v15, v86, v2
	v_pk_fma_f16 v0, v15, v87, v0
	v_mul_u32_u24_e32 v9, 0x10001, v91
	v_mul_u32_u24_e32 v10, 0x10001, v90
	v_pk_fma_f16 v3, v72, v41, v3
	v_pk_fma_f16 v8, v72, v1, v8
	v_pk_fma_f16 v2, v73, v41, v2
	v_pk_fma_f16 v0, v73, v1, v0
	v_mul_u32_u24_e32 v11, 0x10001, v93
	v_mul_u32_u24_e32 v12, 0x10001, v92
	v_pk_fma_f16 v3, v74, v9, v3
	v_pk_fma_f16 v8, v74, v10, v8
	v_pk_fma_f16 v2, v75, v9, v2
	v_pk_fma_f16 v0, v75, v10, v0
	v_mul_u32_u24_e32 v1, 0x10001, v95
	v_mul_u32_u24_e32 v9, 0x10001, v94
	v_pk_fma_f16 v3, v4, v11, v3
	v_pk_fma_f16 v4, v4, v12, v8
	;; [unrolled: 1-line block ×4, first 2 shown]
	s_wait_kmcnt 0x0
	s_lshl_b32 s2, s2, 6
	v_pk_fma_f16 v74, v6, v1, v3
	v_pk_fma_f16 v72, v6, v9, v4
	;; [unrolled: 1-line block ×4, first 2 shown]
	s_add_co_i32 s10, s2, s10
	s_delay_alu instid0(SALU_CYCLE_1)
	s_cmp_ge_i32 s10, s34
	s_cbranch_scc0 .LBB43_9
; %bb.10:
	v_dual_mov_b32 v0, 32 :: v_dual_mov_b32 v3, v51
.LBB43_11:
	s_delay_alu instid0(VALU_DEP_1)
	v_cmp_lt_i32_e32 vcc_lo, v56, v0
	s_cmp_lg_u64 s[12:13], 0
	s_cselect_b32 s2, -1, 0
	s_cmp_eq_u32 s33, 0
	v_cndmask_b32_e32 v1, v3, v56, vcc_lo
	v_cmp_lt_i32_e32 vcc_lo, v55, v0
	s_cselect_b32 s3, -1, 0
	s_delay_alu instid0(SALU_CYCLE_1) | instskip(NEXT) | instid1(VALU_DEP_2)
	s_and_b32 s2, s3, s2
	v_lshlrev_b32_e32 v1, 2, v1
	ds_bpermute_b32 v4, v1, v18
	ds_bpermute_b32 v5, v1, v19
	v_cndmask_b32_e32 v1, v3, v55, vcc_lo
	v_cmp_lt_i32_e32 vcc_lo, v54, v0
	s_delay_alu instid0(VALU_DEP_2)
	v_lshlrev_b32_e32 v1, 2, v1
	s_wait_dscnt 0x0
	v_pk_add_f32 v[4:5], v[18:19], v[4:5]
	ds_bpermute_b32 v6, v1, v4
	ds_bpermute_b32 v7, v1, v5
	v_cndmask_b32_e32 v1, v3, v54, vcc_lo
	v_cmp_lt_i32_e32 vcc_lo, v53, v0
	s_delay_alu instid0(VALU_DEP_2)
	v_lshlrev_b32_e32 v1, 2, v1
	s_wait_dscnt 0x0
	v_pk_add_f32 v[4:5], v[4:5], v[6:7]
	ds_bpermute_b32 v6, v1, v4
	ds_bpermute_b32 v7, v1, v5
	v_cndmask_b32_e32 v1, v3, v53, vcc_lo
	v_cmp_lt_i32_e32 vcc_lo, v52, v0
	s_delay_alu instid0(VALU_DEP_2) | instskip(SKIP_1) | instid1(VALU_DEP_1)
	v_dual_cndmask_b32 v0, v3, v52 :: v_dual_lshlrev_b32 v1, 2, v1
	s_and_b32 vcc_lo, exec_lo, s2
	v_lshlrev_b32_e32 v3, 2, v0
	s_wait_dscnt 0x0
	v_pk_add_f32 v[4:5], v[4:5], v[6:7]
	ds_bpermute_b32 v6, v1, v4
	ds_bpermute_b32 v7, v1, v5
	s_wait_dscnt 0x0
	v_pk_add_f32 v[0:1], v[4:5], v[6:7]
	ds_bpermute_b32 v2, v3, v0
	ds_bpermute_b32 v3, v3, v1
	s_wait_dscnt 0x0
	v_pk_add_f32 v[0:1], v[0:1], v[2:3]
	s_cbranch_vccz .LBB43_13
; %bb.12:
	s_ashr_i32 s31, s30, 31
	v_dual_mov_b32 v2, 0 :: v_dual_max_num_f32 v4, v38, v38
	s_lshl_b64 s[2:3], s[30:31], 2
	v_max_num_f32_e32 v6, v39, v39
	s_add_nc_u64 s[2:3], s[12:13], s[2:3]
	global_load_b64 v[2:3], v2, s[2:3]
	s_wait_loadcnt 0x0
	v_dual_max_num_f32 v5, v2, v2 :: v_dual_max_num_f32 v7, v3, v3
	s_delay_alu instid0(VALU_DEP_1) | instskip(NEXT) | instid1(VALU_DEP_1)
	v_dual_max_num_f32 v4, v4, v5 :: v_dual_max_num_f32 v5, v6, v7
	v_sub_f32_e32 v6, v38, v4
	s_delay_alu instid0(VALU_DEP_1) | instskip(NEXT) | instid1(VALU_DEP_3)
	v_dual_sub_f32 v7, v2, v4 :: v_dual_mul_f32 v2, 0x3fb8aa3b, v6
	v_sub_f32_e32 v8, v39, v5
	v_sub_f32_e32 v9, v3, v5
	s_delay_alu instid0(VALU_DEP_3)
	v_mul_f32_e32 v3, 0x3fb8aa3b, v7
	v_cmp_ngt_f32_e32 vcc_lo, 0xc2ce8ed0, v6
	v_fma_f32 v12, 0x3fb8aa3b, v6, -v2
	v_rndne_f32_e32 v13, v2
	v_mul_f32_e32 v10, 0x3fb8aa3b, v8
	v_rndne_f32_e32 v15, v3
	v_fma_f32 v14, 0x3fb8aa3b, v7, -v3
	v_fmac_f32_e32 v12, 0x32a5705f, v6
	v_sub_f32_e32 v2, v2, v13
	v_fma_f32 v16, 0x3fb8aa3b, v8, -v10
	v_sub_f32_e32 v3, v3, v15
	v_mul_f32_e32 v11, 0x3fb8aa3b, v9
	v_rndne_f32_e32 v17, v10
	v_add_f32_e32 v2, v2, v12
	v_cvt_i32_f32_e32 v13, v13
	v_fmac_f32_e32 v14, 0x32a5705f, v7
	v_fma_f32 v18, 0x3fb8aa3b, v9, -v11
	v_rndne_f32_e32 v19, v11
	v_exp_f32_e32 v2, v2
	s_delay_alu instid0(VALU_DEP_3) | instskip(NEXT) | instid1(VALU_DEP_2)
	v_dual_fmac_f32 v16, 0x32a5705f, v8 :: v_dual_add_f32 v3, v3, v14
	v_dual_fmac_f32 v18, 0x32a5705f, v9 :: v_dual_sub_f32 v11, v11, v19
	v_sub_f32_e32 v10, v10, v17
	v_cvt_i32_f32_e32 v14, v17
	s_delay_alu instid0(TRANS32_DEP_1) | instskip(SKIP_1) | instid1(VALU_DEP_3)
	v_ldexp_f32 v2, v2, v13
	v_exp_f32_e32 v3, v3
	v_dual_add_f32 v11, v11, v18 :: v_dual_add_f32 v10, v10, v16
	v_cvt_i32_f32_e32 v12, v15
	s_delay_alu instid0(VALU_DEP_3) | instskip(SKIP_1) | instid1(VALU_DEP_4)
	v_cndmask_b32_e32 v2, 0, v2, vcc_lo
	v_cmp_ngt_f32_e32 vcc_lo, 0xc2ce8ed0, v8
	v_exp_f32_e32 v11, v11
	v_exp_f32_e32 v10, v10
	v_cvt_i32_f32_e32 v15, v19
	v_mov_b64_e32 v[38:39], v[4:5]
	s_delay_alu instid0(TRANS32_DEP_1) | instskip(NEXT) | instid1(VALU_DEP_1)
	v_ldexp_f32 v10, v10, v14
	v_cndmask_b32_e32 v10, 0, v10, vcc_lo
	v_cmp_nlt_f32_e32 vcc_lo, 0x42b17218, v6
	v_ldexp_f32 v6, v3, v12
	v_cndmask_b32_e32 v2, 0x7f800000, v2, vcc_lo
	v_cmp_nlt_f32_e32 vcc_lo, 0x42b17218, v8
	v_ldexp_f32 v8, v11, v15
	v_cndmask_b32_e32 v3, 0x7f800000, v10, vcc_lo
	v_cmp_ngt_f32_e32 vcc_lo, 0xc2ce8ed0, v7
	v_cvt_f16_f32_e32 v10, v2
	s_delay_alu instid0(VALU_DEP_3) | instskip(SKIP_2) | instid1(VALU_DEP_4)
	v_cvt_f16_f32_e32 v11, v3
	v_cndmask_b32_e32 v6, 0, v6, vcc_lo
	v_cmp_ngt_f32_e32 vcc_lo, 0xc2ce8ed0, v9
	v_and_b32_e32 v10, 0xffff, v10
	s_delay_alu instid0(VALU_DEP_4)
	v_and_b32_e32 v11, 0xffff, v11
	v_cndmask_b32_e32 v8, 0, v8, vcc_lo
	v_cmp_nlt_f32_e32 vcc_lo, 0x42b17218, v7
	v_cndmask_b32_e32 v6, 0x7f800000, v6, vcc_lo
	v_cmp_nlt_f32_e32 vcc_lo, 0x42b17218, v9
	v_mul_u32_u24_e32 v9, 0x10001, v11
	v_cndmask_b32_e32 v7, 0x7f800000, v8, vcc_lo
	v_mul_u32_u24_e32 v8, 0x10001, v10
	s_delay_alu instid0(VALU_DEP_3) | instskip(SKIP_1) | instid1(VALU_DEP_4)
	v_pk_mul_f16 v72, v72, v9
	v_pk_mul_f16 v73, v73, v9
	v_pk_fma_f32 v[0:1], v[0:1], v[2:3], v[6:7]
	s_delay_alu instid0(VALU_DEP_4)
	v_pk_mul_f16 v74, v74, v8
	v_pk_mul_f16 v75, v75, v8
.LBB43_13:
	s_mov_b32 s2, exec_lo
	v_cmpx_gt_i32_e64 s22, v47
	s_cbranch_execz .LBB43_22
; %bb.14:
	s_load_b32 s0, s[0:1], 0xd4
	v_mov_b32_e32 v2, 1.0
	s_wait_kmcnt 0x0
	s_cmp_lg_u32 s0, 1
	s_cselect_b32 s2, -1, 0
	s_cmp_eq_u32 s0, 1
	s_cselect_b32 s1, -1, 0
	s_and_b32 vcc_lo, exec_lo, s2
	s_cbranch_vccnz .LBB43_16
; %bb.15:
	v_div_scale_f32 v2, null, v0, v0, 1.0
	s_delay_alu instid0(VALU_DEP_1) | instskip(SKIP_1) | instid1(TRANS32_DEP_1)
	v_rcp_f32_e32 v3, v2
	v_nop
	v_fma_f32 v4, -v2, v3, 1.0
	s_delay_alu instid0(VALU_DEP_1) | instskip(SKIP_1) | instid1(VALU_DEP_1)
	v_fmac_f32_e32 v3, v4, v3
	v_div_scale_f32 v4, vcc_lo, 1.0, v0, 1.0
	v_mul_f32_e32 v5, v4, v3
	s_delay_alu instid0(VALU_DEP_1) | instskip(NEXT) | instid1(VALU_DEP_1)
	v_fma_f32 v6, -v2, v5, v4
	v_fmac_f32_e32 v5, v6, v3
	s_delay_alu instid0(VALU_DEP_1) | instskip(NEXT) | instid1(VALU_DEP_1)
	v_fma_f32 v2, -v2, v5, v4
	v_div_fmas_f32 v2, v2, v3, v5
	s_delay_alu instid0(VALU_DEP_1)
	v_div_fixup_f32 v2, v2, v0, 1.0
.LBB43_16:
	v_mad_u32 v3, s28, s22, v47
	v_dual_lshrrev_b32 v5, 16, v74 :: v_dual_mov_b32 v7, 0
	v_lshrrev_b32_e32 v9, 16, v75
	v_cvt_f32_f16_e32 v4, v74
	v_cvt_f32_f16_e32 v8, v75
	s_delay_alu instid0(VALU_DEP_4) | instskip(SKIP_4) | instid1(VALU_DEP_1)
	v_cvt_f32_f16_e32 v5, v5
	v_cmp_eq_u32_e32 vcc_lo, 0, v46
	v_cvt_f32_f16_e32 v9, v9
	v_mad_u32 v3, v3, s23, s30
	s_and_b32 s2, vcc_lo, s2
	v_mad_u32 v3, s0, v3, s33
	s_delay_alu instid0(VALU_DEP_1) | instskip(SKIP_1) | instid1(VALU_DEP_2)
	v_lshl_add_u32 v6, v3, 7, v48
	v_pk_mul_f32 v[4:5], v[2:3], v[4:5] op_sel_hi:[0,1]
	v_lshl_add_u64 v[10:11], v[6:7], 2, s[16:17]
	v_pk_mul_f32 v[6:7], v[2:3], v[8:9] op_sel_hi:[0,1]
	global_store_b128 v[10:11], v[4:7], off
	s_wait_xcnt 0x0
	s_and_saveexec_b32 s3, s2
	s_cbranch_execz .LBB43_18
; %bb.17:
	v_dual_mov_b32 v4, v38 :: v_dual_mov_b32 v5, v0
	global_store_b64 v3, v[4:5], s[18:19] scale_offset
.LBB43_18:
	s_wait_xcnt 0x0
	s_or_b32 exec_lo, exec_lo, s3
	v_mov_b32_e32 v0, 1.0
	s_and_not1_b32 vcc_lo, exec_lo, s1
	s_cbranch_vccnz .LBB43_20
; %bb.19:
	v_div_scale_f32 v0, null, v1, v1, 1.0
	s_delay_alu instid0(VALU_DEP_1) | instskip(SKIP_1) | instid1(TRANS32_DEP_1)
	v_rcp_f32_e32 v2, v0
	v_nop
	v_fma_f32 v4, -v0, v2, 1.0
	s_delay_alu instid0(VALU_DEP_1) | instskip(SKIP_1) | instid1(VALU_DEP_1)
	v_fmac_f32_e32 v2, v4, v2
	v_div_scale_f32 v4, vcc_lo, 1.0, v1, 1.0
	v_mul_f32_e32 v5, v4, v2
	s_delay_alu instid0(VALU_DEP_1) | instskip(NEXT) | instid1(VALU_DEP_1)
	v_fma_f32 v6, -v0, v5, v4
	v_fmac_f32_e32 v5, v6, v2
	s_delay_alu instid0(VALU_DEP_1) | instskip(NEXT) | instid1(VALU_DEP_1)
	v_fma_f32 v0, -v0, v5, v4
	v_div_fmas_f32 v0, v0, v2, v5
	s_delay_alu instid0(VALU_DEP_1)
	v_div_fixup_f32 v0, v0, v1, 1.0
.LBB43_20:
	v_dual_add_nc_u32 v2, s0, v3 :: v_dual_lshrrev_b32 v3, 16, v72
	v_dual_mov_b32 v5, 0 :: v_dual_lshrrev_b32 v9, 16, v73
	v_cvt_f32_f16_e32 v6, v72
	s_delay_alu instid0(VALU_DEP_3) | instskip(NEXT) | instid1(VALU_DEP_4)
	v_lshl_add_u32 v4, v2, 7, v48
	v_cvt_f32_f16_e32 v7, v3
	v_cvt_f32_f16_e32 v8, v73
	;; [unrolled: 1-line block ×3, first 2 shown]
	s_delay_alu instid0(VALU_DEP_4) | instskip(NEXT) | instid1(VALU_DEP_4)
	v_lshl_add_u64 v[10:11], v[4:5], 2, s[16:17]
	v_pk_mul_f32 v[4:5], v[0:1], v[6:7] op_sel_hi:[0,1]
	s_delay_alu instid0(VALU_DEP_3)
	v_pk_mul_f32 v[6:7], v[0:1], v[8:9] op_sel_hi:[0,1]
	global_store_b128 v[10:11], v[4:7], off
	s_wait_xcnt 0x0
	s_and_b32 exec_lo, exec_lo, s2
	s_cbranch_execz .LBB43_22
; %bb.21:
	v_mov_b32_e32 v0, v39
	global_store_b64 v2, v[0:1], s[18:19] scale_offset
.LBB43_22:
	s_sendmsg sendmsg(MSG_DEALLOC_VGPRS)
	s_endpgm
	.section	.rodata,"a",@progbits
	.p2align	6, 0x0
	.amdhsa_kernel _ZL15flash_attn_tileILi128ELi128ELi4ELi2ELb0EEvPKcS1_S1_S1_S1_PKiPfP15HIP_vector_typeIfLj2EEffffjfiS5_IjLj3EEiiiiiiiiiiiliiliiiiil
		.amdhsa_group_segment_fixed_size 12288
		.amdhsa_private_segment_fixed_size 0
		.amdhsa_kernarg_size 464
		.amdhsa_user_sgpr_count 2
		.amdhsa_user_sgpr_dispatch_ptr 0
		.amdhsa_user_sgpr_queue_ptr 0
		.amdhsa_user_sgpr_kernarg_segment_ptr 1
		.amdhsa_user_sgpr_dispatch_id 0
		.amdhsa_user_sgpr_kernarg_preload_length 0
		.amdhsa_user_sgpr_kernarg_preload_offset 0
		.amdhsa_user_sgpr_private_segment_size 0
		.amdhsa_wavefront_size32 1
		.amdhsa_uses_dynamic_stack 0
		.amdhsa_enable_private_segment 0
		.amdhsa_system_sgpr_workgroup_id_x 1
		.amdhsa_system_sgpr_workgroup_id_y 1
		.amdhsa_system_sgpr_workgroup_id_z 1
		.amdhsa_system_sgpr_workgroup_info 0
		.amdhsa_system_vgpr_workitem_id 1
		.amdhsa_next_free_vgpr 110
		.amdhsa_next_free_sgpr 43
		.amdhsa_named_barrier_count 0
		.amdhsa_reserve_vcc 1
		.amdhsa_float_round_mode_32 0
		.amdhsa_float_round_mode_16_64 0
		.amdhsa_float_denorm_mode_32 3
		.amdhsa_float_denorm_mode_16_64 3
		.amdhsa_fp16_overflow 0
		.amdhsa_memory_ordered 1
		.amdhsa_forward_progress 1
		.amdhsa_inst_pref_size 81
		.amdhsa_round_robin_scheduling 0
		.amdhsa_exception_fp_ieee_invalid_op 0
		.amdhsa_exception_fp_denorm_src 0
		.amdhsa_exception_fp_ieee_div_zero 0
		.amdhsa_exception_fp_ieee_overflow 0
		.amdhsa_exception_fp_ieee_underflow 0
		.amdhsa_exception_fp_ieee_inexact 0
		.amdhsa_exception_int_div_zero 0
	.end_amdhsa_kernel
	.section	.text._ZL15flash_attn_tileILi128ELi128ELi4ELi2ELb0EEvPKcS1_S1_S1_S1_PKiPfP15HIP_vector_typeIfLj2EEffffjfiS5_IjLj3EEiiiiiiiiiiiliiliiiiil,"axG",@progbits,_ZL15flash_attn_tileILi128ELi128ELi4ELi2ELb0EEvPKcS1_S1_S1_S1_PKiPfP15HIP_vector_typeIfLj2EEffffjfiS5_IjLj3EEiiiiiiiiiiiliiliiiiil,comdat
.Lfunc_end43:
	.size	_ZL15flash_attn_tileILi128ELi128ELi4ELi2ELb0EEvPKcS1_S1_S1_S1_PKiPfP15HIP_vector_typeIfLj2EEffffjfiS5_IjLj3EEiiiiiiiiiiiliiliiiiil, .Lfunc_end43-_ZL15flash_attn_tileILi128ELi128ELi4ELi2ELb0EEvPKcS1_S1_S1_S1_PKiPfP15HIP_vector_typeIfLj2EEffffjfiS5_IjLj3EEiiiiiiiiiiiliiliiiiil
                                        ; -- End function
	.set _ZL15flash_attn_tileILi128ELi128ELi4ELi2ELb0EEvPKcS1_S1_S1_S1_PKiPfP15HIP_vector_typeIfLj2EEffffjfiS5_IjLj3EEiiiiiiiiiiiliiliiiiil.num_vgpr, 110
	.set _ZL15flash_attn_tileILi128ELi128ELi4ELi2ELb0EEvPKcS1_S1_S1_S1_PKiPfP15HIP_vector_typeIfLj2EEffffjfiS5_IjLj3EEiiiiiiiiiiiliiliiiiil.num_agpr, 0
	.set _ZL15flash_attn_tileILi128ELi128ELi4ELi2ELb0EEvPKcS1_S1_S1_S1_PKiPfP15HIP_vector_typeIfLj2EEffffjfiS5_IjLj3EEiiiiiiiiiiiliiliiiiil.numbered_sgpr, 43
	.set _ZL15flash_attn_tileILi128ELi128ELi4ELi2ELb0EEvPKcS1_S1_S1_S1_PKiPfP15HIP_vector_typeIfLj2EEffffjfiS5_IjLj3EEiiiiiiiiiiiliiliiiiil.num_named_barrier, 0
	.set _ZL15flash_attn_tileILi128ELi128ELi4ELi2ELb0EEvPKcS1_S1_S1_S1_PKiPfP15HIP_vector_typeIfLj2EEffffjfiS5_IjLj3EEiiiiiiiiiiiliiliiiiil.private_seg_size, 0
	.set _ZL15flash_attn_tileILi128ELi128ELi4ELi2ELb0EEvPKcS1_S1_S1_S1_PKiPfP15HIP_vector_typeIfLj2EEffffjfiS5_IjLj3EEiiiiiiiiiiiliiliiiiil.uses_vcc, 1
	.set _ZL15flash_attn_tileILi128ELi128ELi4ELi2ELb0EEvPKcS1_S1_S1_S1_PKiPfP15HIP_vector_typeIfLj2EEffffjfiS5_IjLj3EEiiiiiiiiiiiliiliiiiil.uses_flat_scratch, 0
	.set _ZL15flash_attn_tileILi128ELi128ELi4ELi2ELb0EEvPKcS1_S1_S1_S1_PKiPfP15HIP_vector_typeIfLj2EEffffjfiS5_IjLj3EEiiiiiiiiiiiliiliiiiil.has_dyn_sized_stack, 0
	.set _ZL15flash_attn_tileILi128ELi128ELi4ELi2ELb0EEvPKcS1_S1_S1_S1_PKiPfP15HIP_vector_typeIfLj2EEffffjfiS5_IjLj3EEiiiiiiiiiiiliiliiiiil.has_recursion, 0
	.set _ZL15flash_attn_tileILi128ELi128ELi4ELi2ELb0EEvPKcS1_S1_S1_S1_PKiPfP15HIP_vector_typeIfLj2EEffffjfiS5_IjLj3EEiiiiiiiiiiiliiliiiiil.has_indirect_call, 0
	.section	.AMDGPU.csdata,"",@progbits
; Kernel info:
; codeLenInByte = 10332
; TotalNumSgprs: 45
; NumVgprs: 110
; ScratchSize: 0
; MemoryBound: 0
; FloatMode: 240
; IeeeMode: 1
; LDSByteSize: 12288 bytes/workgroup (compile time only)
; SGPRBlocks: 0
; VGPRBlocks: 6
; NumSGPRsForWavesPerEU: 45
; NumVGPRsForWavesPerEU: 110
; NamedBarCnt: 0
; Occupancy: 9
; WaveLimiterHint : 1
; COMPUTE_PGM_RSRC2:SCRATCH_EN: 0
; COMPUTE_PGM_RSRC2:USER_SGPR: 2
; COMPUTE_PGM_RSRC2:TRAP_HANDLER: 0
; COMPUTE_PGM_RSRC2:TGID_X_EN: 1
; COMPUTE_PGM_RSRC2:TGID_Y_EN: 1
; COMPUTE_PGM_RSRC2:TGID_Z_EN: 1
; COMPUTE_PGM_RSRC2:TIDIG_COMP_CNT: 1
	.section	.text._ZL33flash_attn_stream_k_fixup_uniformILi128ELi4ELi2EEvPfPK15HIP_vector_typeIfLj2EEiiiiiiS1_IjLj3EES5_S5_,"axG",@progbits,_ZL33flash_attn_stream_k_fixup_uniformILi128ELi4ELi2EEvPfPK15HIP_vector_typeIfLj2EEiiiiiiS1_IjLj3EES5_S5_,comdat
	.globl	_ZL33flash_attn_stream_k_fixup_uniformILi128ELi4ELi2EEvPfPK15HIP_vector_typeIfLj2EEiiiiiiS1_IjLj3EES5_S5_ ; -- Begin function _ZL33flash_attn_stream_k_fixup_uniformILi128ELi4ELi2EEvPfPK15HIP_vector_typeIfLj2EEiiiiiiS1_IjLj3EES5_S5_
	.p2align	8
	.type	_ZL33flash_attn_stream_k_fixup_uniformILi128ELi4ELi2EEvPfPK15HIP_vector_typeIfLj2EEiiiiiiS1_IjLj3EES5_S5_,@function
_ZL33flash_attn_stream_k_fixup_uniformILi128ELi4ELi2EEvPfPK15HIP_vector_typeIfLj2EEiiiiiiS1_IjLj3EES5_S5_: ; @_ZL33flash_attn_stream_k_fixup_uniformILi128ELi4ELi2EEvPfPK15HIP_vector_typeIfLj2EEiiiiiiS1_IjLj3EES5_S5_
; %bb.0:
	s_load_b256 s[4:11], s[0:1], 0x1c
	s_bfe_u32 s2, ttmp6, 0x40014
	s_lshr_b32 s3, ttmp7, 16
	s_add_co_i32 s2, s2, 1
	s_bfe_u32 s13, ttmp6, 0x40010
	s_mul_i32 s2, s3, s2
	s_bfe_u32 s12, ttmp6, 0x40008
	s_and_b32 s15, ttmp7, 0xffff
	s_add_co_i32 s13, s13, 1
	s_bfe_u32 s14, ttmp6, 0x4000c
	s_add_co_i32 s12, s12, s2
	s_mul_i32 s2, s15, s13
	s_bfe_u32 s13, ttmp6, 0x40004
	s_add_co_i32 s14, s14, 1
	s_add_co_i32 s13, s13, s2
	s_and_b32 s2, ttmp6, 15
	s_mul_i32 s14, ttmp9, s14
	s_getreg_b32 s20, hwreg(HW_REG_IB_STS2, 6, 4)
	s_add_co_i32 s2, s2, s14
	s_load_b128 s[16:19], s[0:1], 0x3c
	s_cmp_eq_u32 s20, 0
	s_cselect_b32 s14, ttmp9, s2
	s_cselect_b32 s13, s15, s13
	s_wait_kmcnt 0x0
	s_mul_hi_u32 s2, s7, s14
	s_cselect_b32 s12, s3, s12
	s_add_co_i32 s2, s14, s2
	s_delay_alu instid0(SALU_CYCLE_1) | instskip(NEXT) | instid1(SALU_CYCLE_1)
	s_lshr_b32 s7, s2, s8
	s_mul_i32 s2, s7, s9
	s_delay_alu instid0(SALU_CYCLE_1) | instskip(NEXT) | instid1(SALU_CYCLE_1)
	s_sub_co_i32 s8, s14, s2
	s_mul_hi_u32 s2, s8, s10
	s_delay_alu instid0(SALU_CYCLE_1) | instskip(SKIP_2) | instid1(SALU_CYCLE_1)
	s_add_co_i32 s9, s8, s2
	s_load_b64 s[2:3], s[0:1], 0x10
	s_lshr_b32 s15, s9, s11
	s_mul_i32 s9, s15, s16
	s_delay_alu instid0(SALU_CYCLE_1) | instskip(NEXT) | instid1(SALU_CYCLE_1)
	s_sub_co_i32 s8, s8, s9
	s_mul_hi_u32 s9, s8, s17
	s_delay_alu instid0(SALU_CYCLE_1) | instskip(NEXT) | instid1(SALU_CYCLE_1)
	s_add_co_i32 s9, s8, s9
	s_lshr_b32 s9, s9, s18
	s_delay_alu instid0(SALU_CYCLE_1) | instskip(SKIP_2) | instid1(SALU_CYCLE_1)
	s_mul_i32 s10, s9, s19
	s_lshl_b32 s17, s9, 1
	s_sub_co_i32 s16, s8, s10
	s_lshl_b32 s8, s16, 2
	s_delay_alu instid0(SALU_CYCLE_1) | instskip(SKIP_4) | instid1(SALU_CYCLE_1)
	s_add_co_i32 s8, s8, s13
	s_wait_kmcnt 0x0
	s_cmp_lt_i32 s8, s2
	s_cselect_b32 s8, -1, 0
	s_add_co_i32 s9, s17, s12
	s_cmp_lt_i32 s9, s5
	s_cselect_b32 s9, -1, 0
	s_delay_alu instid0(SALU_CYCLE_1) | instskip(NEXT) | instid1(SALU_CYCLE_1)
	s_and_b32 s8, s8, s9
	s_and_not1_b32 vcc_lo, exec_lo, s8
	s_cbranch_vccnz .LBB44_6
; %bb.1:
	s_mul_i32 s2, s7, s2
	s_load_b128 s[8:11], s[0:1], 0x0
	s_wait_xcnt 0x0
	s_add_co_i32 s0, s2, s13
	s_mul_i32 s15, s15, s5
	s_mul_i32 s0, s0, s3
	;; [unrolled: 1-line block ×3, first 2 shown]
	s_add_co_i32 s0, s0, s12
	s_lshl_b32 s1, s1, 9
	s_add_co_i32 s0, s0, s15
	s_mul_i32 s7, s6, s14
	s_add_co_i32 s0, s0, s17
	s_lshl_b32 s5, s13, 1
	s_lshl_b32 s0, s0, 7
	s_add_co_i32 s15, s7, s6
	s_add_co_i32 s1, s1, s0
	;; [unrolled: 1-line block ×3, first 2 shown]
	v_or_b32_e32 v4, s1, v0
	s_lshl_b32 s1, s15, 3
	s_add_co_i32 s2, s15, -2
	s_add_co_i32 s0, s0, s1
	s_delay_alu instid0(SALU_CYCLE_1)
	s_add_co_i32 s0, s0, -8
	s_wait_kmcnt 0x0
	global_load_b32 v3, v4, s[8:9] scale_offset
	s_ashr_i32 s1, s0, 31
	v_ashrrev_i32_e32 v5, 31, v4
	s_lshl_b64 s[0:1], s[0:1], 3
	s_cmp_lt_i32 s2, s7
	s_add_nc_u64 s[0:1], s[10:11], s[0:1]
	s_load_b32 s16, s[0:1], 0x4
	s_cbranch_scc1 .LBB44_4
; %bb.2:
	s_wait_xcnt 0x0
	s_load_b32 s0, s[0:1], 0x0
	s_add_co_i32 s14, s14, 1
	s_lshl_b32 s3, s13, 8
	s_wait_xcnt 0x0
	s_mul_i32 s1, s6, s14
	s_lshl_b32 s6, s12, 7
	s_lshl_b32 s13, s1, 10
	s_add_co_i32 s6, s6, s3
	s_lshl_b32 s1, s1, 3
	s_add_co_i32 s6, s6, s13
	s_lshl_b32 s2, s4, 5
	s_wait_kmcnt 0x0
	v_dual_mov_b32 v2, s16 :: v_dual_bitop2_b32 v0, s6, v0 bitop3:0x54
	s_add_co_i32 s1, s12, s1
	s_lshl_b32 s4, s4, 3
	s_ashr_i32 s3, s2, 31
	s_add_co_i32 s1, s1, s4
	v_add_nc_u32_e32 v0, 0xfffff800, v0
	s_lshl_b64 s[2:3], s[2:3], 2
	s_add_co_i32 s4, s1, s5
	s_add_nc_u64 s[2:3], s[10:11], s[2:3]
	s_add_co_i32 s1, s15, -1
	s_add_co_i32 s4, s4, -16
.LBB44_3:                               ; =>This Inner Loop Header: Depth=1
	global_load_b32 v7, v0, s[2:3] scale_offset
	s_ashr_i32 s5, s4, 31
	v_max_num_f32_e64 v1, s0, s0
	s_lshl_b64 s[12:13], s[4:5], 3
	s_delay_alu instid0(SALU_CYCLE_1) | instskip(SKIP_1) | instid1(VALU_DEP_1)
	s_add_nc_u64 s[12:13], s[10:11], s[12:13]
	s_load_b64 s[12:13], s[12:13], 0x0
	v_readfirstlane_b32 s5, v1
	v_add_nc_u32_e32 v0, 0xfffffc00, v0
	s_wait_kmcnt 0x0
	v_max_num_f32_e64 v1, s12, s12
	s_delay_alu instid0(VALU_DEP_1) | instskip(SKIP_1) | instid1(SALU_CYCLE_3)
	v_readfirstlane_b32 s6, v1
	s_max_num_f32 s5, s5, s6
	s_sub_f32 s0, s0, s5
	s_sub_f32 s6, s12, s5
	s_delay_alu instid0(SALU_CYCLE_2) | instskip(NEXT) | instid1(SALU_CYCLE_2)
	s_mul_f32 s12, s0, 0x3fb8aa3b
	s_mul_f32 s14, s6, 0x3fb8aa3b
	s_delay_alu instid0(SALU_CYCLE_2)
	s_xor_b32 s15, s12, 0x80000000
	s_rndne_f32 s16, s12
	s_fmamk_f32 s15, s0, 0x3fb8aa3b, s15
	s_cmp_nlt_f32 s0, 0xc2ce8ed0
	s_rndne_f32 s17, s14
	s_sub_f32 s12, s12, s16
	s_fmamk_f32 s15, s0, 0x32a5705f, s15
	s_cselect_b32 vcc_lo, -1, 0
	s_cmp_ngt_f32 s0, 0x42b17218
	s_delay_alu instid0(SALU_CYCLE_1) | instskip(SKIP_2) | instid1(SALU_CYCLE_1)
	s_add_f32 s12, s12, s15
	s_cvt_i32_f32 s15, s16
	s_sub_f32 s16, s14, s17
	v_s_exp_f32 s12, s12
	v_nop
	s_delay_alu instid0(TRANS32_DEP_1) | instskip(SKIP_1) | instid1(VALU_DEP_1)
	v_ldexp_f32 v1, s12, s15
	s_cvt_i32_f32 s12, s17
	v_cndmask_b32_e32 v1, 0, v1, vcc_lo
	s_cselect_b32 vcc_lo, -1, 0
	s_cmp_ge_f32 s0, 0xc1a00000
	s_delay_alu instid0(VALU_DEP_1)
	v_cndmask_b32_e32 v1, 0x7f800000, v1, vcc_lo
	s_cselect_b32 vcc_lo, -1, 0
	s_xor_b32 s0, s14, 0x80000000
	s_cmp_nlt_f32 s6, 0xc2ce8ed0
	s_fmamk_f32 s0, s6, 0x3fb8aa3b, s0
	v_cndmask_b32_e32 v10, 0, v1, vcc_lo
	s_delay_alu instid0(SALU_CYCLE_2) | instskip(NEXT) | instid1(SALU_CYCLE_3)
	s_fmamk_f32 s0, s6, 0x32a5705f, s0
	s_add_f32 s0, s16, s0
	s_delay_alu instid0(SALU_CYCLE_3) | instskip(SKIP_1) | instid1(TRANS32_DEP_1)
	v_s_exp_f32 s0, s0
	v_nop
	v_ldexp_f32 v6, s0, s12
	s_cselect_b32 s0, -1, 0
	s_cmp_ngt_f32 s6, 0x42b17218
	s_delay_alu instid0(VALU_DEP_1) | instskip(SKIP_2) | instid1(VALU_DEP_1)
	v_cndmask_b32_e64 v6, 0, v6, s0
	s_cselect_b32 s0, -1, 0
	s_cmp_ge_f32 s6, 0xc1a00000
	v_cndmask_b32_e64 v8, 0x7f800000, v6, s0
	s_cselect_b32 s0, -1, 0
	v_mov_b32_e32 v6, s13
	s_add_co_i32 s1, s1, -1
	s_add_co_i32 s4, s4, -8
	v_cndmask_b32_e64 v8, 0, v8, s0
	s_cmp_le_i32 s1, s7
	s_mov_b32 s0, s5
	s_wait_loadcnt 0x0
	s_delay_alu instid0(VALU_DEP_1) | instskip(NEXT) | instid1(VALU_DEP_1)
	v_pk_mul_f32 v[6:7], v[6:7], v[8:9] op_sel_hi:[1,0]
	v_pk_fma_f32 v[2:3], v[2:3], v[10:11], v[6:7] op_sel_hi:[1,0,1]
	s_cbranch_scc0 .LBB44_3
	s_branch .LBB44_5
.LBB44_4:
	s_wait_kmcnt 0x0
	v_mov_b32_e32 v2, s16
.LBB44_5:
	v_lshl_add_u64 v[0:1], v[4:5], 2, s[8:9]
	s_wait_loadcnt 0x0
	s_delay_alu instid0(VALU_DEP_2) | instskip(NEXT) | instid1(VALU_DEP_1)
	v_div_scale_f32 v4, null, v2, v2, v3
	v_rcp_f32_e32 v5, v4
	v_nop
	s_delay_alu instid0(TRANS32_DEP_1) | instskip(NEXT) | instid1(VALU_DEP_1)
	v_fma_f32 v6, -v4, v5, 1.0
	v_fmac_f32_e32 v5, v6, v5
	v_div_scale_f32 v6, vcc_lo, v3, v2, v3
	s_delay_alu instid0(VALU_DEP_1) | instskip(NEXT) | instid1(VALU_DEP_1)
	v_mul_f32_e32 v7, v6, v5
	v_fma_f32 v8, -v4, v7, v6
	s_delay_alu instid0(VALU_DEP_1) | instskip(NEXT) | instid1(VALU_DEP_1)
	v_fmac_f32_e32 v7, v8, v5
	v_fma_f32 v4, -v4, v7, v6
	s_delay_alu instid0(VALU_DEP_1) | instskip(NEXT) | instid1(VALU_DEP_1)
	v_div_fmas_f32 v4, v4, v5, v7
	v_div_fixup_f32 v2, v4, v2, v3
	global_store_b32 v[0:1], v2, off
.LBB44_6:
	s_endpgm
	.section	.rodata,"a",@progbits
	.p2align	6, 0x0
	.amdhsa_kernel _ZL33flash_attn_stream_k_fixup_uniformILi128ELi4ELi2EEvPfPK15HIP_vector_typeIfLj2EEiiiiiiS1_IjLj3EES5_S5_
		.amdhsa_group_segment_fixed_size 0
		.amdhsa_private_segment_fixed_size 0
		.amdhsa_kernarg_size 76
		.amdhsa_user_sgpr_count 2
		.amdhsa_user_sgpr_dispatch_ptr 0
		.amdhsa_user_sgpr_queue_ptr 0
		.amdhsa_user_sgpr_kernarg_segment_ptr 1
		.amdhsa_user_sgpr_dispatch_id 0
		.amdhsa_user_sgpr_kernarg_preload_length 0
		.amdhsa_user_sgpr_kernarg_preload_offset 0
		.amdhsa_user_sgpr_private_segment_size 0
		.amdhsa_wavefront_size32 1
		.amdhsa_uses_dynamic_stack 0
		.amdhsa_enable_private_segment 0
		.amdhsa_system_sgpr_workgroup_id_x 1
		.amdhsa_system_sgpr_workgroup_id_y 1
		.amdhsa_system_sgpr_workgroup_id_z 1
		.amdhsa_system_sgpr_workgroup_info 0
		.amdhsa_system_vgpr_workitem_id 0
		.amdhsa_next_free_vgpr 12
		.amdhsa_next_free_sgpr 21
		.amdhsa_named_barrier_count 0
		.amdhsa_reserve_vcc 1
		.amdhsa_float_round_mode_32 0
		.amdhsa_float_round_mode_16_64 0
		.amdhsa_float_denorm_mode_32 3
		.amdhsa_float_denorm_mode_16_64 3
		.amdhsa_fp16_overflow 0
		.amdhsa_memory_ordered 1
		.amdhsa_forward_progress 1
		.amdhsa_inst_pref_size 9
		.amdhsa_round_robin_scheduling 0
		.amdhsa_exception_fp_ieee_invalid_op 0
		.amdhsa_exception_fp_denorm_src 0
		.amdhsa_exception_fp_ieee_div_zero 0
		.amdhsa_exception_fp_ieee_overflow 0
		.amdhsa_exception_fp_ieee_underflow 0
		.amdhsa_exception_fp_ieee_inexact 0
		.amdhsa_exception_int_div_zero 0
	.end_amdhsa_kernel
	.section	.text._ZL33flash_attn_stream_k_fixup_uniformILi128ELi4ELi2EEvPfPK15HIP_vector_typeIfLj2EEiiiiiiS1_IjLj3EES5_S5_,"axG",@progbits,_ZL33flash_attn_stream_k_fixup_uniformILi128ELi4ELi2EEvPfPK15HIP_vector_typeIfLj2EEiiiiiiS1_IjLj3EES5_S5_,comdat
.Lfunc_end44:
	.size	_ZL33flash_attn_stream_k_fixup_uniformILi128ELi4ELi2EEvPfPK15HIP_vector_typeIfLj2EEiiiiiiS1_IjLj3EES5_S5_, .Lfunc_end44-_ZL33flash_attn_stream_k_fixup_uniformILi128ELi4ELi2EEvPfPK15HIP_vector_typeIfLj2EEiiiiiiS1_IjLj3EES5_S5_
                                        ; -- End function
	.set _ZL33flash_attn_stream_k_fixup_uniformILi128ELi4ELi2EEvPfPK15HIP_vector_typeIfLj2EEiiiiiiS1_IjLj3EES5_S5_.num_vgpr, 12
	.set _ZL33flash_attn_stream_k_fixup_uniformILi128ELi4ELi2EEvPfPK15HIP_vector_typeIfLj2EEiiiiiiS1_IjLj3EES5_S5_.num_agpr, 0
	.set _ZL33flash_attn_stream_k_fixup_uniformILi128ELi4ELi2EEvPfPK15HIP_vector_typeIfLj2EEiiiiiiS1_IjLj3EES5_S5_.numbered_sgpr, 21
	.set _ZL33flash_attn_stream_k_fixup_uniformILi128ELi4ELi2EEvPfPK15HIP_vector_typeIfLj2EEiiiiiiS1_IjLj3EES5_S5_.num_named_barrier, 0
	.set _ZL33flash_attn_stream_k_fixup_uniformILi128ELi4ELi2EEvPfPK15HIP_vector_typeIfLj2EEiiiiiiS1_IjLj3EES5_S5_.private_seg_size, 0
	.set _ZL33flash_attn_stream_k_fixup_uniformILi128ELi4ELi2EEvPfPK15HIP_vector_typeIfLj2EEiiiiiiS1_IjLj3EES5_S5_.uses_vcc, 1
	.set _ZL33flash_attn_stream_k_fixup_uniformILi128ELi4ELi2EEvPfPK15HIP_vector_typeIfLj2EEiiiiiiS1_IjLj3EES5_S5_.uses_flat_scratch, 0
	.set _ZL33flash_attn_stream_k_fixup_uniformILi128ELi4ELi2EEvPfPK15HIP_vector_typeIfLj2EEiiiiiiS1_IjLj3EES5_S5_.has_dyn_sized_stack, 0
	.set _ZL33flash_attn_stream_k_fixup_uniformILi128ELi4ELi2EEvPfPK15HIP_vector_typeIfLj2EEiiiiiiS1_IjLj3EES5_S5_.has_recursion, 0
	.set _ZL33flash_attn_stream_k_fixup_uniformILi128ELi4ELi2EEvPfPK15HIP_vector_typeIfLj2EEiiiiiiS1_IjLj3EES5_S5_.has_indirect_call, 0
	.section	.AMDGPU.csdata,"",@progbits
; Kernel info:
; codeLenInByte = 1092
; TotalNumSgprs: 23
; NumVgprs: 12
; ScratchSize: 0
; MemoryBound: 0
; FloatMode: 240
; IeeeMode: 1
; LDSByteSize: 0 bytes/workgroup (compile time only)
; SGPRBlocks: 0
; VGPRBlocks: 0
; NumSGPRsForWavesPerEU: 23
; NumVGPRsForWavesPerEU: 12
; NamedBarCnt: 0
; Occupancy: 16
; WaveLimiterHint : 0
; COMPUTE_PGM_RSRC2:SCRATCH_EN: 0
; COMPUTE_PGM_RSRC2:USER_SGPR: 2
; COMPUTE_PGM_RSRC2:TRAP_HANDLER: 0
; COMPUTE_PGM_RSRC2:TGID_X_EN: 1
; COMPUTE_PGM_RSRC2:TGID_Y_EN: 1
; COMPUTE_PGM_RSRC2:TGID_Z_EN: 1
; COMPUTE_PGM_RSRC2:TIDIG_COMP_CNT: 0
	.section	.text._ZL33flash_attn_stream_k_fixup_generalILi128ELi4ELi2EEvPfPK15HIP_vector_typeIfLj2EEiiiiS1_IjLj3EES5_S5_S5_,"axG",@progbits,_ZL33flash_attn_stream_k_fixup_generalILi128ELi4ELi2EEvPfPK15HIP_vector_typeIfLj2EEiiiiS1_IjLj3EES5_S5_S5_,comdat
	.globl	_ZL33flash_attn_stream_k_fixup_generalILi128ELi4ELi2EEvPfPK15HIP_vector_typeIfLj2EEiiiiS1_IjLj3EES5_S5_S5_ ; -- Begin function _ZL33flash_attn_stream_k_fixup_generalILi128ELi4ELi2EEvPfPK15HIP_vector_typeIfLj2EEiiiiS1_IjLj3EES5_S5_S5_
	.p2align	8
	.type	_ZL33flash_attn_stream_k_fixup_generalILi128ELi4ELi2EEvPfPK15HIP_vector_typeIfLj2EEiiiiS1_IjLj3EES5_S5_S5_,@function
_ZL33flash_attn_stream_k_fixup_generalILi128ELi4ELi2EEvPfPK15HIP_vector_typeIfLj2EEiiiiS1_IjLj3EES5_S5_S5_: ; @_ZL33flash_attn_stream_k_fixup_generalILi128ELi4ELi2EEvPfPK15HIP_vector_typeIfLj2EEiiiiS1_IjLj3EES5_S5_S5_
; %bb.0:
	s_clause 0x1
	s_load_b128 s[4:7], s[0:1], 0x10
	s_load_b32 s16, s[0:1], 0x50
	s_bfe_u32 s2, ttmp6, 0x4000c
	s_and_b32 s3, ttmp6, 15
	s_add_co_i32 s2, s2, 1
	s_getreg_b32 s15, hwreg(HW_REG_IB_STS2, 6, 4)
	s_mul_i32 s2, ttmp9, s2
	s_mov_b32 s17, 0
	s_add_co_i32 s3, s3, s2
	s_cmp_eq_u32 s15, 0
	s_cselect_b32 s2, ttmp9, s3
	s_delay_alu instid0(SALU_CYCLE_1) | instskip(SKIP_3) | instid1(SALU_CYCLE_1)
	s_ashr_i32 s3, s2, 31
	s_wait_kmcnt 0x0
	s_ashr_i32 s19, s7, 31
	s_mov_b32 s18, s7
	s_mul_u64 s[8:9], s[18:19], s[2:3]
	s_delay_alu instid0(SALU_CYCLE_1) | instskip(NEXT) | instid1(SALU_CYCLE_1)
	s_and_b64 s[10:11], s[8:9], 0xffffffff00000000
	s_cmp_lg_u64 s[10:11], 0
	s_cbranch_scc0 .LBB45_21
; %bb.1:
	s_add_nc_u64 s[10:11], s[16:17], 0
	s_mov_b32 s23, s17
	s_xor_b64 s[10:11], s[10:11], 0
	s_mov_b32 s27, s17
	s_cvt_f32_u32 s3, s10
	s_cvt_f32_u32 s7, s11
	s_sub_nc_u64 s[20:21], 0, s[10:11]
	s_delay_alu instid0(SALU_CYCLE_2) | instskip(NEXT) | instid1(SALU_CYCLE_3)
	s_fmamk_f32 s3, s7, 0x4f800000, s3
	v_s_rcp_f32 s3, s3
	s_delay_alu instid0(TRANS32_DEP_1) | instskip(NEXT) | instid1(SALU_CYCLE_3)
	s_mul_f32 s3, s3, 0x5f7ffffc
	s_mul_f32 s7, s3, 0x2f800000
	s_delay_alu instid0(SALU_CYCLE_3) | instskip(NEXT) | instid1(SALU_CYCLE_3)
	s_trunc_f32 s7, s7
	s_fmamk_f32 s3, s7, 0xcf800000, s3
	s_cvt_u32_f32 s13, s7
	s_delay_alu instid0(SALU_CYCLE_2) | instskip(NEXT) | instid1(SALU_CYCLE_3)
	s_cvt_u32_f32 s12, s3
	s_mul_u64 s[24:25], s[20:21], s[12:13]
	s_delay_alu instid0(SALU_CYCLE_1)
	s_mul_hi_u32 s29, s12, s25
	s_mul_i32 s28, s12, s25
	s_mul_hi_u32 s22, s12, s24
	s_mul_i32 s7, s13, s24
	s_add_nc_u64 s[22:23], s[22:23], s[28:29]
	s_mul_hi_u32 s3, s13, s24
	s_mul_hi_u32 s14, s13, s25
	s_add_co_u32 s7, s22, s7
	s_add_co_ci_u32 s26, s23, s3
	s_mul_i32 s24, s13, s25
	s_add_co_ci_u32 s25, s14, 0
	s_delay_alu instid0(SALU_CYCLE_1) | instskip(SKIP_3) | instid1(SALU_CYCLE_1)
	s_add_nc_u64 s[22:23], s[26:27], s[24:25]
	s_mov_b32 s25, s17
	s_add_co_u32 s12, s12, s22
	s_cselect_b32 s3, -1, 0
	s_cmp_lg_u32 s3, 0
	s_add_co_ci_u32 s13, s13, s23
	s_mov_b32 s23, s17
	s_mul_u64 s[20:21], s[20:21], s[12:13]
	s_delay_alu instid0(SALU_CYCLE_1)
	s_mul_hi_u32 s27, s12, s21
	s_mul_i32 s26, s12, s21
	s_mul_hi_u32 s22, s12, s20
	s_mul_i32 s7, s13, s20
	s_add_nc_u64 s[22:23], s[22:23], s[26:27]
	s_mul_hi_u32 s3, s13, s20
	s_mul_hi_u32 s14, s13, s21
	s_add_co_u32 s7, s22, s7
	s_add_co_ci_u32 s24, s23, s3
	s_mul_i32 s20, s13, s21
	s_add_co_ci_u32 s21, s14, 0
	s_mov_b32 s23, s17
	s_add_nc_u64 s[20:21], s[24:25], s[20:21]
	s_delay_alu instid0(SALU_CYCLE_1) | instskip(SKIP_1) | instid1(SALU_CYCLE_1)
	s_add_co_u32 s3, s12, s20
	s_cselect_b32 s7, -1, 0
	s_cmp_lg_u32 s7, 0
	s_add_co_ci_u32 s7, s13, s21
	s_ashr_i32 s12, s9, 31
	s_delay_alu instid0(SALU_CYCLE_1) | instskip(NEXT) | instid1(SALU_CYCLE_1)
	s_mov_b32 s13, s12
	s_add_nc_u64 s[20:21], s[8:9], s[12:13]
	s_delay_alu instid0(SALU_CYCLE_1) | instskip(NEXT) | instid1(SALU_CYCLE_1)
	s_xor_b64 s[20:21], s[20:21], s[12:13]
	s_mul_hi_u32 s27, s20, s7
	s_mul_i32 s26, s20, s7
	s_mul_hi_u32 s22, s20, s3
	s_mul_hi_u32 s14, s21, s3
	s_mul_i32 s3, s21, s3
	s_add_nc_u64 s[22:23], s[22:23], s[26:27]
	s_mul_hi_u32 s9, s21, s7
	s_add_co_u32 s3, s22, s3
	s_add_co_ci_u32 s24, s23, s14
	s_mul_i32 s26, s21, s7
	s_add_co_ci_u32 s27, s9, 0
	s_delay_alu instid0(SALU_CYCLE_1) | instskip(NEXT) | instid1(SALU_CYCLE_1)
	s_add_nc_u64 s[22:23], s[24:25], s[26:27]
	s_and_b64 s[24:25], s[22:23], 0xffffffff00000000
	s_delay_alu instid0(SALU_CYCLE_1) | instskip(NEXT) | instid1(SALU_CYCLE_1)
	s_or_b32 s24, s24, s22
	s_mul_u64 s[22:23], s[10:11], s[24:25]
	s_add_nc_u64 s[26:27], s[24:25], 1
	s_sub_co_u32 s3, s20, s22
	s_cselect_b32 s7, -1, 0
	s_sub_co_i32 s9, s21, s23
	s_cmp_lg_u32 s7, 0
	s_add_nc_u64 s[28:29], s[24:25], 2
	s_sub_co_ci_u32 s9, s9, s11
	s_sub_co_u32 s14, s3, s10
	s_cselect_b32 s20, -1, 0
	s_delay_alu instid0(SALU_CYCLE_1) | instskip(SKIP_1) | instid1(SALU_CYCLE_1)
	s_cmp_lg_u32 s20, 0
	s_sub_co_ci_u32 s9, s9, 0
	s_cmp_ge_u32 s9, s11
	s_cselect_b32 s20, -1, 0
	s_cmp_ge_u32 s14, s10
	s_cselect_b32 s14, -1, 0
	s_cmp_eq_u32 s9, s11
	s_cselect_b32 s9, s14, s20
	s_delay_alu instid0(SALU_CYCLE_1) | instskip(SKIP_4) | instid1(SALU_CYCLE_1)
	s_cmp_lg_u32 s9, 0
	s_cselect_b32 s9, s28, s26
	s_cselect_b32 s14, s29, s27
	s_cmp_lg_u32 s7, 0
	s_sub_co_ci_u32 s7, s21, s23
	s_cmp_ge_u32 s7, s11
	s_cselect_b32 s20, -1, 0
	s_cmp_ge_u32 s3, s10
	s_cselect_b32 s3, -1, 0
	s_cmp_eq_u32 s7, s11
	s_cselect_b32 s3, s3, s20
	s_delay_alu instid0(SALU_CYCLE_1) | instskip(SKIP_4) | instid1(SALU_CYCLE_1)
	s_cmp_lg_u32 s3, 0
	s_mov_b32 s3, s17
	s_cselect_b32 s11, s14, s25
	s_cselect_b32 s10, s9, s24
	s_xor_b64 s[12:13], s[12:13], 0
	s_xor_b64 s[10:11], s[10:11], s[12:13]
	s_delay_alu instid0(SALU_CYCLE_1)
	s_sub_nc_u64 s[20:21], s[10:11], s[12:13]
	s_and_not1_b32 vcc_lo, exec_lo, s3
	s_cbranch_vccnz .LBB45_3
.LBB45_2:
	v_cvt_f32_u32_e32 v1, s16
	s_sub_co_i32 s7, 0, s16
	s_mov_b32 s21, 0
	s_delay_alu instid0(VALU_DEP_1) | instskip(SKIP_1) | instid1(TRANS32_DEP_1)
	v_rcp_iflag_f32_e32 v1, v1
	v_nop
	v_mul_f32_e32 v1, 0x4f7ffffe, v1
	s_delay_alu instid0(VALU_DEP_1) | instskip(NEXT) | instid1(VALU_DEP_1)
	v_cvt_u32_f32_e32 v1, v1
	v_readfirstlane_b32 s3, v1
	s_mul_i32 s7, s7, s3
	s_delay_alu instid0(SALU_CYCLE_1) | instskip(NEXT) | instid1(SALU_CYCLE_1)
	s_mul_hi_u32 s7, s3, s7
	s_add_co_i32 s3, s3, s7
	s_delay_alu instid0(SALU_CYCLE_1) | instskip(NEXT) | instid1(SALU_CYCLE_1)
	s_mul_hi_u32 s3, s8, s3
	s_mul_i32 s7, s3, s16
	s_delay_alu instid0(SALU_CYCLE_1)
	s_sub_co_i32 s7, s8, s7
	s_add_co_i32 s8, s3, 1
	s_sub_co_i32 s9, s7, s16
	s_cmp_ge_u32 s7, s16
	s_cselect_b32 s3, s8, s3
	s_cselect_b32 s7, s9, s7
	s_add_co_i32 s8, s3, 1
	s_cmp_ge_u32 s7, s16
	s_cselect_b32 s20, s8, s3
.LBB45_3:
	s_add_co_i32 s8, s2, 1
	s_delay_alu instid0(SALU_CYCLE_1) | instskip(NEXT) | instid1(SALU_CYCLE_1)
	s_ashr_i32 s9, s8, 31
	s_mul_u64 s[8:9], s[18:19], s[8:9]
	s_delay_alu instid0(SALU_CYCLE_1) | instskip(NEXT) | instid1(SALU_CYCLE_1)
	s_and_b64 s[10:11], s[8:9], 0xffffffff00000000
	s_cmp_lg_u64 s[10:11], 0
	s_cbranch_scc0 .LBB45_22
; %bb.4:
	s_add_nc_u64 s[10:11], s[16:17], 0
	s_delay_alu instid0(SALU_CYCLE_1) | instskip(SKIP_4) | instid1(SALU_CYCLE_2)
	s_xor_b64 s[12:13], s[10:11], 0
	s_mov_b32 s11, 0
	s_cvt_f32_u32 s3, s12
	s_cvt_f32_u32 s7, s13
	s_sub_nc_u64 s[24:25], 0, s[12:13]
	s_fmamk_f32 s3, s7, 0x4f800000, s3
	s_delay_alu instid0(SALU_CYCLE_3) | instskip(NEXT) | instid1(TRANS32_DEP_1)
	v_s_rcp_f32 s3, s3
	s_mul_f32 s3, s3, 0x5f7ffffc
	s_delay_alu instid0(SALU_CYCLE_3) | instskip(NEXT) | instid1(SALU_CYCLE_3)
	s_mul_f32 s7, s3, 0x2f800000
	s_trunc_f32 s7, s7
	s_delay_alu instid0(SALU_CYCLE_3) | instskip(SKIP_1) | instid1(SALU_CYCLE_2)
	s_fmamk_f32 s3, s7, 0xcf800000, s3
	s_cvt_u32_f32 s23, s7
	s_cvt_u32_f32 s22, s3
	s_delay_alu instid0(SALU_CYCLE_3) | instskip(NEXT) | instid1(SALU_CYCLE_1)
	s_mul_u64 s[26:27], s[24:25], s[22:23]
	s_mul_hi_u32 s29, s22, s27
	s_mul_i32 s28, s22, s27
	s_mul_hi_u32 s10, s22, s26
	s_mul_i32 s7, s23, s26
	s_add_nc_u64 s[28:29], s[10:11], s[28:29]
	s_mul_hi_u32 s3, s23, s26
	s_mul_hi_u32 s14, s23, s27
	s_add_co_u32 s7, s28, s7
	s_add_co_ci_u32 s10, s29, s3
	s_mul_i32 s26, s23, s27
	s_add_co_ci_u32 s27, s14, 0
	s_delay_alu instid0(SALU_CYCLE_1) | instskip(NEXT) | instid1(SALU_CYCLE_1)
	s_add_nc_u64 s[26:27], s[10:11], s[26:27]
	s_add_co_u32 s22, s22, s26
	s_cselect_b32 s3, -1, 0
	s_delay_alu instid0(SALU_CYCLE_1) | instskip(SKIP_1) | instid1(SALU_CYCLE_1)
	s_cmp_lg_u32 s3, 0
	s_add_co_ci_u32 s23, s23, s27
	s_mul_u64 s[24:25], s[24:25], s[22:23]
	s_delay_alu instid0(SALU_CYCLE_1)
	s_mul_hi_u32 s27, s22, s25
	s_mul_i32 s26, s22, s25
	s_mul_hi_u32 s10, s22, s24
	s_mul_i32 s7, s23, s24
	s_add_nc_u64 s[26:27], s[10:11], s[26:27]
	s_mul_hi_u32 s3, s23, s24
	s_mul_hi_u32 s14, s23, s25
	s_add_co_u32 s7, s26, s7
	s_add_co_ci_u32 s10, s27, s3
	s_mul_i32 s24, s23, s25
	s_add_co_ci_u32 s25, s14, 0
	s_delay_alu instid0(SALU_CYCLE_1) | instskip(NEXT) | instid1(SALU_CYCLE_1)
	s_add_nc_u64 s[24:25], s[10:11], s[24:25]
	s_add_co_u32 s3, s22, s24
	s_cselect_b32 s7, -1, 0
	s_delay_alu instid0(SALU_CYCLE_1) | instskip(SKIP_2) | instid1(SALU_CYCLE_1)
	s_cmp_lg_u32 s7, 0
	s_add_co_ci_u32 s7, s23, s25
	s_ashr_i32 s22, s9, 31
	s_mov_b32 s23, s22
	s_delay_alu instid0(SALU_CYCLE_1) | instskip(NEXT) | instid1(SALU_CYCLE_1)
	s_add_nc_u64 s[24:25], s[8:9], s[22:23]
	s_xor_b64 s[24:25], s[24:25], s[22:23]
	s_delay_alu instid0(SALU_CYCLE_1)
	s_mul_hi_u32 s27, s24, s7
	s_mul_i32 s26, s24, s7
	s_mul_hi_u32 s10, s24, s3
	s_mul_hi_u32 s14, s25, s3
	s_mul_i32 s3, s25, s3
	s_add_nc_u64 s[26:27], s[10:11], s[26:27]
	s_mul_hi_u32 s9, s25, s7
	s_add_co_u32 s3, s26, s3
	s_add_co_ci_u32 s10, s27, s14
	s_mul_i32 s28, s25, s7
	s_add_co_ci_u32 s29, s9, 0
	s_delay_alu instid0(SALU_CYCLE_1) | instskip(NEXT) | instid1(SALU_CYCLE_1)
	s_add_nc_u64 s[26:27], s[10:11], s[28:29]
	s_and_b64 s[28:29], s[26:27], 0xffffffff00000000
	s_delay_alu instid0(SALU_CYCLE_1) | instskip(NEXT) | instid1(SALU_CYCLE_1)
	s_or_b32 s28, s28, s26
	s_mul_u64 s[26:27], s[12:13], s[28:29]
	s_add_nc_u64 s[30:31], s[28:29], 1
	s_sub_co_u32 s3, s24, s26
	s_cselect_b32 s7, -1, 0
	s_sub_co_i32 s9, s25, s27
	s_cmp_lg_u32 s7, 0
	s_add_nc_u64 s[34:35], s[28:29], 2
	s_sub_co_ci_u32 s9, s9, s13
	s_sub_co_u32 s10, s3, s12
	s_cselect_b32 s14, -1, 0
	s_delay_alu instid0(SALU_CYCLE_1) | instskip(SKIP_1) | instid1(SALU_CYCLE_1)
	s_cmp_lg_u32 s14, 0
	s_sub_co_ci_u32 s9, s9, 0
	s_cmp_ge_u32 s9, s13
	s_cselect_b32 s14, -1, 0
	s_cmp_ge_u32 s10, s12
	s_cselect_b32 s10, -1, 0
	s_cmp_eq_u32 s9, s13
	s_cselect_b32 s9, s10, s14
	s_delay_alu instid0(SALU_CYCLE_1) | instskip(SKIP_4) | instid1(SALU_CYCLE_1)
	s_cmp_lg_u32 s9, 0
	s_cselect_b32 s9, s34, s30
	s_cselect_b32 s10, s35, s31
	s_cmp_lg_u32 s7, 0
	s_sub_co_ci_u32 s7, s25, s27
	s_cmp_ge_u32 s7, s13
	s_cselect_b32 s14, -1, 0
	s_cmp_ge_u32 s3, s12
	s_cselect_b32 s3, -1, 0
	s_cmp_eq_u32 s7, s13
	s_cselect_b32 s3, s3, s14
	s_delay_alu instid0(SALU_CYCLE_1) | instskip(SKIP_3) | instid1(SALU_CYCLE_1)
	s_cmp_lg_u32 s3, 0
	s_cselect_b32 s13, s10, s29
	s_cselect_b32 s12, s9, s28
	s_xor_b64 s[22:23], s[22:23], 0
	s_xor_b64 s[12:13], s[12:13], s[22:23]
	s_delay_alu instid0(SALU_CYCLE_1)
	s_sub_nc_u64 s[24:25], s[12:13], s[22:23]
	s_load_b96 s[12:14], s[0:1], 0x44
	s_cbranch_execnz .LBB45_6
.LBB45_5:
	v_cvt_f32_u32_e32 v1, s16
	s_sub_co_i32 s7, 0, s16
	s_delay_alu instid0(VALU_DEP_1) | instskip(SKIP_1) | instid1(TRANS32_DEP_1)
	v_rcp_iflag_f32_e32 v1, v1
	v_nop
	v_mul_f32_e32 v1, 0x4f7ffffe, v1
	s_delay_alu instid0(VALU_DEP_1) | instskip(NEXT) | instid1(VALU_DEP_1)
	v_cvt_u32_f32_e32 v1, v1
	v_readfirstlane_b32 s3, v1
	s_mul_i32 s7, s7, s3
	s_delay_alu instid0(SALU_CYCLE_1) | instskip(NEXT) | instid1(SALU_CYCLE_1)
	s_mul_hi_u32 s7, s3, s7
	s_add_co_i32 s3, s3, s7
	s_delay_alu instid0(SALU_CYCLE_1) | instskip(NEXT) | instid1(SALU_CYCLE_1)
	s_mul_hi_u32 s3, s8, s3
	s_mul_i32 s7, s3, s16
	s_delay_alu instid0(SALU_CYCLE_1)
	s_sub_co_i32 s7, s8, s7
	s_add_co_i32 s8, s3, 1
	s_sub_co_i32 s9, s7, s16
	s_cmp_ge_u32 s7, s16
	s_cselect_b32 s3, s8, s3
	s_cselect_b32 s7, s9, s7
	s_add_co_i32 s8, s3, 1
	s_cmp_ge_u32 s7, s16
	s_cselect_b32 s24, s8, s3
.LBB45_6:
	s_delay_alu instid0(SALU_CYCLE_1)
	s_cmp_eq_u32 s20, s24
	s_mov_b64 s[8:9], 0xffffffff
	s_cselect_b32 s3, -1, 0
	s_and_b64 s[8:9], s[20:21], s[8:9]
	s_mov_b32 s23, 0
	s_wait_kmcnt 0x0
	s_mov_b32 s22, s12
	s_mov_b32 s25, s23
	s_mul_u64 s[10:11], s[8:9], s[22:23]
	s_delay_alu instid0(SALU_CYCLE_1) | instskip(SKIP_2) | instid1(SALU_CYCLE_1)
	s_add_co_i32 s7, s11, s20
	s_mul_u64 s[10:11], s[24:25], s[22:23]
	s_lshr_b32 s12, s7, s13
	s_mul_i32 s7, s12, s14
	s_delay_alu instid0(SALU_CYCLE_1) | instskip(SKIP_2) | instid1(SALU_CYCLE_1)
	s_cmp_eq_u32 s7, s20
	s_cselect_b32 s7, -1, 0
	s_add_co_i32 s10, s11, s24
	s_lshr_b32 s10, s10, s13
	s_delay_alu instid0(SALU_CYCLE_1)
	s_cmp_eq_u32 s12, s10
	s_mul_i32 s10, s10, s14
	s_cselect_b32 s11, -1, 0
	s_cmp_lg_u32 s10, s24
	s_cselect_b32 s10, -1, 0
	s_or_b32 s3, s3, s7
	s_and_b32 s10, s11, s10
	s_delay_alu instid0(SALU_CYCLE_1) | instskip(NEXT) | instid1(SALU_CYCLE_1)
	s_or_b32 s3, s3, s10
	s_and_b32 vcc_lo, exec_lo, s3
	s_cbranch_vccnz .LBB45_24
; %bb.7:
	s_load_b256 s[24:31], s[0:1], 0x20
	s_bfe_u32 s7, ttmp6, 0x40014
	s_bfe_u32 s33, ttmp6, 0x40010
	s_lshr_b32 s3, ttmp7, 16
	s_add_co_i32 s7, s7, 1
	s_and_b32 s21, ttmp7, 0xffff
	s_add_co_i32 s33, s33, 1
	s_bfe_u32 s10, ttmp6, 0x40008
	s_mul_i32 s7, s3, s7
	s_bfe_u32 s34, ttmp6, 0x40004
	s_mul_i32 s33, s21, s33
	s_mov_b32 s11, s23
	s_add_co_i32 s35, s10, s7
	s_add_co_i32 s34, s34, s33
	s_cmp_eq_u32 s15, 0
	s_cselect_b32 s7, s21, s34
	s_cselect_b32 s3, s3, s35
	s_wait_kmcnt 0x0
	s_mov_b32 s10, s24
	s_delay_alu instid0(SALU_CYCLE_1) | instskip(NEXT) | instid1(SALU_CYCLE_1)
	s_mul_u64 s[8:9], s[8:9], s[10:11]
	s_add_co_i32 s8, s9, s20
	s_load_b32 s9, s[0:1], 0x40
	s_lshr_b32 s8, s8, s25
	s_delay_alu instid0(SALU_CYCLE_1) | instskip(NEXT) | instid1(SALU_CYCLE_1)
	s_mul_i32 s10, s8, s26
	s_sub_co_i32 s10, s20, s10
	s_delay_alu instid0(SALU_CYCLE_1) | instskip(NEXT) | instid1(SALU_CYCLE_1)
	s_mul_hi_u32 s11, s10, s27
	s_add_co_i32 s11, s10, s11
	s_delay_alu instid0(SALU_CYCLE_1) | instskip(NEXT) | instid1(SALU_CYCLE_1)
	s_lshr_b32 s15, s11, s28
	s_mul_i32 s11, s15, s29
	s_delay_alu instid0(SALU_CYCLE_1) | instskip(NEXT) | instid1(SALU_CYCLE_1)
	s_sub_co_i32 s10, s10, s11
	s_mul_hi_u32 s11, s10, s30
	s_delay_alu instid0(SALU_CYCLE_1) | instskip(NEXT) | instid1(SALU_CYCLE_1)
	s_add_co_i32 s11, s10, s11
	s_lshr_b32 s26, s11, s31
	s_mov_b32 s11, s23
	s_wait_kmcnt 0x0
	s_mul_i32 s9, s26, s9
	s_delay_alu instid0(SALU_CYCLE_1) | instskip(NEXT) | instid1(SALU_CYCLE_1)
	s_sub_co_i32 s10, s10, s9
	s_mul_u64 s[24:25], s[10:11], s[22:23]
	s_lshl_b32 s24, s26, 1
	s_add_co_i32 s9, s10, s25
	s_delay_alu instid0(SALU_CYCLE_1) | instskip(NEXT) | instid1(SALU_CYCLE_1)
	s_lshr_b32 s21, s9, s13
	s_lshl_b32 s9, s21, 2
	s_delay_alu instid0(SALU_CYCLE_1) | instskip(NEXT) | instid1(SALU_CYCLE_1)
	s_add_co_i32 s9, s9, s7
	s_cmp_lt_i32 s9, s4
	s_cselect_b32 s9, -1, 0
	s_add_co_i32 s10, s24, s3
	s_delay_alu instid0(SALU_CYCLE_1) | instskip(SKIP_1) | instid1(SALU_CYCLE_1)
	s_cmp_lt_i32 s10, s6
	s_cselect_b32 s10, -1, 0
	s_and_b32 s9, s9, s10
	s_delay_alu instid0(SALU_CYCLE_1)
	s_and_not1_b32 vcc_lo, exec_lo, s9
	s_cbranch_vccnz .LBB45_24
; %bb.8:
	s_mul_i32 s4, s8, s4
	s_load_b128 s[8:11], s[0:1], 0x0
	s_wait_xcnt 0x0
	s_add_co_i32 s0, s4, s7
	s_mul_i32 s15, s15, s6
	s_mul_i32 s0, s0, s5
	;; [unrolled: 1-line block ×3, first 2 shown]
	s_add_co_i32 s0, s0, s3
	s_lshl_b32 s1, s1, 9
	s_add_co_i32 s0, s0, s15
	s_lshl_b32 s15, s7, 1
	s_add_co_i32 s0, s0, s24
	s_add_co_i32 s15, s15, s3
	s_lshl_b32 s0, s0, 7
	v_lshl_or_b32 v6, s15, 7, v0
	s_add_co_i32 s1, s1, s0
	v_cvt_f32_u32_e32 v4, s16
	v_or_b32_e32 v2, s1, v0
	s_add_nc_u64 s[0:1], s[16:17], 0
	s_lshl_b32 s24, s16, 5
	s_xor_b64 s[6:7], s[0:1], 0
	s_lshl_b32 s0, s2, 3
	s_cvt_f32_u32 s3, s6
	s_add_co_i32 s0, s15, s0
	s_cvt_f32_u32 s4, s7
	s_ashr_i32 s1, s0, 31
	v_rcp_iflag_f32_e32 v4, v4
	s_lshl_b64 s[0:1], s[0:1], 3
	s_fmamk_f32 s3, s4, 0x4f800000, s3
	s_wait_kmcnt 0x0
	s_add_nc_u64 s[0:1], s[10:11], s[0:1]
	s_mov_b32 s25, 0
	s_load_b64 s[28:29], s[0:1], 0x0
	v_s_rcp_f32 s3, s3
	s_wait_xcnt 0x0
	s_lshl_b64 s[0:1], s[24:25], 2
	s_add_co_i32 s36, s2, -1
	s_add_nc_u64 s[26:27], s[10:11], s[0:1]
	s_sub_nc_u64 s[34:35], 0, s[6:7]
	v_mul_f32_e32 v4, 0x4f7ffffe, v4
	s_delay_alu instid0(TRANS32_DEP_1) | instskip(NEXT) | instid1(VALU_DEP_1)
	s_mul_f32 s3, s3, 0x5f7ffffc
	v_cvt_u32_f32_e32 v7, v4
	s_delay_alu instid0(SALU_CYCLE_2) | instskip(NEXT) | instid1(SALU_CYCLE_3)
	s_mul_f32 s4, s3, 0x2f800000
	s_trunc_f32 s4, s4
	s_wait_kmcnt 0x0
	v_mov_b32_e32 v0, s29
	global_load_b32 v1, v2, s[8:9] scale_offset
	v_ashrrev_i32_e32 v3, 31, v2
	s_fmamk_f32 s0, s4, 0xcf800000, s3
	s_cvt_u32_f32 s31, s4
	s_wait_xcnt 0x0
	s_delay_alu instid0(VALU_DEP_1)
	v_lshl_add_u64 v[2:3], v[2:3], 2, s[8:9]
	s_cvt_u32_f32 s30, s0
	s_mov_b64 s[8:9], 0xffffffff
.LBB45_9:                               ; =>This Inner Loop Header: Depth=1
	s_ashr_i32 s37, s36, 31
                                        ; implicit-def: $sgpr40_sgpr41
	s_delay_alu instid0(SALU_CYCLE_1) | instskip(NEXT) | instid1(SALU_CYCLE_1)
	s_mul_u64 s[0:1], s[36:37], s[18:19]
	s_and_b64 s[2:3], s[0:1], 0xffffffff00000000
	s_delay_alu instid0(SALU_CYCLE_1)
	s_cmp_lg_u64 s[2:3], 0
	s_mov_b32 s2, -1
	s_cbranch_scc0 .LBB45_11
; %bb.10:                               ;   in Loop: Header=BB45_9 Depth=1
	s_mul_u64 s[2:3], s[34:35], s[30:31]
	s_delay_alu instid0(SALU_CYCLE_1)
	s_mul_hi_u32 s5, s30, s3
	s_mul_i32 s4, s30, s3
	s_mul_hi_u32 s24, s30, s2
	s_mul_hi_u32 s17, s31, s2
	s_add_nc_u64 s[4:5], s[24:25], s[4:5]
	s_mul_i32 s2, s31, s2
	s_mul_hi_u32 s21, s31, s3
	s_add_co_u32 s2, s4, s2
	s_add_co_ci_u32 s24, s5, s17
	s_add_co_ci_u32 s5, s21, 0
	s_mul_i32 s4, s31, s3
	s_delay_alu instid0(SALU_CYCLE_1) | instskip(NEXT) | instid1(SALU_CYCLE_1)
	s_add_nc_u64 s[2:3], s[24:25], s[4:5]
	s_add_co_u32 s2, s30, s2
	s_cselect_b32 s4, -1, 0
	s_delay_alu instid0(SALU_CYCLE_1) | instskip(SKIP_1) | instid1(SALU_CYCLE_1)
	s_cmp_lg_u32 s4, 0
	s_add_co_ci_u32 s3, s31, s3
	s_mul_u64 s[4:5], s[34:35], s[2:3]
	s_delay_alu instid0(SALU_CYCLE_1)
	s_mul_hi_u32 s39, s2, s5
	s_mul_i32 s38, s2, s5
	s_mul_hi_u32 s24, s2, s4
	s_mul_hi_u32 s17, s3, s4
	s_mul_i32 s4, s3, s4
	s_add_nc_u64 s[38:39], s[24:25], s[38:39]
	s_mul_hi_u32 s21, s3, s5
	s_add_co_u32 s4, s38, s4
	s_add_co_ci_u32 s24, s39, s17
	s_mul_i32 s4, s3, s5
	s_add_co_ci_u32 s5, s21, 0
	s_delay_alu instid0(SALU_CYCLE_1) | instskip(NEXT) | instid1(SALU_CYCLE_1)
	s_add_nc_u64 s[4:5], s[24:25], s[4:5]
	s_add_co_u32 s17, s2, s4
	s_cselect_b32 s2, -1, 0
	s_delay_alu instid0(SALU_CYCLE_1) | instskip(SKIP_2) | instid1(SALU_CYCLE_1)
	s_cmp_lg_u32 s2, 0
	s_add_co_ci_u32 s21, s3, s5
	s_ashr_i32 s2, s1, 31
	s_mov_b32 s3, s2
	s_delay_alu instid0(SALU_CYCLE_1) | instskip(NEXT) | instid1(SALU_CYCLE_1)
	s_add_nc_u64 s[4:5], s[0:1], s[2:3]
	s_xor_b64 s[4:5], s[4:5], s[2:3]
	s_delay_alu instid0(SALU_CYCLE_1)
	s_mul_hi_u32 s39, s4, s21
	s_mul_i32 s38, s4, s21
	s_mul_hi_u32 s24, s4, s17
	s_mul_hi_u32 s29, s5, s17
	s_mul_i32 s17, s5, s17
	s_add_nc_u64 s[38:39], s[24:25], s[38:39]
	s_mul_hi_u32 s1, s5, s21
	s_add_co_u32 s17, s38, s17
	s_add_co_ci_u32 s24, s39, s29
	s_mul_i32 s40, s5, s21
	s_add_co_ci_u32 s41, s1, 0
	s_delay_alu instid0(SALU_CYCLE_1) | instskip(NEXT) | instid1(SALU_CYCLE_1)
	s_add_nc_u64 s[38:39], s[24:25], s[40:41]
	s_and_b64 s[40:41], s[38:39], 0xffffffff00000000
	s_delay_alu instid0(SALU_CYCLE_1) | instskip(NEXT) | instid1(SALU_CYCLE_1)
	s_or_b32 s40, s40, s38
	s_mul_u64 s[38:39], s[6:7], s[40:41]
	s_add_nc_u64 s[42:43], s[40:41], 1
	s_sub_co_u32 s1, s4, s38
	s_cselect_b32 s4, -1, 0
	s_sub_co_i32 s17, s5, s39
	s_cmp_lg_u32 s4, 0
	s_add_nc_u64 s[44:45], s[40:41], 2
	s_sub_co_ci_u32 s17, s17, s7
	s_sub_co_u32 s21, s1, s6
	s_cselect_b32 s24, -1, 0
	s_delay_alu instid0(SALU_CYCLE_1) | instskip(SKIP_1) | instid1(SALU_CYCLE_1)
	s_cmp_lg_u32 s24, 0
	s_sub_co_ci_u32 s17, s17, 0
	s_cmp_ge_u32 s17, s7
	s_cselect_b32 s24, -1, 0
	s_cmp_ge_u32 s21, s6
	s_cselect_b32 s21, -1, 0
	s_cmp_eq_u32 s17, s7
	s_cselect_b32 s17, s21, s24
	s_delay_alu instid0(SALU_CYCLE_1) | instskip(SKIP_4) | instid1(SALU_CYCLE_1)
	s_cmp_lg_u32 s17, 0
	s_cselect_b32 s17, s44, s42
	s_cselect_b32 s21, s45, s43
	s_cmp_lg_u32 s4, 0
	s_sub_co_ci_u32 s4, s5, s39
	s_cmp_ge_u32 s4, s7
	s_cselect_b32 s5, -1, 0
	s_cmp_ge_u32 s1, s6
	s_cselect_b32 s1, -1, 0
	s_cmp_eq_u32 s4, s7
	s_cselect_b32 s1, s1, s5
	s_delay_alu instid0(SALU_CYCLE_1) | instskip(SKIP_3) | instid1(SALU_CYCLE_1)
	s_cmp_lg_u32 s1, 0
	s_cselect_b32 s5, s21, s41
	s_cselect_b32 s4, s17, s40
	s_xor_b64 s[2:3], s[2:3], 0
	s_xor_b64 s[4:5], s[4:5], s[2:3]
	s_delay_alu instid0(SALU_CYCLE_1)
	s_sub_nc_u64 s[40:41], s[4:5], s[2:3]
	s_mov_b32 s2, 0
.LBB45_11:                              ;   in Loop: Header=BB45_9 Depth=1
	s_delay_alu instid0(SALU_CYCLE_1)
	s_and_not1_b32 vcc_lo, exec_lo, s2
	s_cbranch_vccnz .LBB45_13
; %bb.12:                               ;   in Loop: Header=BB45_9 Depth=1
	v_readfirstlane_b32 s1, v7
	s_sub_co_i32 s2, 0, s16
	s_delay_alu instid0(SALU_CYCLE_1) | instskip(NEXT) | instid1(SALU_CYCLE_1)
	s_mul_i32 s2, s2, s1
	s_mul_hi_u32 s2, s1, s2
	s_delay_alu instid0(SALU_CYCLE_1) | instskip(NEXT) | instid1(SALU_CYCLE_1)
	s_add_co_i32 s1, s1, s2
	s_mul_hi_u32 s1, s0, s1
	s_delay_alu instid0(SALU_CYCLE_1) | instskip(NEXT) | instid1(SALU_CYCLE_1)
	s_mul_i32 s2, s1, s16
	s_sub_co_i32 s0, s0, s2
	s_add_co_i32 s2, s1, 1
	s_sub_co_i32 s3, s0, s16
	s_cmp_ge_u32 s0, s16
	s_cselect_b32 s1, s2, s1
	s_cselect_b32 s0, s3, s0
	s_add_co_i32 s2, s1, 1
	s_cmp_ge_u32 s0, s16
	s_cselect_b32 s24, s2, s1
	s_delay_alu instid0(SALU_CYCLE_1)
	s_mov_b64 s[40:41], s[24:25]
.LBB45_13:                              ;   in Loop: Header=BB45_9 Depth=1
	s_delay_alu instid0(SALU_CYCLE_1)
	s_cmp_lg_u32 s20, s40
	s_mov_b32 s0, -1
                                        ; implicit-def: $vgpr4_vgpr5
                                        ; implicit-def: $sgpr24
                                        ; implicit-def: $sgpr17
                                        ; implicit-def: $sgpr21
                                        ; implicit-def: $sgpr29
	s_cbranch_scc0 .LBB45_18
; %bb.14:                               ;   in Loop: Header=BB45_9 Depth=1
	s_add_co_i32 s0, s36, s16
	v_max_num_f32_e64 v4, s28, s28
	s_lshl_b32 s0, s0, 3
	s_mov_b32 s29, s20
	s_add_co_i32 s0, s0, s15
	s_load_b64 s[38:39], s[10:11], s0 offset:0x0 scale_offset
	s_wait_xcnt 0x0
	v_readfirstlane_b32 s0, v4
	s_wait_kmcnt 0x0
	v_max_num_f32_e64 v5, s38, s38
	s_delay_alu instid0(VALU_DEP_1) | instskip(SKIP_1) | instid1(SALU_CYCLE_3)
	v_readfirstlane_b32 s1, v5
	s_max_num_f32 s17, s0, s1
	s_sub_f32 s33, s28, s17
	s_sub_f32 s37, s38, s17
	s_delay_alu instid0(SALU_CYCLE_2)
	s_cmp_nlt_f32 s33, 0xc2ce8ed0
	s_cselect_b32 s1, -1, 0
	s_cmp_ngt_f32 s33, 0x42b17218
	s_cselect_b32 s2, -1, 0
	s_cmp_ge_f32 s33, 0xc1a00000
	s_cselect_b32 s0, -1, 0
	s_cmp_nlt_f32 s37, 0xc2ce8ed0
	s_cselect_b32 s3, -1, 0
	s_cmp_ngt_f32 s37, 0x42b17218
	s_cselect_b32 s4, -1, 0
	s_cmp_ge_f32 s37, 0xc1a00000
	s_cselect_b32 s5, -1, 0
	s_and_b64 s[42:43], s[40:41], s[8:9]
	s_delay_alu instid0(SALU_CYCLE_1) | instskip(NEXT) | instid1(SALU_CYCLE_1)
	s_mul_u64 s[42:43], s[42:43], s[22:23]
	s_add_co_i32 s21, s43, s40
	s_delay_alu instid0(SALU_CYCLE_1) | instskip(NEXT) | instid1(SALU_CYCLE_1)
	s_lshr_b32 s21, s21, s13
	s_mul_i32 s24, s21, s14
	s_delay_alu instid0(SALU_CYCLE_1) | instskip(SKIP_3) | instid1(SALU_CYCLE_1)
	s_cmp_eq_u32 s24, s40
	s_cselect_b32 s24, -1, 0
	s_cmp_lt_u32 s21, s12
	s_cselect_b32 s21, -1, 0
	s_or_b32 s21, s21, s24
	s_mov_b32 s24, -1
	s_and_b32 vcc_lo, exec_lo, s21
	s_mov_b32 s21, s36
	s_cbranch_vccnz .LBB45_16
; %bb.15:                               ;   in Loop: Header=BB45_9 Depth=1
	s_add_co_i32 s21, s36, -1
	s_mov_b32 s24, 0
	s_mov_b32 s29, s40
.LBB45_16:                              ;   in Loop: Header=BB45_9 Depth=1
	v_lshl_add_u32 v4, s36, 10, v6
	s_mul_f32 s40, s33, 0x3fb8aa3b
	s_mul_f32 s38, s37, 0x3fb8aa3b
	s_delay_alu instid0(SALU_CYCLE_2)
	s_xor_b32 s42, s40, 0x80000000
	global_load_b32 v5, v4, s[26:27] scale_offset
	s_fmamk_f32 s42, s33, 0x3fb8aa3b, s42
	s_rndne_f32 s44, s40
	s_xor_b32 s41, s38, 0x80000000
	s_rndne_f32 s43, s38
	s_fmamk_f32 s33, s33, 0x32a5705f, s42
	s_sub_f32 s40, s40, s44
	s_fmamk_f32 s41, s37, 0x3fb8aa3b, s41
	s_sub_f32 s38, s38, s43
	s_delay_alu instid0(SALU_CYCLE_1) | instskip(NEXT) | instid1(SALU_CYCLE_1)
	s_add_f32 s33, s40, s33
	s_fmamk_f32 s37, s37, 0x32a5705f, s41
	s_cvt_i32_f32 s40, s44
	s_delay_alu instid0(SALU_CYCLE_1) | instskip(NEXT) | instid1(SALU_CYCLE_1)
	v_s_exp_f32 s33, s33
	s_add_f32 s37, s38, s37
	s_cvt_i32_f32 s38, s43
	s_delay_alu instid0(SALU_CYCLE_2) | instskip(NEXT) | instid1(TRANS32_DEP_2)
	v_s_exp_f32 s37, s37
	v_ldexp_f32 v8, s33, s40
	s_wait_xcnt 0x0
	s_delay_alu instid0(TRANS32_DEP_1) | instskip(NEXT) | instid1(VALU_DEP_2)
	v_ldexp_f32 v4, s37, s38
	v_cndmask_b32_e64 v8, 0, v8, s1
	s_delay_alu instid0(VALU_DEP_1) | instskip(NEXT) | instid1(VALU_DEP_1)
	v_cndmask_b32_e64 v9, 0x7f800000, v8, s2
	v_dual_cndmask_b32 v4, 0, v4, s3 :: v_dual_cndmask_b32 v10, 0, v9, s0
	s_delay_alu instid0(VALU_DEP_1) | instskip(NEXT) | instid1(VALU_DEP_1)
	v_cndmask_b32_e64 v4, 0x7f800000, v4, s4
	v_dual_cndmask_b32 v8, 0, v4, s5 :: v_dual_mov_b32 v4, s39
	s_wait_loadcnt 0x0
	s_delay_alu instid0(VALU_DEP_1) | instskip(NEXT) | instid1(VALU_DEP_1)
	v_pk_mul_f32 v[4:5], v[4:5], v[8:9] op_sel_hi:[1,0]
	v_pk_fma_f32 v[4:5], v[0:1], v[10:11], v[4:5] op_sel_hi:[1,0,1]
	s_cbranch_execz .LBB45_19
.LBB45_17:                              ;   in Loop: Header=BB45_9 Depth=1
	s_and_not1_b32 vcc_lo, exec_lo, s24
	s_cbranch_vccnz .LBB45_20
	s_branch .LBB45_23
.LBB45_18:                              ;   in Loop: Header=BB45_9 Depth=1
	s_and_not1_b32 vcc_lo, exec_lo, s0
	s_cbranch_vccnz .LBB45_17
.LBB45_19:                              ;   in Loop: Header=BB45_9 Depth=1
	s_wait_loadcnt 0x0
	v_mov_b64_e32 v[4:5], v[0:1]
	s_add_co_i32 s21, s36, -1
	s_mov_b32 s29, s20
	s_mov_b32 s17, s28
	s_cbranch_execz .LBB45_23
.LBB45_20:                              ;   in Loop: Header=BB45_9 Depth=1
	s_wait_loadcnt 0x0
	s_delay_alu instid0(VALU_DEP_1)
	v_mov_b64_e32 v[0:1], v[4:5]
	s_mov_b32 s20, s29
	s_mov_b32 s36, s21
	;; [unrolled: 1-line block ×3, first 2 shown]
	s_branch .LBB45_9
.LBB45_21:
                                        ; implicit-def: $sgpr20_sgpr21
	s_branch .LBB45_2
.LBB45_22:
                                        ; implicit-def: $sgpr24_sgpr25
	s_load_b96 s[12:14], s[0:1], 0x44
	s_branch .LBB45_5
.LBB45_23:
	s_delay_alu instid0(VALU_DEP_1) | instskip(SKIP_1) | instid1(VALU_DEP_1)
	v_div_scale_f32 v0, null, v4, v4, v5
	s_wait_loadcnt 0x0
	v_rcp_f32_e32 v1, v0
	v_nop
	s_delay_alu instid0(TRANS32_DEP_1) | instskip(NEXT) | instid1(VALU_DEP_1)
	v_fma_f32 v6, -v0, v1, 1.0
	v_fmac_f32_e32 v1, v6, v1
	v_div_scale_f32 v6, vcc_lo, v5, v4, v5
	s_delay_alu instid0(VALU_DEP_1) | instskip(NEXT) | instid1(VALU_DEP_1)
	v_mul_f32_e32 v7, v6, v1
	v_fma_f32 v8, -v0, v7, v6
	s_delay_alu instid0(VALU_DEP_1) | instskip(NEXT) | instid1(VALU_DEP_1)
	v_fmac_f32_e32 v7, v8, v1
	v_fma_f32 v0, -v0, v7, v6
	s_delay_alu instid0(VALU_DEP_1) | instskip(NEXT) | instid1(VALU_DEP_1)
	v_div_fmas_f32 v0, v0, v1, v7
	v_div_fixup_f32 v0, v0, v4, v5
	global_store_b32 v[2:3], v0, off
.LBB45_24:
	s_endpgm
	.section	.rodata,"a",@progbits
	.p2align	6, 0x0
	.amdhsa_kernel _ZL33flash_attn_stream_k_fixup_generalILi128ELi4ELi2EEvPfPK15HIP_vector_typeIfLj2EEiiiiS1_IjLj3EES5_S5_S5_
		.amdhsa_group_segment_fixed_size 0
		.amdhsa_private_segment_fixed_size 0
		.amdhsa_kernarg_size 336
		.amdhsa_user_sgpr_count 2
		.amdhsa_user_sgpr_dispatch_ptr 0
		.amdhsa_user_sgpr_queue_ptr 0
		.amdhsa_user_sgpr_kernarg_segment_ptr 1
		.amdhsa_user_sgpr_dispatch_id 0
		.amdhsa_user_sgpr_kernarg_preload_length 0
		.amdhsa_user_sgpr_kernarg_preload_offset 0
		.amdhsa_user_sgpr_private_segment_size 0
		.amdhsa_wavefront_size32 1
		.amdhsa_uses_dynamic_stack 0
		.amdhsa_enable_private_segment 0
		.amdhsa_system_sgpr_workgroup_id_x 1
		.amdhsa_system_sgpr_workgroup_id_y 1
		.amdhsa_system_sgpr_workgroup_id_z 1
		.amdhsa_system_sgpr_workgroup_info 0
		.amdhsa_system_vgpr_workitem_id 0
		.amdhsa_next_free_vgpr 12
		.amdhsa_next_free_sgpr 46
		.amdhsa_named_barrier_count 0
		.amdhsa_reserve_vcc 1
		.amdhsa_float_round_mode_32 0
		.amdhsa_float_round_mode_16_64 0
		.amdhsa_float_denorm_mode_32 3
		.amdhsa_float_denorm_mode_16_64 3
		.amdhsa_fp16_overflow 0
		.amdhsa_memory_ordered 1
		.amdhsa_forward_progress 1
		.amdhsa_inst_pref_size 27
		.amdhsa_round_robin_scheduling 0
		.amdhsa_exception_fp_ieee_invalid_op 0
		.amdhsa_exception_fp_denorm_src 0
		.amdhsa_exception_fp_ieee_div_zero 0
		.amdhsa_exception_fp_ieee_overflow 0
		.amdhsa_exception_fp_ieee_underflow 0
		.amdhsa_exception_fp_ieee_inexact 0
		.amdhsa_exception_int_div_zero 0
	.end_amdhsa_kernel
	.section	.text._ZL33flash_attn_stream_k_fixup_generalILi128ELi4ELi2EEvPfPK15HIP_vector_typeIfLj2EEiiiiS1_IjLj3EES5_S5_S5_,"axG",@progbits,_ZL33flash_attn_stream_k_fixup_generalILi128ELi4ELi2EEvPfPK15HIP_vector_typeIfLj2EEiiiiS1_IjLj3EES5_S5_S5_,comdat
.Lfunc_end45:
	.size	_ZL33flash_attn_stream_k_fixup_generalILi128ELi4ELi2EEvPfPK15HIP_vector_typeIfLj2EEiiiiS1_IjLj3EES5_S5_S5_, .Lfunc_end45-_ZL33flash_attn_stream_k_fixup_generalILi128ELi4ELi2EEvPfPK15HIP_vector_typeIfLj2EEiiiiS1_IjLj3EES5_S5_S5_
                                        ; -- End function
	.set _ZL33flash_attn_stream_k_fixup_generalILi128ELi4ELi2EEvPfPK15HIP_vector_typeIfLj2EEiiiiS1_IjLj3EES5_S5_S5_.num_vgpr, 12
	.set _ZL33flash_attn_stream_k_fixup_generalILi128ELi4ELi2EEvPfPK15HIP_vector_typeIfLj2EEiiiiS1_IjLj3EES5_S5_S5_.num_agpr, 0
	.set _ZL33flash_attn_stream_k_fixup_generalILi128ELi4ELi2EEvPfPK15HIP_vector_typeIfLj2EEiiiiS1_IjLj3EES5_S5_S5_.numbered_sgpr, 46
	.set _ZL33flash_attn_stream_k_fixup_generalILi128ELi4ELi2EEvPfPK15HIP_vector_typeIfLj2EEiiiiS1_IjLj3EES5_S5_S5_.num_named_barrier, 0
	.set _ZL33flash_attn_stream_k_fixup_generalILi128ELi4ELi2EEvPfPK15HIP_vector_typeIfLj2EEiiiiS1_IjLj3EES5_S5_S5_.private_seg_size, 0
	.set _ZL33flash_attn_stream_k_fixup_generalILi128ELi4ELi2EEvPfPK15HIP_vector_typeIfLj2EEiiiiS1_IjLj3EES5_S5_S5_.uses_vcc, 1
	.set _ZL33flash_attn_stream_k_fixup_generalILi128ELi4ELi2EEvPfPK15HIP_vector_typeIfLj2EEiiiiS1_IjLj3EES5_S5_S5_.uses_flat_scratch, 0
	.set _ZL33flash_attn_stream_k_fixup_generalILi128ELi4ELi2EEvPfPK15HIP_vector_typeIfLj2EEiiiiS1_IjLj3EES5_S5_S5_.has_dyn_sized_stack, 0
	.set _ZL33flash_attn_stream_k_fixup_generalILi128ELi4ELi2EEvPfPK15HIP_vector_typeIfLj2EEiiiiS1_IjLj3EES5_S5_S5_.has_recursion, 0
	.set _ZL33flash_attn_stream_k_fixup_generalILi128ELi4ELi2EEvPfPK15HIP_vector_typeIfLj2EEiiiiS1_IjLj3EES5_S5_S5_.has_indirect_call, 0
	.section	.AMDGPU.csdata,"",@progbits
; Kernel info:
; codeLenInByte = 3360
; TotalNumSgprs: 48
; NumVgprs: 12
; ScratchSize: 0
; MemoryBound: 0
; FloatMode: 240
; IeeeMode: 1
; LDSByteSize: 0 bytes/workgroup (compile time only)
; SGPRBlocks: 0
; VGPRBlocks: 0
; NumSGPRsForWavesPerEU: 48
; NumVGPRsForWavesPerEU: 12
; NamedBarCnt: 0
; Occupancy: 16
; WaveLimiterHint : 0
; COMPUTE_PGM_RSRC2:SCRATCH_EN: 0
; COMPUTE_PGM_RSRC2:USER_SGPR: 2
; COMPUTE_PGM_RSRC2:TRAP_HANDLER: 0
; COMPUTE_PGM_RSRC2:TGID_X_EN: 1
; COMPUTE_PGM_RSRC2:TGID_Y_EN: 1
; COMPUTE_PGM_RSRC2:TGID_Z_EN: 1
; COMPUTE_PGM_RSRC2:TIDIG_COMP_CNT: 0
	.section	.text._ZL15flash_attn_tileILi128ELi128ELi2ELi2ELb0EEvPKcS1_S1_S1_S1_PKiPfP15HIP_vector_typeIfLj2EEffffjfiS5_IjLj3EEiiiiiiiiiiiliiliiiiil,"axG",@progbits,_ZL15flash_attn_tileILi128ELi128ELi2ELi2ELb0EEvPKcS1_S1_S1_S1_PKiPfP15HIP_vector_typeIfLj2EEffffjfiS5_IjLj3EEiiiiiiiiiiiliiliiiiil,comdat
	.globl	_ZL15flash_attn_tileILi128ELi128ELi2ELi2ELb0EEvPKcS1_S1_S1_S1_PKiPfP15HIP_vector_typeIfLj2EEffffjfiS5_IjLj3EEiiiiiiiiiiiliiliiiiil ; -- Begin function _ZL15flash_attn_tileILi128ELi128ELi2ELi2ELb0EEvPKcS1_S1_S1_S1_PKiPfP15HIP_vector_typeIfLj2EEffffjfiS5_IjLj3EEiiiiiiiiiiiliiliiiiil
	.p2align	8
	.type	_ZL15flash_attn_tileILi128ELi128ELi2ELi2ELb0EEvPKcS1_S1_S1_S1_PKiPfP15HIP_vector_typeIfLj2EEffffjfiS5_IjLj3EEiiiiiiiiiiiliiliiiiil,@function
_ZL15flash_attn_tileILi128ELi128ELi2ELi2ELb0EEvPKcS1_S1_S1_S1_PKiPfP15HIP_vector_typeIfLj2EEffffjfiS5_IjLj3EEiiiiiiiiiiiliiliiiiil: ; @_ZL15flash_attn_tileILi128ELi128ELi2ELi2ELb0EEvPKcS1_S1_S1_S1_PKiPfP15HIP_vector_typeIfLj2EEffffjfiS5_IjLj3EEiiiiiiiiiiiliiliiiiil
; %bb.0:
	s_clause 0x1
	s_load_b128 s[20:23], s[0:1], 0x5c
	s_load_b64 s[30:31], s[0:1], 0x80
	s_bfe_u32 s5, ttmp6, 0x40014
	s_lshr_b32 s4, ttmp7, 16
	s_add_co_i32 s5, s5, 1
	s_bfe_u32 s6, ttmp6, 0x40008
	s_mul_i32 s5, s4, s5
	s_getreg_b32 s24, hwreg(HW_REG_IB_STS2, 6, 4)
	s_add_co_i32 s6, s6, s5
	s_load_b64 s[36:37], s[0:1], 0xb8
	s_mov_b64 s[34:35], 0
	s_wait_kmcnt 0x0
	s_lshr_b32 s2, s23, 31
	s_delay_alu instid0(SALU_CYCLE_1) | instskip(NEXT) | instid1(SALU_CYCLE_1)
	s_add_co_i32 s2, s23, s2
	s_ashr_i32 s2, s2, 1
	s_delay_alu instid0(SALU_CYCLE_1) | instskip(SKIP_1) | instid1(SALU_CYCLE_2)
	s_cvt_f32_u32 s3, s2
	s_sub_co_i32 s7, 0, s2
	v_rcp_iflag_f32_e32 v1, s3
	v_nop
	s_delay_alu instid0(TRANS32_DEP_1) | instskip(SKIP_1) | instid1(SALU_CYCLE_3)
	v_readfirstlane_b32 s3, v1
	s_mul_f32 s3, s3, 0x4f7ffffe
	s_cvt_u32_f32 s3, s3
	s_delay_alu instid0(SALU_CYCLE_3) | instskip(NEXT) | instid1(SALU_CYCLE_1)
	s_mul_i32 s7, s7, s3
	s_mul_hi_u32 s7, s3, s7
	s_delay_alu instid0(SALU_CYCLE_1) | instskip(SKIP_2) | instid1(SALU_CYCLE_1)
	s_add_co_i32 s3, s3, s7
	s_cmp_eq_u32 s24, 0
	s_cselect_b32 s4, s4, s6
	s_mul_hi_u32 s3, s4, s3
	s_delay_alu instid0(SALU_CYCLE_1) | instskip(SKIP_2) | instid1(SALU_CYCLE_1)
	s_mul_i32 s5, s3, s2
	s_add_co_i32 s6, s3, 1
	s_sub_co_i32 s5, s4, s5
	s_sub_co_i32 s7, s5, s2
	s_cmp_ge_u32 s5, s2
	s_cselect_b32 s3, s6, s3
	s_cselect_b32 s5, s7, s5
	s_add_co_i32 s6, s3, 1
	s_cmp_ge_u32 s5, s2
	s_cselect_b32 s28, s6, s3
	s_abs_i32 s2, s31
	s_abs_i32 s7, s23
	s_cvt_f32_u32 s3, s2
	s_sub_co_i32 s5, 0, s2
	s_lshl_b32 s4, s4, 1
	s_mul_i32 s6, s28, s23
	v_rcp_iflag_f32_e32 v1, s3
	s_sub_co_i32 s33, s4, s6
	s_xor_b32 s4, s23, s31
	s_delay_alu instid0(SALU_CYCLE_1) | instskip(SKIP_1) | instid1(TRANS32_DEP_1)
	s_ashr_i32 s25, s4, 31
	v_nop
	v_readfirstlane_b32 s3, v1
	s_mul_f32 s3, s3, 0x4f7ffffe
	s_delay_alu instid0(SALU_CYCLE_3) | instskip(NEXT) | instid1(SALU_CYCLE_3)
	s_cvt_u32_f32 s3, s3
	s_mul_i32 s5, s5, s3
	s_delay_alu instid0(SALU_CYCLE_1) | instskip(NEXT) | instid1(SALU_CYCLE_1)
	s_mul_hi_u32 s5, s3, s5
	s_add_co_i32 s3, s3, s5
	s_delay_alu instid0(SALU_CYCLE_1) | instskip(NEXT) | instid1(SALU_CYCLE_1)
	s_mul_hi_u32 s3, s7, s3
	s_mul_i32 s5, s3, s2
	s_delay_alu instid0(SALU_CYCLE_1)
	s_sub_co_i32 s4, s7, s5
	s_add_co_i32 s5, s3, 1
	s_sub_co_i32 s6, s4, s2
	s_cmp_ge_u32 s4, s2
	s_cselect_b32 s3, s5, s3
	s_cselect_b32 s4, s6, s4
	s_add_co_i32 s5, s3, 1
	s_cmp_ge_u32 s4, s2
	s_cselect_b32 s2, s5, s3
	s_load_b512 s[4:19], s[0:1], 0x0
	s_xor_b32 s2, s2, s25
	s_mov_b32 s3, 0
	s_sub_co_i32 s29, s2, s25
	s_delay_alu instid0(SALU_CYCLE_1) | instskip(NEXT) | instid1(SALU_CYCLE_1)
	s_abs_i32 s38, s29
	s_cvt_f32_u32 s2, s38
	s_delay_alu instid0(SALU_CYCLE_3) | instskip(SKIP_1) | instid1(TRANS32_DEP_1)
	v_rcp_iflag_f32_e32 v1, s2
	v_nop
	v_readfirstlane_b32 s2, v1
	s_wait_kmcnt 0x0
	s_cmp_eq_u64 s[10:11], 0
	s_cbranch_scc1 .LBB46_2
; %bb.1:
	s_abs_i32 s25, s36
	s_abs_i32 s31, s28
	s_cvt_f32_u32 s26, s25
	s_sub_co_i32 s27, 0, s25
	s_delay_alu instid0(SALU_CYCLE_2) | instskip(SKIP_1) | instid1(TRANS32_DEP_1)
	v_rcp_iflag_f32_e32 v1, s26
	v_nop
	v_readfirstlane_b32 s26, v1
	s_mul_f32 s26, s26, 0x4f7ffffe
	s_delay_alu instid0(SALU_CYCLE_3) | instskip(NEXT) | instid1(SALU_CYCLE_3)
	s_cvt_u32_f32 s26, s26
	s_mul_i32 s27, s27, s26
	s_delay_alu instid0(SALU_CYCLE_1) | instskip(NEXT) | instid1(SALU_CYCLE_1)
	s_mul_hi_u32 s27, s26, s27
	s_add_co_i32 s26, s26, s27
	s_delay_alu instid0(SALU_CYCLE_1) | instskip(SKIP_2) | instid1(SALU_CYCLE_1)
	s_mul_hi_u32 s34, s31, s26
	s_load_b64 s[26:27], s[0:1], 0xc8
	s_mul_i32 s34, s34, s25
	s_sub_co_i32 s31, s31, s34
	s_ashr_i32 s34, s28, 31
	s_sub_co_i32 s35, s31, s25
	s_cmp_ge_u32 s31, s25
	s_cselect_b32 s31, s35, s31
	s_delay_alu instid0(SALU_CYCLE_1) | instskip(SKIP_2) | instid1(SALU_CYCLE_1)
	s_sub_co_i32 s35, s31, s25
	s_cmp_ge_u32 s31, s25
	s_cselect_b32 s25, s35, s31
	s_xor_b32 s25, s25, s34
	s_delay_alu instid0(SALU_CYCLE_1) | instskip(NEXT) | instid1(SALU_CYCLE_1)
	s_sub_co_i32 s34, s25, s34
	s_ashr_i32 s35, s34, 31
	s_wait_kmcnt 0x0
	s_mul_u64 s[26:27], s[26:27], s[34:35]
	s_delay_alu instid0(SALU_CYCLE_1)
	s_add_nc_u64 s[34:35], s[10:11], s[26:27]
.LBB46_2:
	s_bfe_u32 s10, ttmp6, 0x4000c
	v_dual_lshrrev_b32 v1, 10, v0 :: v_dual_mov_b32 v25, 0
	s_add_co_i32 s10, s10, 1
	s_and_b32 s11, ttmp6, 15
	s_mul_i32 s10, ttmp9, s10
	s_delay_alu instid0(VALU_DEP_1)
	v_bfe_u32 v1, v1, 1, 9
	s_add_co_i32 s11, s11, s10
	s_cmp_eq_u32 s24, 0
	s_load_b96 s[40:42], s[0:1], 0x70
	s_cselect_b32 s10, ttmp9, s11
	v_and_b32_e32 v48, 0x3ff, v0
	v_lshl_add_u32 v49, s10, 1, v1
	v_bfe_u32 v24, v0, 10, 1
	v_mov_b32_e32 v9, v25
	v_bfe_u32 v0, v0, 10, 10
	v_lshlrev_b32_e32 v47, 3, v48
	v_mul_hi_u32 v1, s20, v49
	v_dual_mov_b32 v3, v25 :: v_dual_lshlrev_b32 v8, 4, v48
	s_delay_alu instid0(VALU_DEP_4) | instskip(NEXT) | instid1(VALU_DEP_3)
	v_lshl_add_u32 v50, v0, 8, 0x2400
	v_add_nc_u32_e32 v1, v49, v1
	s_wait_kmcnt 0x0
	s_mov_b32 s20, s41
	s_mul_i32 s26, s33, s41
	s_delay_alu instid0(SALU_CYCLE_1) | instskip(SKIP_4) | instid1(VALU_DEP_1)
	s_ashr_i32 s27, s26, 31
	v_lshrrev_b32_e32 v1, s21, v1
	s_ashr_i32 s21, s41, 31
	s_ashr_i32 s41, s40, 31
	s_lshr_b64 s[20:21], s[20:21], 2
	v_mul_lo_u32 v1, v1, s22
	v_mul_u64_e32 v[4:5], s[20:21], v[24:25]
	s_lshr_b64 s[20:21], s[40:41], 2
	s_delay_alu instid0(VALU_DEP_2) | instskip(NEXT) | instid1(VALU_DEP_1)
	v_sub_nc_u32_e32 v2, v49, v1
	v_mul_u64_e32 v[6:7], s[20:21], v[2:3]
	s_mul_i32 s20, s28, s42
	s_delay_alu instid0(SALU_CYCLE_1) | instskip(SKIP_2) | instid1(SALU_CYCLE_1)
	s_ashr_i32 s21, s20, 31
	s_cmp_eq_u64 s[14:15], 0
	s_add_nc_u64 s[4:5], s[4:5], s[20:21]
	s_add_nc_u64 s[4:5], s[4:5], s[26:27]
	s_delay_alu instid0(VALU_DEP_3) | instid1(SALU_CYCLE_1)
	v_lshl_add_u64 v[4:5], v[4:5], 2, s[4:5]
	s_load_b32 s4, s[0:1], 0x40
	s_delay_alu instid0(VALU_DEP_1) | instskip(NEXT) | instid1(VALU_DEP_1)
	v_lshl_add_u64 v[4:5], v[6:7], 2, v[4:5]
	v_add_nc_u64_e32 v[4:5], v[4:5], v[8:9]
	global_load_b128 v[4:7], v[4:5], off
	s_wait_loadcnt 0x0
	s_wait_kmcnt 0x0
	v_fma_mixlo_f16 v1, s4, v4, 0
	v_mov_b32_e32 v4, v7
	s_delay_alu instid0(VALU_DEP_2) | instskip(NEXT) | instid1(VALU_DEP_2)
	v_and_b32_e32 v1, 0xffff, v1
	v_pk_mul_f32 v[4:5], s[4:5], v[4:5] op_sel_hi:[0,1]
	s_delay_alu instid0(VALU_DEP_1) | instskip(SKIP_2) | instid1(VALU_DEP_3)
	v_cvt_pk_f16_f32 v3, v4, v5
	v_fma_mixlo_f16 v4, s4, v6, 0
	v_add_nc_u32_e32 v6, v50, v47
	v_and_b32_e32 v5, 0xffff0000, v3
	s_delay_alu instid0(VALU_DEP_3) | instskip(NEXT) | instid1(VALU_DEP_2)
	v_and_b32_e32 v4, 0xffff, v4
	v_dual_lshlrev_b32 v3, 16, v3 :: v_dual_bitop2_b32 v1, v5, v1 bitop3:0x54
	s_delay_alu instid0(VALU_DEP_1) | instskip(NEXT) | instid1(VALU_DEP_2)
	v_or3_b32 v5, v3, v4, 0
	v_or3_b32 v4, 0, 0, v1
	ds_store_b64 v6, v[4:5]
	s_wait_dscnt 0x0
	s_barrier_signal -1
	s_barrier_wait -1
	s_cbranch_scc1 .LBB46_4
; %bb.3:
	s_load_b32 s4, s[0:1], 0xd0
	s_wait_kmcnt 0x0
	s_mul_i32 s4, s4, s28
	s_delay_alu instid0(SALU_CYCLE_1)
	s_add_co_i32 s4, s4, s10
	s_load_b32 s30, s[14:15], s4 offset:0x0 scale_offset
.LBB46_4:
	s_wait_xcnt 0x0
	s_bfe_u32 s4, ttmp6, 0x40010
	s_and_b32 s5, ttmp7, 0xffff
	s_add_co_i32 s4, s4, 1
	s_bfe_u32 s10, ttmp6, 0x40004
	s_mul_i32 s4, s5, s4
	v_mbcnt_lo_u32_b32 v51, -1, 0
	s_add_co_i32 s10, s10, s4
	s_cmp_eq_u32 s24, 0
	s_cselect_b32 s31, s5, s10
	s_mov_b32 s5, 0
	s_lshl_b32 s4, s31, 6
	s_wait_kmcnt 0x0
	s_cmp_lt_i32 s4, s30
	s_cbranch_scc1 .LBB46_7
; %bb.5:
	v_mbcnt_lo_u32_b32 v3, -1, 0
	s_delay_alu instid0(VALU_DEP_1)
	v_dual_mov_b32 v1, 32 :: v_dual_bitop2_b32 v56, 16, v3 bitop3:0x14
	v_xor_b32_e32 v55, 8, v3
	v_xor_b32_e32 v54, 4, v3
	;; [unrolled: 1-line block ×3, first 2 shown]
	v_dual_lshlrev_b32 v25, 2, v48 :: v_dual_bitop2_b32 v52, 1, v3 bitop3:0x14
	s_and_not1_b32 vcc_lo, exec_lo, s5
	s_cbranch_vccz .LBB46_8
; %bb.6:
	v_dual_mov_b32 v10, 0 :: v_dual_mov_b32 v72, 0
	v_dual_mov_b32 v46, 0xfeffffff :: v_dual_mov_b32 v11, 0
	s_branch .LBB46_11
.LBB46_7:
                                        ; implicit-def: $vgpr3
                                        ; implicit-def: $vgpr1
                                        ; implicit-def: $vgpr56
                                        ; implicit-def: $vgpr55
                                        ; implicit-def: $vgpr54
                                        ; implicit-def: $vgpr53
                                        ; implicit-def: $vgpr52
	v_lshlrev_b32_e32 v25, 2, v48
.LBB46_8:
	s_clause 0x1
	s_load_b64 s[14:15], s[0:1], 0x8c
	s_load_b128 s[24:27], s[0:1], 0x98
	s_mul_f32 s2, s2, 0x4f7ffffe
	s_sub_co_i32 s5, 0, s38
	s_mov_b32 s11, s3
	s_ashr_i32 s36, s33, 31
	s_cvt_u32_f32 s10, s2
	s_abs_i32 s2, s33
	s_ashr_i32 s39, s29, 31
	s_load_b64 s[20:21], s[0:1], 0xa8
	s_mul_i32 s5, s5, s10
	s_ashr_i32 s29, s28, 31
	s_mul_hi_u32 s5, s10, s5
	s_xor_b32 s36, s36, s39
	s_add_co_i32 s10, s10, s5
	s_ashr_i32 s5, s37, 1
	s_mul_u64 s[10:11], s[2:3], s[10:11]
	v_dual_lshrrev_b32 v1, 3, v48 :: v_dual_bitop2_b32 v4, 28, v25 bitop3:0x40
	s_mul_i32 s3, s11, s38
	s_wait_kmcnt 0x0
	s_ashr_i32 s14, s14, 2
	s_sub_co_i32 s2, s2, s3
	s_ashr_i32 s10, s26, 2
	s_add_co_i32 s3, s11, 1
	s_sub_co_i32 s26, s2, s38
	s_cmp_ge_u32 s2, s38
	v_lshl_add_u32 v1, v0, 2, v1
	s_cselect_b32 s3, s3, s11
	s_cselect_b32 s2, s26, s2
	s_add_co_i32 s11, s3, 1
	s_cmp_ge_u32 s2, s38
	v_mul_lo_u32 v26, s14, v1
	s_cselect_b32 s2, s11, s3
	v_dual_lshlrev_b32 v5, 2, v4 :: v_dual_mov_b32 v31, 0
	s_xor_b32 s2, s2, s36
	v_lshl_add_u32 v61, v0, 7, 0x2800
	s_sub_co_i32 s11, s2, s36
	s_mul_u64 s[2:3], s[24:25], s[28:29]
	s_mul_i32 s24, s11, s15
	s_add_nc_u64 s[2:3], s[6:7], s[2:3]
	s_ashr_i32 s25, s24, 31
	v_mad_u32_u24 v57, 0x90, v1, v5
	s_add_nc_u64 s[6:7], s[2:3], s[24:25]
	s_mul_u64 s[2:3], s[20:21], s[28:29]
	v_mad_u32 v64, v2, s5, v48
	s_add_nc_u64 s[2:3], s[8:9], s[2:3]
	s_mul_i32 s8, s11, s27
	v_dual_mov_b32 v39, v31 :: v_dual_add_nc_u32 v58, 0x900, v57
	s_ashr_i32 s9, s8, 31
	v_add_nc_u32_e32 v59, 0x1200, v57
	s_add_nc_u64 s[8:9], s[2:3], s[8:9]
	s_lshl_b32 s2, s14, 4
	s_delay_alu instid0(SALU_CYCLE_1) | instskip(SKIP_2) | instid1(VALU_DEP_3)
	v_dual_lshrrev_b32 v3, 4, v48 :: v_dual_add_nc_u32 v28, s2, v26
	v_dual_ashrrev_i32 v27, 31, v26 :: v_dual_bitop2_b32 v8, 60, v25 bitop3:0x40
	v_add_nc_u32_e32 v60, 0x1b00, v57
	v_lshl_add_u32 v3, v0, 1, v3
	s_delay_alu instid0(VALU_DEP_4) | instskip(SKIP_2) | instid1(VALU_DEP_4)
	v_dual_add_nc_u32 v32, s2, v28 :: v_dual_ashrrev_i32 v29, 31, v28
	v_mul_u32_u24_e32 v62, 0x90, v48
	v_lshl_add_u32 v65, v48, 1, v61
	v_mul_lo_u32 v6, s10, v3
	s_delay_alu instid0(VALU_DEP_4)
	v_dual_ashrrev_i32 v33, 31, v32 :: v_dual_add_nc_u32 v34, s2, v32
	s_lshl_b32 s2, s10, 3
	v_lshlrev_b32_e32 v1, 2, v8
	v_dual_lshlrev_b32 v30, 2, v4 :: v_dual_bitop2_b32 v56, 16, v51 bitop3:0x14
	v_dual_lshlrev_b32 v38, 2, v8 :: v_dual_bitop2_b32 v55, 8, v51 bitop3:0x14
	v_xor_b32_e32 v54, 4, v51
	v_dual_add_nc_u32 v10, s2, v6 :: v_dual_bitop2_b32 v53, 2, v51 bitop3:0x14
	v_lshl_or_b32 v63, v3, 8, v1
	v_xor_b32_e32 v52, 1, v51
	v_add_nc_u32_e32 v69, 0x800, v47
	v_add_nc_u32_e32 v70, 0x1000, v47
	v_dual_add_nc_u32 v0, s2, v10 :: v_dual_ashrrev_i32 v11, 31, v10
	v_ashrrev_i32_e32 v35, 31, v34
	v_dual_mov_b32 v46, 0xfeffffff :: v_dual_ashrrev_i32 v7, 31, v6
	s_delay_alu instid0(VALU_DEP_3) | instskip(NEXT) | instid1(VALU_DEP_4)
	v_dual_add_nc_u32 v2, s2, v0 :: v_dual_ashrrev_i32 v1, 31, v0
	v_lshlrev_b64_e32 v[40:41], 2, v[10:11]
	s_delay_alu instid0(VALU_DEP_3) | instskip(SKIP_1) | instid1(VALU_DEP_4)
	v_lshlrev_b64_e32 v[36:37], 2, v[6:7]
	v_add_nc_u32_e32 v66, 0x800, v63
	v_ashrrev_i32_e32 v3, 31, v2
	v_lshlrev_b64_e32 v[42:43], 2, v[0:1]
	v_dual_mov_b32 v72, v31 :: v_dual_add_nc_u32 v67, 0x1000, v63
	v_add_nc_u32_e32 v68, 0x1800, v63
	s_delay_alu instid0(VALU_DEP_4)
	v_lshlrev_b64_e32 v[44:45], 2, v[2:3]
	v_add_nc_u32_e32 v71, 0x1800, v47
	v_dual_mov_b32 v11, v31 :: v_dual_mov_b32 v10, v31
	s_ashr_i32 s15, s14, 31
	s_ashr_i32 s11, s10, 31
	s_add_nc_u64 s[20:21], s[0:1], 0xd0
.LBB46_9:                               ; =>This Inner Loop Header: Depth=1
	v_cmp_gt_i32_e32 vcc_lo, 32, v56
	s_ashr_i32 s5, s4, 31
	v_dual_mov_b32 v14, v46 :: v_dual_add_nc_u32 v15, s4, v64
	s_mul_u64 s[24:25], s[4:5], s[14:15]
	v_cndmask_b32_e32 v0, v51, v56, vcc_lo
	v_cmp_gt_i32_e32 vcc_lo, 32, v55
	s_lshl_b64 s[24:25], s[24:25], 2
	v_dual_mov_b32 v73, 0 :: v_dual_mov_b32 v74, 0
	s_add_nc_u64 s[38:39], s[6:7], s[24:25]
	v_cndmask_b32_e32 v1, v51, v55, vcc_lo
	v_cmp_gt_i32_e32 vcc_lo, 32, v54
	v_lshl_add_u64 v[6:7], v[34:35], 2, s[38:39]
	s_or_b32 s2, s4, 32
	s_mul_u64 s[26:27], s[4:5], s[10:11]
	s_ashr_i32 s3, s2, 31
	v_cndmask_b32_e32 v2, v51, v54, vcc_lo
	v_cmp_gt_i32_e32 vcc_lo, 32, v53
	v_add_nc_u64_e32 v[20:21], v[6:7], v[30:31]
	s_lshl_b64 s[26:27], s[26:27], 2
	s_mul_u64 s[36:37], s[2:3], s[10:11]
	s_add_nc_u64 s[2:3], s[8:9], s[26:27]
	v_cndmask_b32_e32 v3, v51, v53, vcc_lo
	v_cmp_gt_i32_e32 vcc_lo, 32, v52
	v_dual_lshlrev_b32 v46, 2, v0 :: v_dual_lshlrev_b32 v22, 2, v2
	v_lshlrev_b32_e32 v23, 2, v1
	v_lshl_add_u64 v[0:1], v[26:27], 2, s[38:39]
	v_dual_cndmask_b32 v4, v51, v52 :: v_dual_lshlrev_b32 v19, 2, v3
	v_lshl_add_u64 v[2:3], v[28:29], 2, s[38:39]
	s_lshl_b64 s[24:25], s[36:37], 2
	s_delay_alu instid0(VALU_DEP_3) | instskip(NEXT) | instid1(VALU_DEP_3)
	v_add_nc_u64_e32 v[8:9], v[0:1], v[30:31]
	v_lshlrev_b32_e32 v18, 2, v4
	v_lshl_add_u64 v[4:5], v[32:33], 2, s[38:39]
	v_add_nc_u64_e32 v[12:13], v[2:3], v[30:31]
	s_delay_alu instid0(VALU_DEP_2)
	v_add_nc_u64_e32 v[16:17], v[4:5], v[30:31]
	s_clause 0x2
	global_load_b128 v[0:3], v[8:9], off
	global_load_b128 v[4:7], v[12:13], off
	;; [unrolled: 1-line block ×3, first 2 shown]
	s_wait_loadcnt 0x2
	ds_store_b128 v57, v[0:3]
	global_load_b128 v[0:3], v[20:21], off
	s_wait_loadcnt 0x2
	ds_store_b128 v58, v[4:7]
	s_wait_loadcnt 0x1
	ds_store_b128 v59, v[76:79]
	;; [unrolled: 2-line block ×3, first 2 shown]
	s_wait_dscnt 0x0
	s_barrier_signal -1
	s_barrier_wait -1
	ds_load_b128 v[0:3], v62
	ds_load_b128 v[4:7], v50
	ds_load_b128 v[76:79], v62 offset:4608
	s_wait_dscnt 0x1
	;;#ASMSTART
	v_dot2_f32_f16 v73, v0, v4, v73
	;;#ASMEND
	;;#ASMSTART
	v_dot2_f32_f16 v73, v1, v5, v73
	;;#ASMEND
	;;#ASMSTART
	v_dot2_f32_f16 v73, v2, v6, v73
	;;#ASMEND
	;;#ASMSTART
	v_dot2_f32_f16 v73, v3, v7, v73
	;;#ASMEND
	s_wait_dscnt 0x0
	;;#ASMSTART
	v_dot2_f32_f16 v74, v76, v4, v74
	;;#ASMEND
	;;#ASMSTART
	v_dot2_f32_f16 v74, v77, v5, v74
	;;#ASMEND
	;;#ASMSTART
	v_dot2_f32_f16 v74, v78, v6, v74
	;;#ASMEND
	;;#ASMSTART
	v_dot2_f32_f16 v74, v79, v7, v74
	;;#ASMEND
	ds_load_b128 v[0:3], v62 offset:16
	ds_load_b128 v[4:7], v50 offset:16
	ds_load_b128 v[76:79], v62 offset:4624
	s_wait_dscnt 0x1
	;;#ASMSTART
	v_dot2_f32_f16 v73, v0, v4, v73
	;;#ASMEND
	;;#ASMSTART
	v_dot2_f32_f16 v73, v1, v5, v73
	;;#ASMEND
	;;#ASMSTART
	v_dot2_f32_f16 v73, v2, v6, v73
	;;#ASMEND
	;;#ASMSTART
	v_dot2_f32_f16 v73, v3, v7, v73
	;;#ASMEND
	s_wait_dscnt 0x0
	;;#ASMSTART
	v_dot2_f32_f16 v74, v76, v4, v74
	;;#ASMEND
	;;#ASMSTART
	v_dot2_f32_f16 v74, v77, v5, v74
	;;#ASMEND
	;;#ASMSTART
	v_dot2_f32_f16 v74, v78, v6, v74
	;;#ASMEND
	;;#ASMSTART
	v_dot2_f32_f16 v74, v79, v7, v74
	;;#ASMEND
	ds_load_b128 v[0:3], v62 offset:32
	ds_load_b128 v[4:7], v50 offset:32
	;; [unrolled: 29-line block ×7, first 2 shown]
	ds_load_b128 v[76:79], v62 offset:4720
	s_wait_dscnt 0x1
	;;#ASMSTART
	v_dot2_f32_f16 v73, v0, v4, v73
	;;#ASMEND
	;;#ASMSTART
	v_dot2_f32_f16 v73, v1, v5, v73
	;;#ASMEND
	;; [unrolled: 3-line block ×4, first 2 shown]
	s_wait_dscnt 0x0
	;;#ASMSTART
	v_dot2_f32_f16 v74, v76, v4, v74
	;;#ASMEND
	;;#ASMSTART
	v_dot2_f32_f16 v74, v77, v5, v74
	;;#ASMEND
	;;#ASMSTART
	v_dot2_f32_f16 v74, v78, v6, v74
	;;#ASMEND
	;;#ASMSTART
	v_dot2_f32_f16 v74, v79, v7, v74
	;;#ASMEND
	s_barrier_signal -1
	s_barrier_wait -1
	s_clause 0x1
	global_load_b128 v[76:79], v[8:9], off offset:128
	global_load_b128 v[80:83], v[12:13], off offset:128
	v_add_nc_u64_e32 v[4:5], s[2:3], v[42:43]
	v_add_nc_u64_e32 v[6:7], s[2:3], v[44:45]
	;; [unrolled: 1-line block ×4, first 2 shown]
	s_add_nc_u64 s[2:3], s[8:9], s[24:25]
	s_wait_xcnt 0x1
	v_add_nc_u64_e32 v[8:9], s[2:3], v[36:37]
	s_wait_xcnt 0x0
	v_add_nc_u64_e32 v[12:13], s[2:3], v[40:41]
	v_add_nc_u64_e32 v[0:1], v[0:1], v[38:39]
	s_delay_alu instid0(VALU_DEP_3) | instskip(NEXT) | instid1(VALU_DEP_3)
	v_add_nc_u64_e32 v[8:9], v[8:9], v[38:39]
	v_add_nc_u64_e32 v[12:13], v[12:13], v[38:39]
	s_wait_loadcnt 0x1
	ds_store_b128 v57, v[76:79]
	s_clause 0x1
	global_load_b128 v[76:79], v[16:17], off offset:128
	global_load_b128 v[84:87], v[20:21], off offset:128
	s_wait_xcnt 0x1
	v_add_nc_u64_e32 v[16:17], s[2:3], v[42:43]
	s_wait_xcnt 0x0
	v_add_nc_u64_e32 v[20:21], s[2:3], v[44:45]
	s_wait_loadcnt 0x2
	ds_store_b128 v58, v[80:83]
	s_wait_loadcnt 0x1
	ds_store_b128 v59, v[76:79]
	;; [unrolled: 2-line block ×3, first 2 shown]
	s_wait_dscnt 0x0
	s_barrier_signal -1
	s_barrier_wait -1
	ds_load_b128 v[76:79], v62
	ds_load_b128 v[80:83], v50 offset:128
	ds_load_b128 v[84:87], v62 offset:4608
	s_wait_dscnt 0x1
	;;#ASMSTART
	v_dot2_f32_f16 v73, v76, v80, v73
	;;#ASMEND
	;;#ASMSTART
	v_dot2_f32_f16 v73, v77, v81, v73
	;;#ASMEND
	;;#ASMSTART
	v_dot2_f32_f16 v73, v78, v82, v73
	;;#ASMEND
	;;#ASMSTART
	v_dot2_f32_f16 v73, v79, v83, v73
	;;#ASMEND
	s_wait_dscnt 0x0
	;;#ASMSTART
	v_dot2_f32_f16 v74, v84, v80, v74
	;;#ASMEND
	;;#ASMSTART
	v_dot2_f32_f16 v74, v85, v81, v74
	;;#ASMEND
	;;#ASMSTART
	v_dot2_f32_f16 v74, v86, v82, v74
	;;#ASMEND
	;;#ASMSTART
	v_dot2_f32_f16 v74, v87, v83, v74
	;;#ASMEND
	ds_load_b128 v[76:79], v62 offset:16
	ds_load_b128 v[80:83], v50 offset:144
	ds_load_b128 v[84:87], v62 offset:4624
	s_wait_dscnt 0x1
	;;#ASMSTART
	v_dot2_f32_f16 v73, v76, v80, v73
	;;#ASMEND
	;;#ASMSTART
	v_dot2_f32_f16 v73, v77, v81, v73
	;;#ASMEND
	;;#ASMSTART
	v_dot2_f32_f16 v73, v78, v82, v73
	;;#ASMEND
	;;#ASMSTART
	v_dot2_f32_f16 v73, v79, v83, v73
	;;#ASMEND
	s_wait_dscnt 0x0
	;;#ASMSTART
	v_dot2_f32_f16 v74, v84, v80, v74
	;;#ASMEND
	;;#ASMSTART
	v_dot2_f32_f16 v74, v85, v81, v74
	;;#ASMEND
	;;#ASMSTART
	v_dot2_f32_f16 v74, v86, v82, v74
	;;#ASMEND
	;;#ASMSTART
	v_dot2_f32_f16 v74, v87, v83, v74
	;;#ASMEND
	ds_load_b128 v[76:79], v62 offset:32
	;; [unrolled: 29-line block ×7, first 2 shown]
	ds_load_b128 v[80:83], v50 offset:240
	ds_load_b128 v[84:87], v62 offset:4720
	s_wait_dscnt 0x1
	;;#ASMSTART
	v_dot2_f32_f16 v73, v76, v80, v73
	;;#ASMEND
	;;#ASMSTART
	v_dot2_f32_f16 v73, v77, v81, v73
	;;#ASMEND
	;; [unrolled: 3-line block ×4, first 2 shown]
	s_wait_dscnt 0x0
	;;#ASMSTART
	v_dot2_f32_f16 v74, v84, v80, v74
	;;#ASMEND
	;;#ASMSTART
	v_dot2_f32_f16 v74, v85, v81, v74
	;;#ASMEND
	;; [unrolled: 3-line block ×4, first 2 shown]
	v_add_nc_u64_e32 v[78:79], v[4:5], v[38:39]
	s_clause 0x1
	global_load_u16 v4, v15, s[34:35] scale_offset
	global_load_u16 v5, v15, s[34:35] offset:64 scale_offset
	v_add_nc_u64_e32 v[80:81], v[6:7], v[38:39]
	v_add_nc_u64_e32 v[76:77], v[2:3], v[38:39]
	s_wait_loadcnt 0x0
	s_barrier_signal -1
	s_barrier_wait -1
	global_load_b128 v[0:3], v[0:1], off
	v_add_nc_u64_e32 v[16:17], v[16:17], v[38:39]
	v_add_nc_u64_e32 v[20:21], v[20:21], v[38:39]
	global_load_b128 v[80:83], v[80:81], off
	v_cvt_f32_f16_e32 v4, v4
	v_cvt_f32_f16_e32 v5, v5
	s_delay_alu instid0(VALU_DEP_1) | instskip(NEXT) | instid1(VALU_DEP_1)
	v_dual_add_f32 v4, v73, v4 :: v_dual_add_f32 v5, v74, v5
	v_dual_add_f32 v6, 0x40051340, v4 :: v_dual_add_f32 v7, 0x40051340, v5
	s_delay_alu instid0(VALU_DEP_1) | instskip(SKIP_3) | instid1(VALU_DEP_1)
	v_max3_num_f32 v6, v14, v6, v7
	ds_bpermute_b32 v7, v46, v6
	s_wait_dscnt 0x0
	v_max_num_f32_e32 v7, v7, v7
	v_max_num_f32_e32 v6, v6, v7
	ds_bpermute_b32 v7, v23, v6
	s_wait_dscnt 0x0
	v_max_num_f32_e32 v7, v7, v7
	s_delay_alu instid0(VALU_DEP_1) | instskip(SKIP_3) | instid1(VALU_DEP_1)
	v_max_num_f32_e32 v6, v6, v7
	ds_bpermute_b32 v7, v22, v6
	s_wait_dscnt 0x0
	v_max_num_f32_e32 v7, v7, v7
	v_max_num_f32_e32 v6, v6, v7
	ds_bpermute_b32 v7, v19, v6
	s_wait_dscnt 0x0
	v_max_num_f32_e32 v7, v7, v7
	s_delay_alu instid0(VALU_DEP_1) | instskip(SKIP_3) | instid1(VALU_DEP_1)
	v_max_num_f32_e32 v6, v6, v7
	ds_bpermute_b32 v7, v18, v6
	s_wait_dscnt 0x0
	v_max_num_f32_e32 v7, v7, v7
	v_max_num_f32_e32 v46, v6, v7
	s_delay_alu instid0(VALU_DEP_1) | instskip(NEXT) | instid1(VALU_DEP_1)
	v_sub_f32_e32 v18, v5, v46
	v_mul_f32_e32 v5, 0x3fb8aa3b, v18
	s_wait_xcnt 0x2
	v_dual_sub_f32 v14, v14, v46 :: v_dual_sub_f32 v15, v4, v46
	v_cmp_ngt_f32_e32 vcc_lo, 0xc2ce8ed0, v18
	s_delay_alu instid0(VALU_DEP_3) | instskip(SKIP_1) | instid1(VALU_DEP_4)
	v_fma_f32 v22, 0x3fb8aa3b, v18, -v5
	v_rndne_f32_e32 v23, v5
	v_mul_f32_e32 v6, 0x3fb8aa3b, v14
	v_cmp_ngt_f32_e64 s2, 0xc2ce8ed0, v14
	v_cmp_ngt_f32_e64 s3, 0xc2ce8ed0, v15
	s_delay_alu instid0(VALU_DEP_4) | instskip(NEXT) | instid1(VALU_DEP_4)
	v_dual_fmac_f32 v22, 0x32a5705f, v18 :: v_dual_sub_f32 v5, v5, v23
	v_rndne_f32_e32 v73, v6
	v_mul_f32_e32 v4, 0x3fb8aa3b, v15
	v_cvt_i32_f32_e32 v23, v23
	s_delay_alu instid0(VALU_DEP_3) | instskip(NEXT) | instid1(VALU_DEP_3)
	v_dual_add_f32 v22, v5, v22 :: v_dual_sub_f32 v5, v6, v73
	v_fma_f32 v7, 0x3fb8aa3b, v15, -v4
	v_rndne_f32_e32 v19, v4
	v_cvt_i32_f32_e32 v73, v73
	s_delay_alu instid0(VALU_DEP_4) | instskip(NEXT) | instid1(VALU_DEP_2)
	v_exp_f32_e32 v22, v22
	v_sub_f32_e32 v4, v4, v19
	s_delay_alu instid0(TRANS32_DEP_1) | instskip(NEXT) | instid1(VALU_DEP_1)
	v_ldexp_f32 v22, v22, v23
	v_dual_fmac_f32 v7, 0x32a5705f, v15 :: v_dual_cndmask_b32 v22, 0, v22
	s_delay_alu instid0(VALU_DEP_1) | instskip(SKIP_3) | instid1(VALU_DEP_3)
	v_add_f32_e32 v4, v4, v7
	v_fma_f32 v7, 0x3fb8aa3b, v14, -v6
	v_cvt_i32_f32_e32 v6, v19
	v_cmp_nlt_f32_e32 vcc_lo, 0x42b17218, v18
	v_fmac_f32_e32 v7, 0x32a5705f, v14
	v_cndmask_b32_e32 v75, 0x7f800000, v22, vcc_lo
	s_delay_alu instid0(VALU_DEP_2) | instskip(SKIP_1) | instid1(VALU_DEP_1)
	v_add_f32_e32 v19, v5, v7
	v_exp_f32_e32 v4, v4
	v_exp_f32_e32 v19, v19
	s_delay_alu instid0(TRANS32_DEP_2)
	v_ldexp_f32 v74, v4, v6
	s_clause 0x1
	global_load_b128 v[4:7], v[76:77], off
	global_load_b128 v[76:79], v[78:79], off
	v_ldexp_f32 v19, v19, v73
	v_cndmask_b32_e64 v23, 0, v74, s3
	v_cmp_nlt_f32_e64 s3, 0x42b17218, v15
	v_cvt_f16_f32_e32 v15, v75
	s_delay_alu instid0(VALU_DEP_4) | instskip(SKIP_1) | instid1(VALU_DEP_4)
	v_cndmask_b32_e64 v18, 0, v19, s2
	v_cmp_nlt_f32_e64 s2, 0x42b17218, v14
	v_cndmask_b32_e64 v74, 0x7f800000, v23, s3
	ds_store_b16 v65, v15 offset:64
	v_cndmask_b32_e64 v73, 0x7f800000, v18, s2
	v_cvt_f16_f32_e32 v14, v74
	ds_store_b16 v65, v14
	v_cvt_f16_f32_e32 v14, v73
	s_wait_loadcnt 0x3
	ds_store_b128 v63, v[0:3]
	s_wait_loadcnt 0x1
	ds_store_b128 v66, v[4:7]
	;; [unrolled: 2-line block ×3, first 2 shown]
	ds_store_b128 v68, v[80:83]
	s_wait_dscnt 0x0
	s_barrier_signal -1
	s_barrier_wait -1
	ds_load_b128 v[0:3], v61
	ds_load_2addr_b64 v[4:7], v47 offset1:32
	v_and_b32_e32 v14, 0xffff, v14
	ds_load_2addr_b64 v[80:83], v47 offset0:64 offset1:96
	ds_load_b128 v[76:79], v61 offset:16
	ds_load_b128 v[84:87], v61 offset:32
	v_mul_u32_u24_e32 v14, 0x10001, v14
	s_wait_dscnt 0x4
	v_and_b32_e32 v15, 0xffff, v0
	v_lshrrev_b32_e32 v0, 16, v0
	s_delay_alu instid0(VALU_DEP_2) | instskip(NEXT) | instid1(VALU_DEP_2)
	v_mul_u32_u24_e32 v15, 0x10001, v15
	v_mul_u32_u24_e32 v0, 0x10001, v0
	s_wait_dscnt 0x3
	s_delay_alu instid0(VALU_DEP_2) | instskip(SKIP_1) | instid1(VALU_DEP_2)
	v_pk_mul_f16 v4, v4, v15
	v_pk_mul_f16 v5, v5, v15
	v_pk_fma_f16 v4, v11, v14, v4
	s_delay_alu instid0(VALU_DEP_2) | instskip(SKIP_2) | instid1(VALU_DEP_4)
	v_pk_fma_f16 v5, v10, v14, v5
	v_and_b32_e32 v11, 0xffff, v1
	v_lshrrev_b32_e32 v1, 16, v1
	v_pk_fma_f16 v10, v6, v0, v4
	s_delay_alu instid0(VALU_DEP_4) | instskip(SKIP_4) | instid1(VALU_DEP_2)
	v_pk_fma_f16 v0, v7, v0, v5
	ds_load_2addr_b64 v[4:7], v47 offset0:128 offset1:160
	v_mul_u32_u24_e32 v11, 0x10001, v11
	v_mul_u32_u24_e32 v1, 0x10001, v1
	s_wait_dscnt 0x3
	v_pk_fma_f16 v10, v80, v11, v10
	v_pk_fma_f16 v0, v81, v11, v0
	s_delay_alu instid0(VALU_DEP_2) | instskip(NEXT) | instid1(VALU_DEP_2)
	v_pk_fma_f16 v10, v82, v1, v10
	v_pk_fma_f16 v0, v83, v1, v0
	v_and_b32_e32 v1, 0xffff, v2
	ds_load_2addr_b64 v[80:83], v47 offset0:192 offset1:224
	v_mul_u32_u24_e32 v1, 0x10001, v1
	s_wait_dscnt 0x1
	s_delay_alu instid0(VALU_DEP_1) | instskip(SKIP_2) | instid1(VALU_DEP_1)
	v_pk_fma_f16 v4, v4, v1, v10
	v_pk_fma_f16 v0, v5, v1, v0
	v_dual_lshrrev_b32 v1, 16, v2 :: v_dual_lshrrev_b32 v10, 16, v3
	v_mul_u32_u24_e32 v1, 0x10001, v1
	s_delay_alu instid0(VALU_DEP_2) | instskip(NEXT) | instid1(VALU_DEP_2)
	v_mul_u32_u24_e32 v10, 0x10001, v10
	v_pk_fma_f16 v2, v6, v1, v4
	v_pk_fma_f16 v0, v7, v1, v0
	v_and_b32_e32 v1, 0xffff, v3
	ds_load_2addr_b64 v[4:7], v69 offset1:32
	v_mul_u32_u24_e32 v1, 0x10001, v1
	s_wait_dscnt 0x1
	s_delay_alu instid0(VALU_DEP_1)
	v_pk_fma_f16 v11, v80, v1, v2
	v_pk_fma_f16 v14, v81, v1, v0
	ds_load_2addr_b64 v[0:3], v69 offset0:64 offset1:96
	v_pk_fma_f16 v11, v82, v10, v11
	v_pk_fma_f16 v10, v83, v10, v14
	v_and_b32_e32 v14, 0xffff, v76
	ds_load_2addr_b64 v[80:83], v69 offset0:128 offset1:160
	v_mul_u32_u24_e32 v14, 0x10001, v14
	s_wait_dscnt 0x2
	s_delay_alu instid0(VALU_DEP_1) | instskip(SKIP_3) | instid1(VALU_DEP_3)
	v_pk_fma_f16 v5, v5, v14, v10
	v_lshrrev_b32_e32 v10, 16, v76
	v_pk_fma_f16 v4, v4, v14, v11
	v_and_b32_e32 v14, 0xffff, v77
	v_mul_u32_u24_e32 v10, 0x10001, v10
	s_delay_alu instid0(VALU_DEP_2) | instskip(NEXT) | instid1(VALU_DEP_2)
	v_mul_u32_u24_e32 v14, 0x10001, v14
	v_pk_fma_f16 v11, v6, v10, v4
	v_pk_fma_f16 v10, v7, v10, v5
	ds_load_2addr_b64 v[4:7], v69 offset0:192 offset1:224
	s_wait_dscnt 0x2
	v_pk_fma_f16 v0, v0, v14, v11
	v_pk_fma_f16 v1, v1, v14, v10
	v_lshrrev_b32_e32 v10, 16, v77
	v_and_b32_e32 v14, 0xffff, v85
	s_delay_alu instid0(VALU_DEP_2) | instskip(NEXT) | instid1(VALU_DEP_2)
	v_mul_u32_u24_e32 v10, 0x10001, v10
	v_mul_u32_u24_e32 v14, 0x10001, v14
	s_delay_alu instid0(VALU_DEP_2) | instskip(SKIP_3) | instid1(VALU_DEP_3)
	v_pk_fma_f16 v0, v2, v10, v0
	v_and_b32_e32 v2, 0xffff, v78
	v_pk_fma_f16 v1, v3, v10, v1
	v_lshrrev_b32_e32 v3, 16, v79
	v_mul_u32_u24_e32 v2, 0x10001, v2
	s_wait_dscnt 0x1
	s_delay_alu instid0(VALU_DEP_1) | instskip(SKIP_2) | instid1(VALU_DEP_1)
	v_pk_fma_f16 v0, v80, v2, v0
	v_pk_fma_f16 v1, v81, v2, v1
	v_lshrrev_b32_e32 v2, 16, v78
	v_mul_u32_u24_e32 v2, 0x10001, v2
	s_delay_alu instid0(VALU_DEP_1) | instskip(NEXT) | instid1(VALU_DEP_4)
	v_pk_fma_f16 v0, v82, v2, v0
	v_pk_fma_f16 v1, v83, v2, v1
	v_and_b32_e32 v2, 0xffff, v79
	ds_load_2addr_b64 v[80:83], v70 offset1:32
	ds_load_2addr_b64 v[76:79], v70 offset0:64 offset1:96
	v_mul_u32_u24_e32 v2, 0x10001, v2
	s_wait_dscnt 0x2
	s_delay_alu instid0(VALU_DEP_1) | instskip(SKIP_2) | instid1(VALU_DEP_1)
	v_pk_fma_f16 v0, v4, v2, v0
	v_pk_fma_f16 v1, v5, v2, v1
	v_mul_u32_u24_e32 v2, 0x10001, v3
	v_pk_fma_f16 v4, v6, v2, v0
	v_and_b32_e32 v6, 0xffff, v84
	s_delay_alu instid0(VALU_DEP_4) | instskip(SKIP_4) | instid1(VALU_DEP_1)
	v_pk_fma_f16 v5, v7, v2, v1
	ds_load_b128 v[0:3], v61 offset:48
	v_lshrrev_b32_e32 v15, 16, v87
	v_mul_u32_u24_e32 v6, 0x10001, v6
	s_wait_dscnt 0x2
	v_pk_fma_f16 v4, v80, v6, v4
	v_pk_fma_f16 v5, v81, v6, v5
	v_lshrrev_b32_e32 v6, 16, v84
	s_delay_alu instid0(VALU_DEP_1) | instskip(NEXT) | instid1(VALU_DEP_1)
	v_mul_u32_u24_e32 v6, 0x10001, v6
	v_pk_fma_f16 v10, v82, v6, v4
	s_delay_alu instid0(VALU_DEP_4)
	v_pk_fma_f16 v11, v83, v6, v5
	ds_load_2addr_b64 v[4:7], v70 offset0:128 offset1:160
	ds_load_2addr_b64 v[80:83], v71 offset0:64 offset1:96
	s_wait_dscnt 0x3
	v_pk_fma_f16 v10, v76, v14, v10
	v_pk_fma_f16 v11, v77, v14, v11
	v_lshrrev_b32_e32 v14, 16, v85
	s_delay_alu instid0(VALU_DEP_1) | instskip(NEXT) | instid1(VALU_DEP_1)
	v_mul_u32_u24_e32 v14, 0x10001, v14
	v_pk_fma_f16 v10, v78, v14, v10
	s_delay_alu instid0(VALU_DEP_4) | instskip(SKIP_4) | instid1(VALU_DEP_1)
	v_pk_fma_f16 v11, v79, v14, v11
	v_and_b32_e32 v14, 0xffff, v86
	ds_load_2addr_b64 v[76:79], v70 offset0:192 offset1:224
	v_mul_u32_u24_e32 v14, 0x10001, v14
	s_wait_dscnt 0x2
	v_pk_fma_f16 v4, v4, v14, v10
	v_lshrrev_b32_e32 v10, 16, v86
	v_pk_fma_f16 v5, v5, v14, v11
	v_and_b32_e32 v14, 0xffff, v87
	s_delay_alu instid0(VALU_DEP_3) | instskip(NEXT) | instid1(VALU_DEP_2)
	v_mul_u32_u24_e32 v10, 0x10001, v10
	v_mul_u32_u24_e32 v14, 0x10001, v14
	s_delay_alu instid0(VALU_DEP_2)
	v_pk_fma_f16 v11, v6, v10, v4
	v_pk_fma_f16 v10, v7, v10, v5
	ds_load_2addr_b64 v[4:7], v71 offset1:32
	s_wait_dscnt 0x1
	v_pk_fma_f16 v11, v76, v14, v11
	v_pk_fma_f16 v10, v77, v14, v10
	v_mul_u32_u24_e32 v14, 0x10001, v15
	s_delay_alu instid0(VALU_DEP_1) | instskip(NEXT) | instid1(VALU_DEP_3)
	v_pk_fma_f16 v11, v78, v14, v11
	v_pk_fma_f16 v10, v79, v14, v10
	v_and_b32_e32 v14, 0xffff, v0
	v_lshrrev_b32_e32 v0, 16, v0
	ds_load_2addr_b64 v[76:79], v71 offset0:128 offset1:160
	v_mul_u32_u24_e32 v14, 0x10001, v14
	v_mul_u32_u24_e32 v0, 0x10001, v0
	s_wait_dscnt 0x1
	s_delay_alu instid0(VALU_DEP_2) | instskip(SKIP_3) | instid1(VALU_DEP_4)
	v_pk_fma_f16 v4, v4, v14, v11
	v_pk_fma_f16 v5, v5, v14, v10
	v_and_b32_e32 v11, 0xffff, v1
	v_lshrrev_b32_e32 v1, 16, v1
	v_pk_fma_f16 v10, v6, v0, v4
	s_delay_alu instid0(VALU_DEP_4) | instskip(NEXT) | instid1(VALU_DEP_4)
	v_pk_fma_f16 v0, v7, v0, v5
	v_mul_u32_u24_e32 v11, 0x10001, v11
	s_delay_alu instid0(VALU_DEP_4)
	v_mul_u32_u24_e32 v1, 0x10001, v1
	ds_load_2addr_b64 v[4:7], v71 offset0:192 offset1:224
	s_wait_dscnt 0x0
	s_barrier_signal -1
	v_pk_fma_f16 v10, v80, v11, v10
	v_pk_fma_f16 v0, v81, v11, v0
	s_barrier_wait -1
	s_delay_alu instid0(VALU_DEP_2) | instskip(NEXT) | instid1(VALU_DEP_2)
	v_pk_fma_f16 v18, v82, v1, v10
	v_pk_fma_f16 v0, v83, v1, v0
	v_and_b32_e32 v1, 0xffff, v2
	s_clause 0x1
	global_load_b128 v[8:11], v[8:9], off
	global_load_b128 v[12:15], v[12:13], off
	v_mul_u32_u24_e32 v1, 0x10001, v1
	s_delay_alu instid0(VALU_DEP_1) | instskip(SKIP_3) | instid1(VALU_DEP_2)
	v_pk_fma_f16 v18, v76, v1, v18
	v_pk_fma_f16 v0, v77, v1, v0
	v_dual_mov_b32 v76, v72 :: v_dual_lshrrev_b32 v1, 16, v2
	v_add_f32_e32 v72, v74, v75
	v_mul_u32_u24_e32 v1, 0x10001, v1
	s_delay_alu instid0(VALU_DEP_2) | instskip(NEXT) | instid1(VALU_DEP_2)
	v_fmac_f32_e32 v72, v76, v73
	v_pk_fma_f16 v2, v78, v1, v18
	s_clause 0x1
	global_load_b128 v[16:19], v[16:17], off
	global_load_b128 v[20:23], v[20:21], off
	v_pk_fma_f16 v0, v79, v1, v0
	v_and_b32_e32 v1, 0xffff, v3
	v_lshrrev_b32_e32 v3, 16, v3
	s_wait_loadcnt 0x3
	ds_store_b128 v63, v[8:11]
	s_wait_loadcnt 0x2
	ds_store_b128 v66, v[12:15]
	;; [unrolled: 2-line block ×4, first 2 shown]
	v_mul_u32_u24_e32 v1, 0x10001, v1
	v_mul_u32_u24_e32 v3, 0x10001, v3
	s_wait_dscnt 0x0
	s_barrier_signal -1
	s_barrier_wait -1
	v_pk_fma_f16 v2, v4, v1, v2
	v_pk_fma_f16 v0, v5, v1, v0
	s_delay_alu instid0(VALU_DEP_2) | instskip(NEXT) | instid1(VALU_DEP_2)
	v_pk_fma_f16 v74, v6, v3, v2
	v_pk_fma_f16 v75, v7, v3, v0
	ds_load_b128 v[0:3], v61 offset:64
	ds_load_2addr_b64 v[4:7], v47 offset1:32
	ds_load_2addr_b64 v[8:11], v47 offset0:64 offset1:96
	ds_load_2addr_b64 v[12:15], v47 offset0:128 offset1:160
	;; [unrolled: 1-line block ×3, first 2 shown]
	ds_load_b128 v[20:23], v61 offset:80
	s_wait_dscnt 0x5
	v_and_b32_e32 v77, 0xffff, v0
	v_dual_lshrrev_b32 v0, 16, v0 :: v_dual_lshrrev_b32 v78, 16, v3
	s_delay_alu instid0(VALU_DEP_2) | instskip(NEXT) | instid1(VALU_DEP_2)
	v_mul_u32_u24_e32 v77, 0x10001, v77
	v_mul_u32_u24_e32 v0, 0x10001, v0
	s_wait_dscnt 0x4
	s_delay_alu instid0(VALU_DEP_2)
	v_pk_fma_f16 v4, v4, v77, v74
	v_pk_fma_f16 v5, v5, v77, v75
	v_and_b32_e32 v75, 0xffff, v1
	v_lshrrev_b32_e32 v1, 16, v1
	v_and_b32_e32 v77, 0xffff, v3
	v_pk_fma_f16 v74, v6, v0, v4
	v_pk_fma_f16 v0, v7, v0, v5
	v_mul_u32_u24_e32 v75, 0x10001, v75
	v_mul_u32_u24_e32 v1, 0x10001, v1
	ds_load_2addr_b64 v[4:7], v69 offset1:32
	v_mul_u32_u24_e32 v77, 0x10001, v77
	s_wait_dscnt 0x4
	v_pk_fma_f16 v8, v8, v75, v74
	v_pk_fma_f16 v0, v9, v75, v0
	s_delay_alu instid0(VALU_DEP_2) | instskip(NEXT) | instid1(VALU_DEP_2)
	v_pk_fma_f16 v74, v10, v1, v8
	v_pk_fma_f16 v0, v11, v1, v0
	v_and_b32_e32 v1, 0xffff, v2
	v_lshrrev_b32_e32 v2, 16, v2
	ds_load_2addr_b64 v[8:11], v69 offset0:64 offset1:96
	v_mul_u32_u24_e32 v1, 0x10001, v1
	v_mul_u32_u24_e32 v2, 0x10001, v2
	s_wait_dscnt 0x4
	s_delay_alu instid0(VALU_DEP_2) | instskip(SKIP_1) | instid1(VALU_DEP_2)
	v_pk_fma_f16 v12, v12, v1, v74
	v_pk_fma_f16 v0, v13, v1, v0
	;; [unrolled: 1-line block ×3, first 2 shown]
	s_delay_alu instid0(VALU_DEP_2)
	v_pk_fma_f16 v75, v15, v2, v0
	ds_load_2addr_b64 v[12:15], v69 offset0:128 offset1:160
	ds_load_2addr_b64 v[0:3], v69 offset0:192 offset1:224
	s_wait_dscnt 0x5
	v_pk_fma_f16 v16, v16, v77, v74
	v_pk_fma_f16 v17, v17, v77, v75
	s_wait_dscnt 0x4
	v_and_b32_e32 v77, 0xffff, v20
	v_lshrrev_b32_e32 v20, 16, v20
	v_mul_u32_u24_e32 v78, 0x10001, v78
	s_delay_alu instid0(VALU_DEP_3) | instskip(NEXT) | instid1(VALU_DEP_3)
	v_mul_u32_u24_e32 v77, 0x10001, v77
	v_mul_u32_u24_e32 v20, 0x10001, v20
	s_delay_alu instid0(VALU_DEP_3)
	v_pk_fma_f16 v74, v18, v78, v16
	v_pk_fma_f16 v75, v19, v78, v17
	ds_load_b128 v[16:19], v61 offset:96
	v_lshrrev_b32_e32 v78, 16, v23
	s_wait_dscnt 0x4
	v_pk_fma_f16 v4, v4, v77, v74
	v_pk_fma_f16 v5, v5, v77, v75
	v_and_b32_e32 v75, 0xffff, v21
	v_lshrrev_b32_e32 v21, 16, v21
	v_and_b32_e32 v77, 0xffff, v23
	v_pk_fma_f16 v74, v6, v20, v4
	v_pk_fma_f16 v20, v7, v20, v5
	v_mul_u32_u24_e32 v75, 0x10001, v75
	ds_load_2addr_b64 v[4:7], v70 offset1:32
	v_mul_u32_u24_e32 v77, 0x10001, v77
	v_mul_u32_u24_e32 v78, 0x10001, v78
	s_wait_dscnt 0x4
	v_pk_fma_f16 v8, v8, v75, v74
	v_pk_fma_f16 v9, v9, v75, v20
	v_and_b32_e32 v74, 0xffff, v22
	v_lshrrev_b32_e32 v22, 16, v22
	v_mul_u32_u24_e32 v21, 0x10001, v21
	s_delay_alu instid0(VALU_DEP_3) | instskip(NEXT) | instid1(VALU_DEP_3)
	v_mul_u32_u24_e32 v74, 0x10001, v74
	v_mul_u32_u24_e32 v22, 0x10001, v22
	s_delay_alu instid0(VALU_DEP_3)
	v_pk_fma_f16 v20, v10, v21, v8
	v_pk_fma_f16 v21, v11, v21, v9
	ds_load_2addr_b64 v[8:11], v70 offset0:64 offset1:96
	s_wait_dscnt 0x4
	v_pk_fma_f16 v12, v12, v74, v20
	v_pk_fma_f16 v13, v13, v74, v21
	s_delay_alu instid0(VALU_DEP_2) | instskip(NEXT) | instid1(VALU_DEP_2)
	v_pk_fma_f16 v74, v14, v22, v12
	v_pk_fma_f16 v75, v15, v22, v13
	ds_load_2addr_b64 v[12:15], v70 offset0:128 offset1:160
	ds_load_2addr_b64 v[20:23], v70 offset0:192 offset1:224
	s_wait_dscnt 0x5
	v_pk_fma_f16 v0, v0, v77, v74
	v_pk_fma_f16 v1, v1, v77, v75
	s_delay_alu instid0(VALU_DEP_2) | instskip(NEXT) | instid1(VALU_DEP_2)
	v_pk_fma_f16 v74, v2, v78, v0
	v_pk_fma_f16 v75, v3, v78, v1
	ds_load_b128 v[0:3], v61 offset:112
	s_wait_dscnt 0x5
	v_and_b32_e32 v77, 0xffff, v16
	v_lshrrev_b32_e32 v16, 16, v16
	v_and_b32_e32 v78, 0xffff, v19
	v_lshrrev_b32_e32 v19, 16, v19
	s_delay_alu instid0(VALU_DEP_4) | instskip(NEXT) | instid1(VALU_DEP_4)
	v_mul_u32_u24_e32 v77, 0x10001, v77
	v_mul_u32_u24_e32 v16, 0x10001, v16
	s_wait_dscnt 0x4
	s_delay_alu instid0(VALU_DEP_2)
	v_pk_fma_f16 v4, v4, v77, v74
	v_pk_fma_f16 v5, v5, v77, v75
	v_and_b32_e32 v74, 0xffff, v17
	v_lshrrev_b32_e32 v17, 16, v17
	v_and_b32_e32 v77, 0xffff, v18
	v_pk_fma_f16 v75, v6, v16, v4
	v_pk_fma_f16 v16, v7, v16, v5
	v_mul_u32_u24_e32 v74, 0x10001, v74
	v_lshrrev_b32_e32 v18, 16, v18
	v_mul_u32_u24_e32 v17, 0x10001, v17
	ds_load_2addr_b64 v[4:7], v71 offset1:32
	s_wait_dscnt 0x1
	v_and_b32_e32 v79, 0xffff, v3
	v_pk_fma_f16 v8, v8, v74, v75
	v_pk_fma_f16 v9, v9, v74, v16
	v_and_b32_e32 v74, 0xffff, v0
	v_lshrrev_b32_e32 v75, 16, v0
	v_mul_u32_u24_e32 v0, 0x10001, v77
	v_pk_fma_f16 v16, v10, v17, v8
	v_pk_fma_f16 v17, v11, v17, v9
	ds_load_2addr_b64 v[8:11], v71 offset0:64 offset1:96
	v_dual_lshrrev_b32 v77, 16, v2 :: v_dual_lshrrev_b32 v80, 16, v3
	v_pk_fma_f16 v12, v12, v0, v16
	v_pk_fma_f16 v0, v13, v0, v17
	v_mul_u32_u24_e32 v13, 0x10001, v18
	v_and_b32_e32 v16, 0xffff, v1
	v_lshrrev_b32_e32 v17, 16, v1
	v_and_b32_e32 v18, 0xffff, v2
	s_delay_alu instid0(VALU_DEP_4)
	v_pk_fma_f16 v12, v14, v13, v12
	v_pk_fma_f16 v13, v15, v13, v0
	v_mul_u32_u24_e32 v14, 0x10001, v78
	v_mul_u32_u24_e32 v15, 0x10001, v19
	ds_load_2addr_b64 v[0:3], v71 offset0:128 offset1:160
	v_mul_u32_u24_e32 v16, 0x10001, v16
	v_mul_u32_u24_e32 v17, 0x10001, v17
	v_pk_fma_f16 v12, v20, v14, v12
	v_pk_fma_f16 v13, v21, v14, v13
	v_mul_u32_u24_e32 v21, 0x10001, v74
	v_mul_u32_u24_e32 v18, 0x10001, v18
	;; [unrolled: 1-line block ×3, first 2 shown]
	v_pk_fma_f16 v19, v22, v15, v12
	v_pk_fma_f16 v20, v23, v15, v13
	v_mul_u32_u24_e32 v22, 0x10001, v75
	ds_load_2addr_b64 v[12:15], v71 offset0:192 offset1:224
	s_wait_dscnt 0x0
	v_pk_fma_f16 v4, v4, v21, v19
	v_pk_fma_f16 v5, v5, v21, v20
	s_barrier_signal -1
	s_barrier_wait -1
	s_delay_alu instid0(VALU_DEP_2) | instskip(NEXT) | instid1(VALU_DEP_2)
	v_pk_fma_f16 v4, v6, v22, v4
	v_pk_fma_f16 v5, v7, v22, v5
	s_load_b32 s2, s[20:21], 0x4
	v_mul_u32_u24_e32 v23, 0x10001, v77
	s_delay_alu instid0(VALU_DEP_3) | instskip(NEXT) | instid1(VALU_DEP_3)
	v_pk_fma_f16 v4, v8, v16, v4
	v_pk_fma_f16 v5, v9, v16, v5
	s_delay_alu instid0(VALU_DEP_2) | instskip(NEXT) | instid1(VALU_DEP_2)
	v_pk_fma_f16 v4, v10, v17, v4
	v_pk_fma_f16 v5, v11, v17, v5
	s_delay_alu instid0(VALU_DEP_2) | instskip(NEXT) | instid1(VALU_DEP_2)
	;; [unrolled: 3-line block ×3, first 2 shown]
	v_pk_fma_f16 v0, v2, v23, v0
	v_pk_fma_f16 v1, v3, v23, v1
	v_mul_u32_u24_e32 v2, 0x10001, v80
	s_wait_kmcnt 0x0
	s_lshl_b32 s2, s2, 6
	v_pk_fma_f16 v0, v12, v74, v0
	v_pk_fma_f16 v1, v13, v74, v1
	s_add_co_i32 s4, s2, s4
	s_delay_alu instid0(SALU_CYCLE_1) | instskip(NEXT) | instid1(VALU_DEP_2)
	s_cmp_ge_i32 s4, s30
	v_pk_fma_f16 v11, v14, v2, v0
	s_delay_alu instid0(VALU_DEP_2)
	v_pk_fma_f16 v10, v15, v2, v1
	s_cbranch_scc0 .LBB46_9
; %bb.10:
	v_dual_mov_b32 v1, 32 :: v_dual_mov_b32 v3, v51
.LBB46_11:
	s_delay_alu instid0(VALU_DEP_1)
	v_cmp_lt_i32_e32 vcc_lo, v56, v1
	s_cmp_lg_u64 s[12:13], 0
	s_cselect_b32 s2, -1, 0
	s_cmp_eq_u32 s31, 0
	v_cndmask_b32_e32 v0, v3, v56, vcc_lo
	v_cmp_lt_i32_e32 vcc_lo, v55, v1
	s_cselect_b32 s3, -1, 0
	s_delay_alu instid0(SALU_CYCLE_1) | instskip(NEXT) | instid1(VALU_DEP_2)
	s_and_b32 s2, s3, s2
	v_dual_cndmask_b32 v2, v3, v55, vcc_lo :: v_dual_lshlrev_b32 v0, 2, v0
	v_cmp_lt_i32_e32 vcc_lo, v54, v1
	s_delay_alu instid0(VALU_DEP_2)
	v_lshlrev_b32_e32 v2, 2, v2
	ds_bpermute_b32 v0, v0, v72
	v_cndmask_b32_e32 v4, v3, v54, vcc_lo
	v_cmp_lt_i32_e32 vcc_lo, v53, v1
	s_wait_dscnt 0x0
	v_add_f32_e32 v0, v72, v0
	ds_bpermute_b32 v2, v2, v0
	s_wait_dscnt 0x0
	v_dual_lshlrev_b32 v4, 2, v4 :: v_dual_add_f32 v0, v0, v2
	ds_bpermute_b32 v2, v4, v0
	v_cndmask_b32_e32 v4, v3, v53, vcc_lo
	v_cmp_lt_i32_e32 vcc_lo, v52, v1
	s_wait_dscnt 0x0
	v_dual_add_f32 v0, v0, v2 :: v_dual_cndmask_b32 v1, v3, v52
	s_delay_alu instid0(VALU_DEP_3) | instskip(SKIP_1) | instid1(VALU_DEP_2)
	v_lshlrev_b32_e32 v4, 2, v4
	s_and_b32 vcc_lo, exec_lo, s2
	v_lshlrev_b32_e32 v1, 2, v1
	ds_bpermute_b32 v2, v4, v0
	s_wait_dscnt 0x0
	v_dual_add_f32 v0, v0, v2 :: v_dual_add_nc_u32 v2, s33, v24
	ds_bpermute_b32 v1, v1, v0
	s_wait_dscnt 0x0
	v_add_f32_e32 v47, v0, v1
	s_cbranch_vccz .LBB46_14
; %bb.12:
	global_load_b32 v1, v2, s[12:13] scale_offset
	s_wait_loadcnt 0x0
	v_dual_max_num_f32 v0, v46, v46 :: v_dual_max_num_f32 v3, v1, v1
	s_delay_alu instid0(VALU_DEP_1) | instskip(NEXT) | instid1(VALU_DEP_1)
	v_max_num_f32_e32 v0, v0, v3
	v_sub_f32_e32 v1, v1, v0
	s_delay_alu instid0(VALU_DEP_1) | instskip(SKIP_1) | instid1(VALU_DEP_2)
	v_mul_f32_e32 v7, 0x3fb8aa3b, v1
	v_sub_f32_e32 v3, v46, v0
	v_rndne_f32_e32 v9, v7
	s_delay_alu instid0(VALU_DEP_2) | instskip(NEXT) | instid1(VALU_DEP_1)
	v_mul_f32_e32 v4, 0x3fb8aa3b, v3
	v_fma_f32 v5, 0x3fb8aa3b, v3, -v4
	v_rndne_f32_e32 v6, v4
	s_delay_alu instid0(VALU_DEP_1) | instskip(SKIP_2) | instid1(VALU_DEP_3)
	v_dual_sub_f32 v4, v4, v6 :: v_dual_fmac_f32 v5, 0x32a5705f, v3
	v_cvt_i32_f32_e32 v6, v6
	v_cmp_ngt_f32_e32 vcc_lo, 0xc2ce8ed0, v3
	v_add_f32_e32 v4, v4, v5
	v_fma_f32 v8, 0x3fb8aa3b, v1, -v7
	v_sub_f32_e32 v5, v7, v9
	s_delay_alu instid0(VALU_DEP_3) | instskip(NEXT) | instid1(VALU_DEP_2)
	v_exp_f32_e32 v4, v4
	v_fmac_f32_e32 v8, 0x32a5705f, v1
	s_delay_alu instid0(TRANS32_DEP_1) | instskip(SKIP_1) | instid1(VALU_DEP_2)
	v_ldexp_f32 v4, v4, v6
	v_cvt_i32_f32_e32 v6, v9
	v_cndmask_b32_e32 v4, 0, v4, vcc_lo
	v_cmp_nlt_f32_e32 vcc_lo, 0x42b17218, v3
	s_delay_alu instid0(VALU_DEP_2) | instskip(SKIP_2) | instid1(VALU_DEP_2)
	v_cndmask_b32_e32 v3, 0x7f800000, v4, vcc_lo
	v_add_f32_e32 v5, v5, v8
	v_cmp_ngt_f32_e32 vcc_lo, 0xc2ce8ed0, v1
	v_exp_f32_e32 v5, v5
	v_nop
	s_delay_alu instid0(TRANS32_DEP_1) | instskip(SKIP_1) | instid1(VALU_DEP_2)
	v_ldexp_f32 v4, v5, v6
	v_cvt_f16_f32_e32 v5, v3
	v_cndmask_b32_e32 v4, 0, v4, vcc_lo
	v_cmp_nlt_f32_e32 vcc_lo, 0x42b17218, v1
	s_delay_alu instid0(VALU_DEP_3) | instskip(NEXT) | instid1(VALU_DEP_3)
	v_and_b32_e32 v5, 0xffff, v5
	v_cndmask_b32_e32 v1, 0x7f800000, v4, vcc_lo
	s_delay_alu instid0(VALU_DEP_2) | instskip(NEXT) | instid1(VALU_DEP_2)
	v_mul_u32_u24_e32 v4, 0x10001, v5
	v_fmac_f32_e32 v1, v47, v3
	s_delay_alu instid0(VALU_DEP_2) | instskip(SKIP_1) | instid1(VALU_DEP_3)
	v_pk_mul_f16 v11, v11, v4
	v_pk_mul_f16 v10, v10, v4
	v_mov_b64_e32 v[46:47], v[0:1]
	s_mov_b32 s2, exec_lo
	v_cmpx_gt_i32_e64 s22, v49
	s_cbranch_execnz .LBB46_15
.LBB46_13:
	s_sendmsg sendmsg(MSG_DEALLOC_VGPRS)
	s_endpgm
.LBB46_14:
	s_delay_alu instid0(VALU_DEP_1)
	v_mov_b32_e32 v1, v47
	s_mov_b32 s2, exec_lo
	v_cmpx_gt_i32_e64 s22, v49
	s_cbranch_execz .LBB46_13
.LBB46_15:
	s_delay_alu instid0(VALU_DEP_2) | instskip(SKIP_2) | instid1(VALU_DEP_3)
	v_div_scale_f32 v0, null, v1, v1, 1.0
	v_div_scale_f32 v5, vcc_lo, 1.0, v1, 1.0
	v_mad_u32 v6, s28, s22, v49
	v_rcp_f32_e32 v4, v0
	s_load_b32 s0, s[0:1], 0xd4
	v_nop
	s_delay_alu instid0(TRANS32_DEP_1) | instskip(NEXT) | instid1(VALU_DEP_3)
	v_fma_f32 v3, -v0, v4, 1.0
	v_mad_u32 v2, v6, s23, v2
	v_cvt_f32_f16_e32 v6, v10
	s_delay_alu instid0(VALU_DEP_3) | instskip(NEXT) | instid1(VALU_DEP_1)
	v_fmac_f32_e32 v4, v3, v4
	v_mul_f32_e32 v7, v5, v4
	s_wait_kmcnt 0x0
	s_cmp_lg_u32 s0, 1
	s_delay_alu instid0(VALU_DEP_1) | instskip(NEXT) | instid1(VALU_DEP_1)
	v_fma_f32 v3, -v0, v7, v5
	v_dual_fmac_f32 v7, v3, v4 :: v_dual_mov_b32 v3, 0
	s_delay_alu instid0(VALU_DEP_1) | instskip(SKIP_2) | instid1(VALU_DEP_2)
	v_fma_f32 v5, -v0, v7, v5
	v_mad_u32 v0, s0, v2, s31
	s_cselect_b32 s0, -1, 0
	v_div_fmas_f32 v2, v5, v4, v7
	v_dual_lshrrev_b32 v5, 16, v11 :: v_dual_lshrrev_b32 v7, 16, v10
	v_cvt_f32_f16_e32 v4, v11
	v_cmp_eq_u32_e32 vcc_lo, 0, v48
	s_delay_alu instid0(VALU_DEP_4) | instskip(NEXT) | instid1(VALU_DEP_4)
	v_div_fixup_f32 v1, v2, v1, 1.0
	v_cvt_f32_f16_e32 v5, v5
	v_lshl_add_u32 v2, v0, 7, v25
	v_cvt_f32_f16_e32 v7, v7
	s_delay_alu instid0(VALU_DEP_4) | instskip(SKIP_1) | instid1(VALU_DEP_3)
	v_cndmask_b32_e64 v8, v1, 1.0, s0
	s_and_b32 s0, vcc_lo, s0
	v_lshl_add_u64 v[10:11], v[2:3], 2, s[16:17]
	s_delay_alu instid0(VALU_DEP_2)
	v_pk_mul_f32 v[2:3], v[8:9], v[4:5] op_sel_hi:[0,1]
	v_pk_mul_f32 v[4:5], v[8:9], v[6:7] op_sel_hi:[0,1]
	global_store_b128 v[10:11], v[2:5], off
	s_wait_xcnt 0x0
	s_and_b32 exec_lo, exec_lo, s0
	s_cbranch_execz .LBB46_13
; %bb.16:
	global_store_b64 v0, v[46:47], s[18:19] scale_offset
	s_sendmsg sendmsg(MSG_DEALLOC_VGPRS)
	s_endpgm
	.section	.rodata,"a",@progbits
	.p2align	6, 0x0
	.amdhsa_kernel _ZL15flash_attn_tileILi128ELi128ELi2ELi2ELb0EEvPKcS1_S1_S1_S1_PKiPfP15HIP_vector_typeIfLj2EEffffjfiS5_IjLj3EEiiiiiiiiiiiliiliiiiil
		.amdhsa_group_segment_fixed_size 10752
		.amdhsa_private_segment_fixed_size 0
		.amdhsa_kernarg_size 464
		.amdhsa_user_sgpr_count 2
		.amdhsa_user_sgpr_dispatch_ptr 0
		.amdhsa_user_sgpr_queue_ptr 0
		.amdhsa_user_sgpr_kernarg_segment_ptr 1
		.amdhsa_user_sgpr_dispatch_id 0
		.amdhsa_user_sgpr_kernarg_preload_length 0
		.amdhsa_user_sgpr_kernarg_preload_offset 0
		.amdhsa_user_sgpr_private_segment_size 0
		.amdhsa_wavefront_size32 1
		.amdhsa_uses_dynamic_stack 0
		.amdhsa_enable_private_segment 0
		.amdhsa_system_sgpr_workgroup_id_x 1
		.amdhsa_system_sgpr_workgroup_id_y 1
		.amdhsa_system_sgpr_workgroup_id_z 1
		.amdhsa_system_sgpr_workgroup_info 0
		.amdhsa_system_vgpr_workitem_id 1
		.amdhsa_next_free_vgpr 88
		.amdhsa_next_free_sgpr 43
		.amdhsa_named_barrier_count 0
		.amdhsa_reserve_vcc 1
		.amdhsa_float_round_mode_32 0
		.amdhsa_float_round_mode_16_64 0
		.amdhsa_float_denorm_mode_32 3
		.amdhsa_float_denorm_mode_16_64 3
		.amdhsa_fp16_overflow 0
		.amdhsa_memory_ordered 1
		.amdhsa_forward_progress 1
		.amdhsa_inst_pref_size 56
		.amdhsa_round_robin_scheduling 0
		.amdhsa_exception_fp_ieee_invalid_op 0
		.amdhsa_exception_fp_denorm_src 0
		.amdhsa_exception_fp_ieee_div_zero 0
		.amdhsa_exception_fp_ieee_overflow 0
		.amdhsa_exception_fp_ieee_underflow 0
		.amdhsa_exception_fp_ieee_inexact 0
		.amdhsa_exception_int_div_zero 0
	.end_amdhsa_kernel
	.section	.text._ZL15flash_attn_tileILi128ELi128ELi2ELi2ELb0EEvPKcS1_S1_S1_S1_PKiPfP15HIP_vector_typeIfLj2EEffffjfiS5_IjLj3EEiiiiiiiiiiiliiliiiiil,"axG",@progbits,_ZL15flash_attn_tileILi128ELi128ELi2ELi2ELb0EEvPKcS1_S1_S1_S1_PKiPfP15HIP_vector_typeIfLj2EEffffjfiS5_IjLj3EEiiiiiiiiiiiliiliiiiil,comdat
.Lfunc_end46:
	.size	_ZL15flash_attn_tileILi128ELi128ELi2ELi2ELb0EEvPKcS1_S1_S1_S1_PKiPfP15HIP_vector_typeIfLj2EEffffjfiS5_IjLj3EEiiiiiiiiiiiliiliiiiil, .Lfunc_end46-_ZL15flash_attn_tileILi128ELi128ELi2ELi2ELb0EEvPKcS1_S1_S1_S1_PKiPfP15HIP_vector_typeIfLj2EEffffjfiS5_IjLj3EEiiiiiiiiiiiliiliiiiil
                                        ; -- End function
	.set _ZL15flash_attn_tileILi128ELi128ELi2ELi2ELb0EEvPKcS1_S1_S1_S1_PKiPfP15HIP_vector_typeIfLj2EEffffjfiS5_IjLj3EEiiiiiiiiiiiliiliiiiil.num_vgpr, 88
	.set _ZL15flash_attn_tileILi128ELi128ELi2ELi2ELb0EEvPKcS1_S1_S1_S1_PKiPfP15HIP_vector_typeIfLj2EEffffjfiS5_IjLj3EEiiiiiiiiiiiliiliiiiil.num_agpr, 0
	.set _ZL15flash_attn_tileILi128ELi128ELi2ELi2ELb0EEvPKcS1_S1_S1_S1_PKiPfP15HIP_vector_typeIfLj2EEffffjfiS5_IjLj3EEiiiiiiiiiiiliiliiiiil.numbered_sgpr, 43
	.set _ZL15flash_attn_tileILi128ELi128ELi2ELi2ELb0EEvPKcS1_S1_S1_S1_PKiPfP15HIP_vector_typeIfLj2EEffffjfiS5_IjLj3EEiiiiiiiiiiiliiliiiiil.num_named_barrier, 0
	.set _ZL15flash_attn_tileILi128ELi128ELi2ELi2ELb0EEvPKcS1_S1_S1_S1_PKiPfP15HIP_vector_typeIfLj2EEffffjfiS5_IjLj3EEiiiiiiiiiiiliiliiiiil.private_seg_size, 0
	.set _ZL15flash_attn_tileILi128ELi128ELi2ELi2ELb0EEvPKcS1_S1_S1_S1_PKiPfP15HIP_vector_typeIfLj2EEffffjfiS5_IjLj3EEiiiiiiiiiiiliiliiiiil.uses_vcc, 1
	.set _ZL15flash_attn_tileILi128ELi128ELi2ELi2ELb0EEvPKcS1_S1_S1_S1_PKiPfP15HIP_vector_typeIfLj2EEffffjfiS5_IjLj3EEiiiiiiiiiiiliiliiiiil.uses_flat_scratch, 0
	.set _ZL15flash_attn_tileILi128ELi128ELi2ELi2ELb0EEvPKcS1_S1_S1_S1_PKiPfP15HIP_vector_typeIfLj2EEffffjfiS5_IjLj3EEiiiiiiiiiiiliiliiiiil.has_dyn_sized_stack, 0
	.set _ZL15flash_attn_tileILi128ELi128ELi2ELi2ELb0EEvPKcS1_S1_S1_S1_PKiPfP15HIP_vector_typeIfLj2EEffffjfiS5_IjLj3EEiiiiiiiiiiiliiliiiiil.has_recursion, 0
	.set _ZL15flash_attn_tileILi128ELi128ELi2ELi2ELb0EEvPKcS1_S1_S1_S1_PKiPfP15HIP_vector_typeIfLj2EEffffjfiS5_IjLj3EEiiiiiiiiiiiliiliiiiil.has_indirect_call, 0
	.section	.AMDGPU.csdata,"",@progbits
; Kernel info:
; codeLenInByte = 7052
; TotalNumSgprs: 45
; NumVgprs: 88
; ScratchSize: 0
; MemoryBound: 0
; FloatMode: 240
; IeeeMode: 1
; LDSByteSize: 10752 bytes/workgroup (compile time only)
; SGPRBlocks: 0
; VGPRBlocks: 5
; NumSGPRsForWavesPerEU: 45
; NumVGPRsForWavesPerEU: 88
; NamedBarCnt: 0
; Occupancy: 10
; WaveLimiterHint : 1
; COMPUTE_PGM_RSRC2:SCRATCH_EN: 0
; COMPUTE_PGM_RSRC2:USER_SGPR: 2
; COMPUTE_PGM_RSRC2:TRAP_HANDLER: 0
; COMPUTE_PGM_RSRC2:TGID_X_EN: 1
; COMPUTE_PGM_RSRC2:TGID_Y_EN: 1
; COMPUTE_PGM_RSRC2:TGID_Z_EN: 1
; COMPUTE_PGM_RSRC2:TIDIG_COMP_CNT: 1
	.section	.text._ZL33flash_attn_stream_k_fixup_uniformILi128ELi2ELi2EEvPfPK15HIP_vector_typeIfLj2EEiiiiiiS1_IjLj3EES5_S5_,"axG",@progbits,_ZL33flash_attn_stream_k_fixup_uniformILi128ELi2ELi2EEvPfPK15HIP_vector_typeIfLj2EEiiiiiiS1_IjLj3EES5_S5_,comdat
	.globl	_ZL33flash_attn_stream_k_fixup_uniformILi128ELi2ELi2EEvPfPK15HIP_vector_typeIfLj2EEiiiiiiS1_IjLj3EES5_S5_ ; -- Begin function _ZL33flash_attn_stream_k_fixup_uniformILi128ELi2ELi2EEvPfPK15HIP_vector_typeIfLj2EEiiiiiiS1_IjLj3EES5_S5_
	.p2align	8
	.type	_ZL33flash_attn_stream_k_fixup_uniformILi128ELi2ELi2EEvPfPK15HIP_vector_typeIfLj2EEiiiiiiS1_IjLj3EES5_S5_,@function
_ZL33flash_attn_stream_k_fixup_uniformILi128ELi2ELi2EEvPfPK15HIP_vector_typeIfLj2EEiiiiiiS1_IjLj3EES5_S5_: ; @_ZL33flash_attn_stream_k_fixup_uniformILi128ELi2ELi2EEvPfPK15HIP_vector_typeIfLj2EEiiiiiiS1_IjLj3EES5_S5_
; %bb.0:
	s_load_b256 s[4:11], s[0:1], 0x1c
	s_bfe_u32 s2, ttmp6, 0x40014
	s_lshr_b32 s3, ttmp7, 16
	s_add_co_i32 s2, s2, 1
	s_bfe_u32 s13, ttmp6, 0x40010
	s_mul_i32 s2, s3, s2
	s_bfe_u32 s12, ttmp6, 0x40008
	s_and_b32 s15, ttmp7, 0xffff
	s_add_co_i32 s13, s13, 1
	s_bfe_u32 s14, ttmp6, 0x4000c
	s_add_co_i32 s12, s12, s2
	s_mul_i32 s2, s15, s13
	s_bfe_u32 s13, ttmp6, 0x40004
	s_add_co_i32 s14, s14, 1
	s_add_co_i32 s13, s13, s2
	s_and_b32 s2, ttmp6, 15
	s_mul_i32 s14, ttmp9, s14
	s_getreg_b32 s20, hwreg(HW_REG_IB_STS2, 6, 4)
	s_add_co_i32 s2, s2, s14
	s_load_b128 s[16:19], s[0:1], 0x3c
	s_cmp_eq_u32 s20, 0
	s_cselect_b32 s14, ttmp9, s2
	s_cselect_b32 s13, s15, s13
	s_wait_kmcnt 0x0
	s_mul_hi_u32 s2, s7, s14
	s_cselect_b32 s12, s3, s12
	s_add_co_i32 s2, s14, s2
	s_delay_alu instid0(SALU_CYCLE_1) | instskip(NEXT) | instid1(SALU_CYCLE_1)
	s_lshr_b32 s7, s2, s8
	s_mul_i32 s2, s7, s9
	s_delay_alu instid0(SALU_CYCLE_1) | instskip(NEXT) | instid1(SALU_CYCLE_1)
	s_sub_co_i32 s8, s14, s2
	s_mul_hi_u32 s2, s8, s10
	s_delay_alu instid0(SALU_CYCLE_1) | instskip(SKIP_2) | instid1(SALU_CYCLE_1)
	s_add_co_i32 s9, s8, s2
	s_load_b64 s[2:3], s[0:1], 0x10
	s_lshr_b32 s15, s9, s11
	s_mul_i32 s9, s15, s16
	s_delay_alu instid0(SALU_CYCLE_1) | instskip(NEXT) | instid1(SALU_CYCLE_1)
	s_sub_co_i32 s8, s8, s9
	s_mul_hi_u32 s9, s8, s17
	s_delay_alu instid0(SALU_CYCLE_1) | instskip(NEXT) | instid1(SALU_CYCLE_1)
	s_add_co_i32 s9, s8, s9
	s_lshr_b32 s9, s9, s18
	s_delay_alu instid0(SALU_CYCLE_1) | instskip(SKIP_2) | instid1(SALU_CYCLE_1)
	s_mul_i32 s10, s9, s19
	s_lshl_b32 s17, s9, 1
	s_sub_co_i32 s16, s8, s10
	s_lshl_b32 s8, s16, 1
	s_delay_alu instid0(SALU_CYCLE_1) | instskip(SKIP_4) | instid1(SALU_CYCLE_1)
	s_add_co_i32 s8, s8, s13
	s_wait_kmcnt 0x0
	s_cmp_lt_i32 s8, s2
	s_cselect_b32 s8, -1, 0
	s_add_co_i32 s9, s17, s12
	s_cmp_lt_i32 s9, s5
	s_cselect_b32 s9, -1, 0
	s_delay_alu instid0(SALU_CYCLE_1) | instskip(NEXT) | instid1(SALU_CYCLE_1)
	s_and_b32 s8, s8, s9
	s_and_not1_b32 vcc_lo, exec_lo, s8
	s_cbranch_vccnz .LBB47_6
; %bb.1:
	s_mul_i32 s2, s7, s2
	s_load_b128 s[8:11], s[0:1], 0x0
	s_wait_xcnt 0x0
	s_add_co_i32 s0, s2, s13
	s_mul_i32 s15, s15, s5
	s_mul_i32 s0, s0, s3
	;; [unrolled: 1-line block ×3, first 2 shown]
	s_add_co_i32 s0, s0, s12
	s_lshl_b32 s1, s1, 8
	s_add_co_i32 s0, s0, s15
	s_mul_i32 s7, s6, s14
	s_add_co_i32 s0, s0, s17
	s_lshl_b32 s5, s13, 1
	s_lshl_b32 s0, s0, 7
	s_add_co_i32 s15, s7, s6
	s_add_co_i32 s1, s1, s0
	;; [unrolled: 1-line block ×3, first 2 shown]
	v_or_b32_e32 v4, s1, v0
	s_lshl_b32 s1, s15, 2
	s_add_co_i32 s2, s15, -2
	s_add_co_i32 s0, s0, s1
	s_delay_alu instid0(SALU_CYCLE_1)
	s_add_co_i32 s0, s0, -4
	s_wait_kmcnt 0x0
	global_load_b32 v3, v4, s[8:9] scale_offset
	s_ashr_i32 s1, s0, 31
	v_ashrrev_i32_e32 v5, 31, v4
	s_lshl_b64 s[0:1], s[0:1], 3
	s_cmp_lt_i32 s2, s7
	s_add_nc_u64 s[0:1], s[10:11], s[0:1]
	s_load_b32 s16, s[0:1], 0x4
	s_cbranch_scc1 .LBB47_4
; %bb.2:
	s_wait_xcnt 0x0
	s_load_b32 s0, s[0:1], 0x0
	s_add_co_i32 s14, s14, 1
	s_lshl_b32 s3, s13, 8
	s_wait_xcnt 0x0
	s_mul_i32 s1, s6, s14
	s_lshl_b32 s6, s12, 7
	s_lshl_b32 s13, s1, 9
	s_add_co_i32 s6, s6, s3
	s_lshl_b32 s1, s1, 2
	s_add_co_i32 s6, s6, s13
	s_lshl_b32 s2, s4, 4
	s_wait_kmcnt 0x0
	v_dual_mov_b32 v2, s16 :: v_dual_bitop2_b32 v0, s6, v0 bitop3:0x54
	s_add_co_i32 s1, s12, s1
	s_lshl_b32 s4, s4, 2
	s_ashr_i32 s3, s2, 31
	s_add_co_i32 s1, s1, s4
	v_add_nc_u32_e32 v0, 0xfffffc00, v0
	s_lshl_b64 s[2:3], s[2:3], 2
	s_add_co_i32 s4, s1, s5
	s_add_nc_u64 s[2:3], s[10:11], s[2:3]
	s_add_co_i32 s1, s15, -1
	s_add_co_i32 s4, s4, -8
.LBB47_3:                               ; =>This Inner Loop Header: Depth=1
	global_load_b32 v7, v0, s[2:3] scale_offset
	s_ashr_i32 s5, s4, 31
	v_max_num_f32_e64 v1, s0, s0
	s_lshl_b64 s[12:13], s[4:5], 3
	s_delay_alu instid0(SALU_CYCLE_1) | instskip(SKIP_1) | instid1(VALU_DEP_1)
	s_add_nc_u64 s[12:13], s[10:11], s[12:13]
	s_load_b64 s[12:13], s[12:13], 0x0
	v_readfirstlane_b32 s5, v1
	v_add_nc_u32_e32 v0, 0xfffffe00, v0
	s_wait_kmcnt 0x0
	v_max_num_f32_e64 v1, s12, s12
	s_delay_alu instid0(VALU_DEP_1) | instskip(SKIP_1) | instid1(SALU_CYCLE_3)
	v_readfirstlane_b32 s6, v1
	s_max_num_f32 s5, s5, s6
	s_sub_f32 s0, s0, s5
	s_sub_f32 s6, s12, s5
	s_delay_alu instid0(SALU_CYCLE_2) | instskip(NEXT) | instid1(SALU_CYCLE_2)
	s_mul_f32 s12, s0, 0x3fb8aa3b
	s_mul_f32 s14, s6, 0x3fb8aa3b
	s_delay_alu instid0(SALU_CYCLE_2)
	s_xor_b32 s15, s12, 0x80000000
	s_rndne_f32 s16, s12
	s_fmamk_f32 s15, s0, 0x3fb8aa3b, s15
	s_cmp_nlt_f32 s0, 0xc2ce8ed0
	s_rndne_f32 s17, s14
	s_sub_f32 s12, s12, s16
	s_fmamk_f32 s15, s0, 0x32a5705f, s15
	s_cselect_b32 vcc_lo, -1, 0
	s_cmp_ngt_f32 s0, 0x42b17218
	s_delay_alu instid0(SALU_CYCLE_1) | instskip(SKIP_2) | instid1(SALU_CYCLE_1)
	s_add_f32 s12, s12, s15
	s_cvt_i32_f32 s15, s16
	s_sub_f32 s16, s14, s17
	v_s_exp_f32 s12, s12
	v_nop
	s_delay_alu instid0(TRANS32_DEP_1) | instskip(SKIP_1) | instid1(VALU_DEP_1)
	v_ldexp_f32 v1, s12, s15
	s_cvt_i32_f32 s12, s17
	v_cndmask_b32_e32 v1, 0, v1, vcc_lo
	s_cselect_b32 vcc_lo, -1, 0
	s_cmp_ge_f32 s0, 0xc1a00000
	s_delay_alu instid0(VALU_DEP_1)
	v_cndmask_b32_e32 v1, 0x7f800000, v1, vcc_lo
	s_cselect_b32 vcc_lo, -1, 0
	s_xor_b32 s0, s14, 0x80000000
	s_cmp_nlt_f32 s6, 0xc2ce8ed0
	s_fmamk_f32 s0, s6, 0x3fb8aa3b, s0
	v_cndmask_b32_e32 v10, 0, v1, vcc_lo
	s_delay_alu instid0(SALU_CYCLE_2) | instskip(NEXT) | instid1(SALU_CYCLE_3)
	s_fmamk_f32 s0, s6, 0x32a5705f, s0
	s_add_f32 s0, s16, s0
	s_delay_alu instid0(SALU_CYCLE_3) | instskip(SKIP_1) | instid1(TRANS32_DEP_1)
	v_s_exp_f32 s0, s0
	v_nop
	v_ldexp_f32 v6, s0, s12
	s_cselect_b32 s0, -1, 0
	s_cmp_ngt_f32 s6, 0x42b17218
	s_delay_alu instid0(VALU_DEP_1) | instskip(SKIP_2) | instid1(VALU_DEP_1)
	v_cndmask_b32_e64 v6, 0, v6, s0
	s_cselect_b32 s0, -1, 0
	s_cmp_ge_f32 s6, 0xc1a00000
	v_cndmask_b32_e64 v8, 0x7f800000, v6, s0
	s_cselect_b32 s0, -1, 0
	v_mov_b32_e32 v6, s13
	s_add_co_i32 s1, s1, -1
	s_add_co_i32 s4, s4, -4
	v_cndmask_b32_e64 v8, 0, v8, s0
	s_cmp_le_i32 s1, s7
	s_mov_b32 s0, s5
	s_wait_loadcnt 0x0
	s_delay_alu instid0(VALU_DEP_1) | instskip(NEXT) | instid1(VALU_DEP_1)
	v_pk_mul_f32 v[6:7], v[6:7], v[8:9] op_sel_hi:[1,0]
	v_pk_fma_f32 v[2:3], v[2:3], v[10:11], v[6:7] op_sel_hi:[1,0,1]
	s_cbranch_scc0 .LBB47_3
	s_branch .LBB47_5
.LBB47_4:
	s_wait_kmcnt 0x0
	v_mov_b32_e32 v2, s16
.LBB47_5:
	v_lshl_add_u64 v[0:1], v[4:5], 2, s[8:9]
	s_wait_loadcnt 0x0
	s_delay_alu instid0(VALU_DEP_2) | instskip(NEXT) | instid1(VALU_DEP_1)
	v_div_scale_f32 v4, null, v2, v2, v3
	v_rcp_f32_e32 v5, v4
	v_nop
	s_delay_alu instid0(TRANS32_DEP_1) | instskip(NEXT) | instid1(VALU_DEP_1)
	v_fma_f32 v6, -v4, v5, 1.0
	v_fmac_f32_e32 v5, v6, v5
	v_div_scale_f32 v6, vcc_lo, v3, v2, v3
	s_delay_alu instid0(VALU_DEP_1) | instskip(NEXT) | instid1(VALU_DEP_1)
	v_mul_f32_e32 v7, v6, v5
	v_fma_f32 v8, -v4, v7, v6
	s_delay_alu instid0(VALU_DEP_1) | instskip(NEXT) | instid1(VALU_DEP_1)
	v_fmac_f32_e32 v7, v8, v5
	v_fma_f32 v4, -v4, v7, v6
	s_delay_alu instid0(VALU_DEP_1) | instskip(NEXT) | instid1(VALU_DEP_1)
	v_div_fmas_f32 v4, v4, v5, v7
	v_div_fixup_f32 v2, v4, v2, v3
	global_store_b32 v[0:1], v2, off
.LBB47_6:
	s_endpgm
	.section	.rodata,"a",@progbits
	.p2align	6, 0x0
	.amdhsa_kernel _ZL33flash_attn_stream_k_fixup_uniformILi128ELi2ELi2EEvPfPK15HIP_vector_typeIfLj2EEiiiiiiS1_IjLj3EES5_S5_
		.amdhsa_group_segment_fixed_size 0
		.amdhsa_private_segment_fixed_size 0
		.amdhsa_kernarg_size 76
		.amdhsa_user_sgpr_count 2
		.amdhsa_user_sgpr_dispatch_ptr 0
		.amdhsa_user_sgpr_queue_ptr 0
		.amdhsa_user_sgpr_kernarg_segment_ptr 1
		.amdhsa_user_sgpr_dispatch_id 0
		.amdhsa_user_sgpr_kernarg_preload_length 0
		.amdhsa_user_sgpr_kernarg_preload_offset 0
		.amdhsa_user_sgpr_private_segment_size 0
		.amdhsa_wavefront_size32 1
		.amdhsa_uses_dynamic_stack 0
		.amdhsa_enable_private_segment 0
		.amdhsa_system_sgpr_workgroup_id_x 1
		.amdhsa_system_sgpr_workgroup_id_y 1
		.amdhsa_system_sgpr_workgroup_id_z 1
		.amdhsa_system_sgpr_workgroup_info 0
		.amdhsa_system_vgpr_workitem_id 0
		.amdhsa_next_free_vgpr 12
		.amdhsa_next_free_sgpr 21
		.amdhsa_named_barrier_count 0
		.amdhsa_reserve_vcc 1
		.amdhsa_float_round_mode_32 0
		.amdhsa_float_round_mode_16_64 0
		.amdhsa_float_denorm_mode_32 3
		.amdhsa_float_denorm_mode_16_64 3
		.amdhsa_fp16_overflow 0
		.amdhsa_memory_ordered 1
		.amdhsa_forward_progress 1
		.amdhsa_inst_pref_size 9
		.amdhsa_round_robin_scheduling 0
		.amdhsa_exception_fp_ieee_invalid_op 0
		.amdhsa_exception_fp_denorm_src 0
		.amdhsa_exception_fp_ieee_div_zero 0
		.amdhsa_exception_fp_ieee_overflow 0
		.amdhsa_exception_fp_ieee_underflow 0
		.amdhsa_exception_fp_ieee_inexact 0
		.amdhsa_exception_int_div_zero 0
	.end_amdhsa_kernel
	.section	.text._ZL33flash_attn_stream_k_fixup_uniformILi128ELi2ELi2EEvPfPK15HIP_vector_typeIfLj2EEiiiiiiS1_IjLj3EES5_S5_,"axG",@progbits,_ZL33flash_attn_stream_k_fixup_uniformILi128ELi2ELi2EEvPfPK15HIP_vector_typeIfLj2EEiiiiiiS1_IjLj3EES5_S5_,comdat
.Lfunc_end47:
	.size	_ZL33flash_attn_stream_k_fixup_uniformILi128ELi2ELi2EEvPfPK15HIP_vector_typeIfLj2EEiiiiiiS1_IjLj3EES5_S5_, .Lfunc_end47-_ZL33flash_attn_stream_k_fixup_uniformILi128ELi2ELi2EEvPfPK15HIP_vector_typeIfLj2EEiiiiiiS1_IjLj3EES5_S5_
                                        ; -- End function
	.set _ZL33flash_attn_stream_k_fixup_uniformILi128ELi2ELi2EEvPfPK15HIP_vector_typeIfLj2EEiiiiiiS1_IjLj3EES5_S5_.num_vgpr, 12
	.set _ZL33flash_attn_stream_k_fixup_uniformILi128ELi2ELi2EEvPfPK15HIP_vector_typeIfLj2EEiiiiiiS1_IjLj3EES5_S5_.num_agpr, 0
	.set _ZL33flash_attn_stream_k_fixup_uniformILi128ELi2ELi2EEvPfPK15HIP_vector_typeIfLj2EEiiiiiiS1_IjLj3EES5_S5_.numbered_sgpr, 21
	.set _ZL33flash_attn_stream_k_fixup_uniformILi128ELi2ELi2EEvPfPK15HIP_vector_typeIfLj2EEiiiiiiS1_IjLj3EES5_S5_.num_named_barrier, 0
	.set _ZL33flash_attn_stream_k_fixup_uniformILi128ELi2ELi2EEvPfPK15HIP_vector_typeIfLj2EEiiiiiiS1_IjLj3EES5_S5_.private_seg_size, 0
	.set _ZL33flash_attn_stream_k_fixup_uniformILi128ELi2ELi2EEvPfPK15HIP_vector_typeIfLj2EEiiiiiiS1_IjLj3EES5_S5_.uses_vcc, 1
	.set _ZL33flash_attn_stream_k_fixup_uniformILi128ELi2ELi2EEvPfPK15HIP_vector_typeIfLj2EEiiiiiiS1_IjLj3EES5_S5_.uses_flat_scratch, 0
	.set _ZL33flash_attn_stream_k_fixup_uniformILi128ELi2ELi2EEvPfPK15HIP_vector_typeIfLj2EEiiiiiiS1_IjLj3EES5_S5_.has_dyn_sized_stack, 0
	.set _ZL33flash_attn_stream_k_fixup_uniformILi128ELi2ELi2EEvPfPK15HIP_vector_typeIfLj2EEiiiiiiS1_IjLj3EES5_S5_.has_recursion, 0
	.set _ZL33flash_attn_stream_k_fixup_uniformILi128ELi2ELi2EEvPfPK15HIP_vector_typeIfLj2EEiiiiiiS1_IjLj3EES5_S5_.has_indirect_call, 0
	.section	.AMDGPU.csdata,"",@progbits
; Kernel info:
; codeLenInByte = 1092
; TotalNumSgprs: 23
; NumVgprs: 12
; ScratchSize: 0
; MemoryBound: 0
; FloatMode: 240
; IeeeMode: 1
; LDSByteSize: 0 bytes/workgroup (compile time only)
; SGPRBlocks: 0
; VGPRBlocks: 0
; NumSGPRsForWavesPerEU: 23
; NumVGPRsForWavesPerEU: 12
; NamedBarCnt: 0
; Occupancy: 16
; WaveLimiterHint : 0
; COMPUTE_PGM_RSRC2:SCRATCH_EN: 0
; COMPUTE_PGM_RSRC2:USER_SGPR: 2
; COMPUTE_PGM_RSRC2:TRAP_HANDLER: 0
; COMPUTE_PGM_RSRC2:TGID_X_EN: 1
; COMPUTE_PGM_RSRC2:TGID_Y_EN: 1
; COMPUTE_PGM_RSRC2:TGID_Z_EN: 1
; COMPUTE_PGM_RSRC2:TIDIG_COMP_CNT: 0
	.section	.text._ZL33flash_attn_stream_k_fixup_generalILi128ELi2ELi2EEvPfPK15HIP_vector_typeIfLj2EEiiiiS1_IjLj3EES5_S5_S5_,"axG",@progbits,_ZL33flash_attn_stream_k_fixup_generalILi128ELi2ELi2EEvPfPK15HIP_vector_typeIfLj2EEiiiiS1_IjLj3EES5_S5_S5_,comdat
	.globl	_ZL33flash_attn_stream_k_fixup_generalILi128ELi2ELi2EEvPfPK15HIP_vector_typeIfLj2EEiiiiS1_IjLj3EES5_S5_S5_ ; -- Begin function _ZL33flash_attn_stream_k_fixup_generalILi128ELi2ELi2EEvPfPK15HIP_vector_typeIfLj2EEiiiiS1_IjLj3EES5_S5_S5_
	.p2align	8
	.type	_ZL33flash_attn_stream_k_fixup_generalILi128ELi2ELi2EEvPfPK15HIP_vector_typeIfLj2EEiiiiS1_IjLj3EES5_S5_S5_,@function
_ZL33flash_attn_stream_k_fixup_generalILi128ELi2ELi2EEvPfPK15HIP_vector_typeIfLj2EEiiiiS1_IjLj3EES5_S5_S5_: ; @_ZL33flash_attn_stream_k_fixup_generalILi128ELi2ELi2EEvPfPK15HIP_vector_typeIfLj2EEiiiiS1_IjLj3EES5_S5_S5_
; %bb.0:
	s_clause 0x1
	s_load_b128 s[4:7], s[0:1], 0x10
	s_load_b32 s16, s[0:1], 0x50
	s_bfe_u32 s2, ttmp6, 0x4000c
	s_and_b32 s3, ttmp6, 15
	s_add_co_i32 s2, s2, 1
	s_getreg_b32 s15, hwreg(HW_REG_IB_STS2, 6, 4)
	s_mul_i32 s2, ttmp9, s2
	s_mov_b32 s17, 0
	s_add_co_i32 s3, s3, s2
	s_cmp_eq_u32 s15, 0
	s_cselect_b32 s2, ttmp9, s3
	s_delay_alu instid0(SALU_CYCLE_1) | instskip(SKIP_3) | instid1(SALU_CYCLE_1)
	s_ashr_i32 s3, s2, 31
	s_wait_kmcnt 0x0
	s_ashr_i32 s19, s7, 31
	s_mov_b32 s18, s7
	s_mul_u64 s[8:9], s[18:19], s[2:3]
	s_delay_alu instid0(SALU_CYCLE_1) | instskip(NEXT) | instid1(SALU_CYCLE_1)
	s_and_b64 s[10:11], s[8:9], 0xffffffff00000000
	s_cmp_lg_u64 s[10:11], 0
	s_cbranch_scc0 .LBB48_21
; %bb.1:
	s_add_nc_u64 s[10:11], s[16:17], 0
	s_mov_b32 s23, s17
	s_xor_b64 s[10:11], s[10:11], 0
	s_mov_b32 s27, s17
	s_cvt_f32_u32 s3, s10
	s_cvt_f32_u32 s7, s11
	s_sub_nc_u64 s[20:21], 0, s[10:11]
	s_delay_alu instid0(SALU_CYCLE_2) | instskip(NEXT) | instid1(SALU_CYCLE_3)
	s_fmamk_f32 s3, s7, 0x4f800000, s3
	v_s_rcp_f32 s3, s3
	s_delay_alu instid0(TRANS32_DEP_1) | instskip(NEXT) | instid1(SALU_CYCLE_3)
	s_mul_f32 s3, s3, 0x5f7ffffc
	s_mul_f32 s7, s3, 0x2f800000
	s_delay_alu instid0(SALU_CYCLE_3) | instskip(NEXT) | instid1(SALU_CYCLE_3)
	s_trunc_f32 s7, s7
	s_fmamk_f32 s3, s7, 0xcf800000, s3
	s_cvt_u32_f32 s13, s7
	s_delay_alu instid0(SALU_CYCLE_2) | instskip(NEXT) | instid1(SALU_CYCLE_3)
	s_cvt_u32_f32 s12, s3
	s_mul_u64 s[24:25], s[20:21], s[12:13]
	s_delay_alu instid0(SALU_CYCLE_1)
	s_mul_hi_u32 s29, s12, s25
	s_mul_i32 s28, s12, s25
	s_mul_hi_u32 s22, s12, s24
	s_mul_i32 s7, s13, s24
	s_add_nc_u64 s[22:23], s[22:23], s[28:29]
	s_mul_hi_u32 s3, s13, s24
	s_mul_hi_u32 s14, s13, s25
	s_add_co_u32 s7, s22, s7
	s_add_co_ci_u32 s26, s23, s3
	s_mul_i32 s24, s13, s25
	s_add_co_ci_u32 s25, s14, 0
	s_delay_alu instid0(SALU_CYCLE_1) | instskip(SKIP_3) | instid1(SALU_CYCLE_1)
	s_add_nc_u64 s[22:23], s[26:27], s[24:25]
	s_mov_b32 s25, s17
	s_add_co_u32 s12, s12, s22
	s_cselect_b32 s3, -1, 0
	s_cmp_lg_u32 s3, 0
	s_add_co_ci_u32 s13, s13, s23
	s_mov_b32 s23, s17
	s_mul_u64 s[20:21], s[20:21], s[12:13]
	s_delay_alu instid0(SALU_CYCLE_1)
	s_mul_hi_u32 s27, s12, s21
	s_mul_i32 s26, s12, s21
	s_mul_hi_u32 s22, s12, s20
	s_mul_i32 s7, s13, s20
	s_add_nc_u64 s[22:23], s[22:23], s[26:27]
	s_mul_hi_u32 s3, s13, s20
	s_mul_hi_u32 s14, s13, s21
	s_add_co_u32 s7, s22, s7
	s_add_co_ci_u32 s24, s23, s3
	s_mul_i32 s20, s13, s21
	s_add_co_ci_u32 s21, s14, 0
	s_mov_b32 s23, s17
	s_add_nc_u64 s[20:21], s[24:25], s[20:21]
	s_delay_alu instid0(SALU_CYCLE_1) | instskip(SKIP_1) | instid1(SALU_CYCLE_1)
	s_add_co_u32 s3, s12, s20
	s_cselect_b32 s7, -1, 0
	s_cmp_lg_u32 s7, 0
	s_add_co_ci_u32 s7, s13, s21
	s_ashr_i32 s12, s9, 31
	s_delay_alu instid0(SALU_CYCLE_1) | instskip(NEXT) | instid1(SALU_CYCLE_1)
	s_mov_b32 s13, s12
	s_add_nc_u64 s[20:21], s[8:9], s[12:13]
	s_delay_alu instid0(SALU_CYCLE_1) | instskip(NEXT) | instid1(SALU_CYCLE_1)
	s_xor_b64 s[20:21], s[20:21], s[12:13]
	s_mul_hi_u32 s27, s20, s7
	s_mul_i32 s26, s20, s7
	s_mul_hi_u32 s22, s20, s3
	s_mul_hi_u32 s14, s21, s3
	s_mul_i32 s3, s21, s3
	s_add_nc_u64 s[22:23], s[22:23], s[26:27]
	s_mul_hi_u32 s9, s21, s7
	s_add_co_u32 s3, s22, s3
	s_add_co_ci_u32 s24, s23, s14
	s_mul_i32 s26, s21, s7
	s_add_co_ci_u32 s27, s9, 0
	s_delay_alu instid0(SALU_CYCLE_1) | instskip(NEXT) | instid1(SALU_CYCLE_1)
	s_add_nc_u64 s[22:23], s[24:25], s[26:27]
	s_and_b64 s[24:25], s[22:23], 0xffffffff00000000
	s_delay_alu instid0(SALU_CYCLE_1) | instskip(NEXT) | instid1(SALU_CYCLE_1)
	s_or_b32 s24, s24, s22
	s_mul_u64 s[22:23], s[10:11], s[24:25]
	s_add_nc_u64 s[26:27], s[24:25], 1
	s_sub_co_u32 s3, s20, s22
	s_cselect_b32 s7, -1, 0
	s_sub_co_i32 s9, s21, s23
	s_cmp_lg_u32 s7, 0
	s_add_nc_u64 s[28:29], s[24:25], 2
	s_sub_co_ci_u32 s9, s9, s11
	s_sub_co_u32 s14, s3, s10
	s_cselect_b32 s20, -1, 0
	s_delay_alu instid0(SALU_CYCLE_1) | instskip(SKIP_1) | instid1(SALU_CYCLE_1)
	s_cmp_lg_u32 s20, 0
	s_sub_co_ci_u32 s9, s9, 0
	s_cmp_ge_u32 s9, s11
	s_cselect_b32 s20, -1, 0
	s_cmp_ge_u32 s14, s10
	s_cselect_b32 s14, -1, 0
	s_cmp_eq_u32 s9, s11
	s_cselect_b32 s9, s14, s20
	s_delay_alu instid0(SALU_CYCLE_1) | instskip(SKIP_4) | instid1(SALU_CYCLE_1)
	s_cmp_lg_u32 s9, 0
	s_cselect_b32 s9, s28, s26
	s_cselect_b32 s14, s29, s27
	s_cmp_lg_u32 s7, 0
	s_sub_co_ci_u32 s7, s21, s23
	s_cmp_ge_u32 s7, s11
	s_cselect_b32 s20, -1, 0
	s_cmp_ge_u32 s3, s10
	s_cselect_b32 s3, -1, 0
	s_cmp_eq_u32 s7, s11
	s_cselect_b32 s3, s3, s20
	s_delay_alu instid0(SALU_CYCLE_1) | instskip(SKIP_4) | instid1(SALU_CYCLE_1)
	s_cmp_lg_u32 s3, 0
	s_mov_b32 s3, s17
	s_cselect_b32 s11, s14, s25
	s_cselect_b32 s10, s9, s24
	s_xor_b64 s[12:13], s[12:13], 0
	s_xor_b64 s[10:11], s[10:11], s[12:13]
	s_delay_alu instid0(SALU_CYCLE_1)
	s_sub_nc_u64 s[20:21], s[10:11], s[12:13]
	s_and_not1_b32 vcc_lo, exec_lo, s3
	s_cbranch_vccnz .LBB48_3
.LBB48_2:
	v_cvt_f32_u32_e32 v1, s16
	s_sub_co_i32 s7, 0, s16
	s_mov_b32 s21, 0
	s_delay_alu instid0(VALU_DEP_1) | instskip(SKIP_1) | instid1(TRANS32_DEP_1)
	v_rcp_iflag_f32_e32 v1, v1
	v_nop
	v_mul_f32_e32 v1, 0x4f7ffffe, v1
	s_delay_alu instid0(VALU_DEP_1) | instskip(NEXT) | instid1(VALU_DEP_1)
	v_cvt_u32_f32_e32 v1, v1
	v_readfirstlane_b32 s3, v1
	s_mul_i32 s7, s7, s3
	s_delay_alu instid0(SALU_CYCLE_1) | instskip(NEXT) | instid1(SALU_CYCLE_1)
	s_mul_hi_u32 s7, s3, s7
	s_add_co_i32 s3, s3, s7
	s_delay_alu instid0(SALU_CYCLE_1) | instskip(NEXT) | instid1(SALU_CYCLE_1)
	s_mul_hi_u32 s3, s8, s3
	s_mul_i32 s7, s3, s16
	s_delay_alu instid0(SALU_CYCLE_1)
	s_sub_co_i32 s7, s8, s7
	s_add_co_i32 s8, s3, 1
	s_sub_co_i32 s9, s7, s16
	s_cmp_ge_u32 s7, s16
	s_cselect_b32 s3, s8, s3
	s_cselect_b32 s7, s9, s7
	s_add_co_i32 s8, s3, 1
	s_cmp_ge_u32 s7, s16
	s_cselect_b32 s20, s8, s3
.LBB48_3:
	s_add_co_i32 s8, s2, 1
	s_delay_alu instid0(SALU_CYCLE_1) | instskip(NEXT) | instid1(SALU_CYCLE_1)
	s_ashr_i32 s9, s8, 31
	s_mul_u64 s[8:9], s[18:19], s[8:9]
	s_delay_alu instid0(SALU_CYCLE_1) | instskip(NEXT) | instid1(SALU_CYCLE_1)
	s_and_b64 s[10:11], s[8:9], 0xffffffff00000000
	s_cmp_lg_u64 s[10:11], 0
	s_cbranch_scc0 .LBB48_22
; %bb.4:
	s_add_nc_u64 s[10:11], s[16:17], 0
	s_delay_alu instid0(SALU_CYCLE_1) | instskip(SKIP_4) | instid1(SALU_CYCLE_2)
	s_xor_b64 s[12:13], s[10:11], 0
	s_mov_b32 s11, 0
	s_cvt_f32_u32 s3, s12
	s_cvt_f32_u32 s7, s13
	s_sub_nc_u64 s[24:25], 0, s[12:13]
	s_fmamk_f32 s3, s7, 0x4f800000, s3
	s_delay_alu instid0(SALU_CYCLE_3) | instskip(NEXT) | instid1(TRANS32_DEP_1)
	v_s_rcp_f32 s3, s3
	s_mul_f32 s3, s3, 0x5f7ffffc
	s_delay_alu instid0(SALU_CYCLE_3) | instskip(NEXT) | instid1(SALU_CYCLE_3)
	s_mul_f32 s7, s3, 0x2f800000
	s_trunc_f32 s7, s7
	s_delay_alu instid0(SALU_CYCLE_3) | instskip(SKIP_1) | instid1(SALU_CYCLE_2)
	s_fmamk_f32 s3, s7, 0xcf800000, s3
	s_cvt_u32_f32 s23, s7
	s_cvt_u32_f32 s22, s3
	s_delay_alu instid0(SALU_CYCLE_3) | instskip(NEXT) | instid1(SALU_CYCLE_1)
	s_mul_u64 s[26:27], s[24:25], s[22:23]
	s_mul_hi_u32 s29, s22, s27
	s_mul_i32 s28, s22, s27
	s_mul_hi_u32 s10, s22, s26
	s_mul_i32 s7, s23, s26
	s_add_nc_u64 s[28:29], s[10:11], s[28:29]
	s_mul_hi_u32 s3, s23, s26
	s_mul_hi_u32 s14, s23, s27
	s_add_co_u32 s7, s28, s7
	s_add_co_ci_u32 s10, s29, s3
	s_mul_i32 s26, s23, s27
	s_add_co_ci_u32 s27, s14, 0
	s_delay_alu instid0(SALU_CYCLE_1) | instskip(NEXT) | instid1(SALU_CYCLE_1)
	s_add_nc_u64 s[26:27], s[10:11], s[26:27]
	s_add_co_u32 s22, s22, s26
	s_cselect_b32 s3, -1, 0
	s_delay_alu instid0(SALU_CYCLE_1) | instskip(SKIP_1) | instid1(SALU_CYCLE_1)
	s_cmp_lg_u32 s3, 0
	s_add_co_ci_u32 s23, s23, s27
	s_mul_u64 s[24:25], s[24:25], s[22:23]
	s_delay_alu instid0(SALU_CYCLE_1)
	s_mul_hi_u32 s27, s22, s25
	s_mul_i32 s26, s22, s25
	s_mul_hi_u32 s10, s22, s24
	s_mul_i32 s7, s23, s24
	s_add_nc_u64 s[26:27], s[10:11], s[26:27]
	s_mul_hi_u32 s3, s23, s24
	s_mul_hi_u32 s14, s23, s25
	s_add_co_u32 s7, s26, s7
	s_add_co_ci_u32 s10, s27, s3
	s_mul_i32 s24, s23, s25
	s_add_co_ci_u32 s25, s14, 0
	s_delay_alu instid0(SALU_CYCLE_1) | instskip(NEXT) | instid1(SALU_CYCLE_1)
	s_add_nc_u64 s[24:25], s[10:11], s[24:25]
	s_add_co_u32 s3, s22, s24
	s_cselect_b32 s7, -1, 0
	s_delay_alu instid0(SALU_CYCLE_1) | instskip(SKIP_2) | instid1(SALU_CYCLE_1)
	s_cmp_lg_u32 s7, 0
	s_add_co_ci_u32 s7, s23, s25
	s_ashr_i32 s22, s9, 31
	s_mov_b32 s23, s22
	s_delay_alu instid0(SALU_CYCLE_1) | instskip(NEXT) | instid1(SALU_CYCLE_1)
	s_add_nc_u64 s[24:25], s[8:9], s[22:23]
	s_xor_b64 s[24:25], s[24:25], s[22:23]
	s_delay_alu instid0(SALU_CYCLE_1)
	s_mul_hi_u32 s27, s24, s7
	s_mul_i32 s26, s24, s7
	s_mul_hi_u32 s10, s24, s3
	s_mul_hi_u32 s14, s25, s3
	s_mul_i32 s3, s25, s3
	s_add_nc_u64 s[26:27], s[10:11], s[26:27]
	s_mul_hi_u32 s9, s25, s7
	s_add_co_u32 s3, s26, s3
	s_add_co_ci_u32 s10, s27, s14
	s_mul_i32 s28, s25, s7
	s_add_co_ci_u32 s29, s9, 0
	s_delay_alu instid0(SALU_CYCLE_1) | instskip(NEXT) | instid1(SALU_CYCLE_1)
	s_add_nc_u64 s[26:27], s[10:11], s[28:29]
	s_and_b64 s[28:29], s[26:27], 0xffffffff00000000
	s_delay_alu instid0(SALU_CYCLE_1) | instskip(NEXT) | instid1(SALU_CYCLE_1)
	s_or_b32 s28, s28, s26
	s_mul_u64 s[26:27], s[12:13], s[28:29]
	s_add_nc_u64 s[30:31], s[28:29], 1
	s_sub_co_u32 s3, s24, s26
	s_cselect_b32 s7, -1, 0
	s_sub_co_i32 s9, s25, s27
	s_cmp_lg_u32 s7, 0
	s_add_nc_u64 s[34:35], s[28:29], 2
	s_sub_co_ci_u32 s9, s9, s13
	s_sub_co_u32 s10, s3, s12
	s_cselect_b32 s14, -1, 0
	s_delay_alu instid0(SALU_CYCLE_1) | instskip(SKIP_1) | instid1(SALU_CYCLE_1)
	s_cmp_lg_u32 s14, 0
	s_sub_co_ci_u32 s9, s9, 0
	s_cmp_ge_u32 s9, s13
	s_cselect_b32 s14, -1, 0
	s_cmp_ge_u32 s10, s12
	s_cselect_b32 s10, -1, 0
	s_cmp_eq_u32 s9, s13
	s_cselect_b32 s9, s10, s14
	s_delay_alu instid0(SALU_CYCLE_1) | instskip(SKIP_4) | instid1(SALU_CYCLE_1)
	s_cmp_lg_u32 s9, 0
	s_cselect_b32 s9, s34, s30
	s_cselect_b32 s10, s35, s31
	s_cmp_lg_u32 s7, 0
	s_sub_co_ci_u32 s7, s25, s27
	s_cmp_ge_u32 s7, s13
	s_cselect_b32 s14, -1, 0
	s_cmp_ge_u32 s3, s12
	s_cselect_b32 s3, -1, 0
	s_cmp_eq_u32 s7, s13
	s_cselect_b32 s3, s3, s14
	s_delay_alu instid0(SALU_CYCLE_1) | instskip(SKIP_3) | instid1(SALU_CYCLE_1)
	s_cmp_lg_u32 s3, 0
	s_cselect_b32 s13, s10, s29
	s_cselect_b32 s12, s9, s28
	s_xor_b64 s[22:23], s[22:23], 0
	s_xor_b64 s[12:13], s[12:13], s[22:23]
	s_delay_alu instid0(SALU_CYCLE_1)
	s_sub_nc_u64 s[24:25], s[12:13], s[22:23]
	s_load_b96 s[12:14], s[0:1], 0x44
	s_cbranch_execnz .LBB48_6
.LBB48_5:
	v_cvt_f32_u32_e32 v1, s16
	s_sub_co_i32 s7, 0, s16
	s_delay_alu instid0(VALU_DEP_1) | instskip(SKIP_1) | instid1(TRANS32_DEP_1)
	v_rcp_iflag_f32_e32 v1, v1
	v_nop
	v_mul_f32_e32 v1, 0x4f7ffffe, v1
	s_delay_alu instid0(VALU_DEP_1) | instskip(NEXT) | instid1(VALU_DEP_1)
	v_cvt_u32_f32_e32 v1, v1
	v_readfirstlane_b32 s3, v1
	s_mul_i32 s7, s7, s3
	s_delay_alu instid0(SALU_CYCLE_1) | instskip(NEXT) | instid1(SALU_CYCLE_1)
	s_mul_hi_u32 s7, s3, s7
	s_add_co_i32 s3, s3, s7
	s_delay_alu instid0(SALU_CYCLE_1) | instskip(NEXT) | instid1(SALU_CYCLE_1)
	s_mul_hi_u32 s3, s8, s3
	s_mul_i32 s7, s3, s16
	s_delay_alu instid0(SALU_CYCLE_1)
	s_sub_co_i32 s7, s8, s7
	s_add_co_i32 s8, s3, 1
	s_sub_co_i32 s9, s7, s16
	s_cmp_ge_u32 s7, s16
	s_cselect_b32 s3, s8, s3
	s_cselect_b32 s7, s9, s7
	s_add_co_i32 s8, s3, 1
	s_cmp_ge_u32 s7, s16
	s_cselect_b32 s24, s8, s3
.LBB48_6:
	s_delay_alu instid0(SALU_CYCLE_1)
	s_cmp_eq_u32 s20, s24
	s_mov_b64 s[8:9], 0xffffffff
	s_cselect_b32 s3, -1, 0
	s_and_b64 s[8:9], s[20:21], s[8:9]
	s_mov_b32 s23, 0
	s_wait_kmcnt 0x0
	s_mov_b32 s22, s12
	s_mov_b32 s25, s23
	s_mul_u64 s[10:11], s[8:9], s[22:23]
	s_delay_alu instid0(SALU_CYCLE_1) | instskip(SKIP_2) | instid1(SALU_CYCLE_1)
	s_add_co_i32 s7, s11, s20
	s_mul_u64 s[10:11], s[24:25], s[22:23]
	s_lshr_b32 s12, s7, s13
	s_mul_i32 s7, s12, s14
	s_delay_alu instid0(SALU_CYCLE_1) | instskip(SKIP_2) | instid1(SALU_CYCLE_1)
	s_cmp_eq_u32 s7, s20
	s_cselect_b32 s7, -1, 0
	s_add_co_i32 s10, s11, s24
	s_lshr_b32 s10, s10, s13
	s_delay_alu instid0(SALU_CYCLE_1)
	s_cmp_eq_u32 s12, s10
	s_mul_i32 s10, s10, s14
	s_cselect_b32 s11, -1, 0
	s_cmp_lg_u32 s10, s24
	s_cselect_b32 s10, -1, 0
	s_or_b32 s3, s3, s7
	s_and_b32 s10, s11, s10
	s_delay_alu instid0(SALU_CYCLE_1) | instskip(NEXT) | instid1(SALU_CYCLE_1)
	s_or_b32 s3, s3, s10
	s_and_b32 vcc_lo, exec_lo, s3
	s_cbranch_vccnz .LBB48_24
; %bb.7:
	s_load_b256 s[24:31], s[0:1], 0x20
	s_bfe_u32 s7, ttmp6, 0x40014
	s_bfe_u32 s33, ttmp6, 0x40010
	s_lshr_b32 s3, ttmp7, 16
	s_add_co_i32 s7, s7, 1
	s_and_b32 s21, ttmp7, 0xffff
	s_add_co_i32 s33, s33, 1
	s_bfe_u32 s10, ttmp6, 0x40008
	s_mul_i32 s7, s3, s7
	s_bfe_u32 s34, ttmp6, 0x40004
	s_mul_i32 s33, s21, s33
	s_mov_b32 s11, s23
	s_add_co_i32 s35, s10, s7
	s_add_co_i32 s34, s34, s33
	s_cmp_eq_u32 s15, 0
	s_cselect_b32 s7, s21, s34
	s_cselect_b32 s3, s3, s35
	s_wait_kmcnt 0x0
	s_mov_b32 s10, s24
	s_delay_alu instid0(SALU_CYCLE_1) | instskip(NEXT) | instid1(SALU_CYCLE_1)
	s_mul_u64 s[8:9], s[8:9], s[10:11]
	s_add_co_i32 s8, s9, s20
	s_load_b32 s9, s[0:1], 0x40
	s_lshr_b32 s8, s8, s25
	s_delay_alu instid0(SALU_CYCLE_1) | instskip(NEXT) | instid1(SALU_CYCLE_1)
	s_mul_i32 s10, s8, s26
	s_sub_co_i32 s10, s20, s10
	s_delay_alu instid0(SALU_CYCLE_1) | instskip(NEXT) | instid1(SALU_CYCLE_1)
	s_mul_hi_u32 s11, s10, s27
	s_add_co_i32 s11, s10, s11
	s_delay_alu instid0(SALU_CYCLE_1) | instskip(NEXT) | instid1(SALU_CYCLE_1)
	s_lshr_b32 s15, s11, s28
	s_mul_i32 s11, s15, s29
	s_delay_alu instid0(SALU_CYCLE_1) | instskip(NEXT) | instid1(SALU_CYCLE_1)
	s_sub_co_i32 s10, s10, s11
	s_mul_hi_u32 s11, s10, s30
	s_delay_alu instid0(SALU_CYCLE_1) | instskip(NEXT) | instid1(SALU_CYCLE_1)
	s_add_co_i32 s11, s10, s11
	s_lshr_b32 s26, s11, s31
	s_mov_b32 s11, s23
	s_wait_kmcnt 0x0
	s_mul_i32 s9, s26, s9
	s_delay_alu instid0(SALU_CYCLE_1) | instskip(NEXT) | instid1(SALU_CYCLE_1)
	s_sub_co_i32 s10, s10, s9
	s_mul_u64 s[24:25], s[10:11], s[22:23]
	s_lshl_b32 s24, s26, 1
	s_add_co_i32 s9, s10, s25
	s_delay_alu instid0(SALU_CYCLE_1) | instskip(NEXT) | instid1(SALU_CYCLE_1)
	s_lshr_b32 s21, s9, s13
	s_lshl_b32 s9, s21, 1
	s_delay_alu instid0(SALU_CYCLE_1) | instskip(NEXT) | instid1(SALU_CYCLE_1)
	s_add_co_i32 s9, s9, s7
	s_cmp_lt_i32 s9, s4
	s_cselect_b32 s9, -1, 0
	s_add_co_i32 s10, s24, s3
	s_delay_alu instid0(SALU_CYCLE_1) | instskip(SKIP_1) | instid1(SALU_CYCLE_1)
	s_cmp_lt_i32 s10, s6
	s_cselect_b32 s10, -1, 0
	s_and_b32 s9, s9, s10
	s_delay_alu instid0(SALU_CYCLE_1)
	s_and_not1_b32 vcc_lo, exec_lo, s9
	s_cbranch_vccnz .LBB48_24
; %bb.8:
	s_mul_i32 s4, s8, s4
	s_load_b128 s[8:11], s[0:1], 0x0
	s_wait_xcnt 0x0
	s_add_co_i32 s0, s4, s7
	s_mul_i32 s15, s15, s6
	s_mul_i32 s0, s0, s5
	;; [unrolled: 1-line block ×3, first 2 shown]
	s_add_co_i32 s0, s0, s3
	s_lshl_b32 s1, s1, 8
	s_add_co_i32 s0, s0, s15
	s_lshl_b32 s15, s7, 1
	s_add_co_i32 s0, s0, s24
	s_add_co_i32 s15, s15, s3
	s_lshl_b32 s0, s0, 7
	v_lshl_or_b32 v6, s15, 7, v0
	s_add_co_i32 s1, s1, s0
	v_cvt_f32_u32_e32 v4, s16
	v_or_b32_e32 v2, s1, v0
	s_add_nc_u64 s[0:1], s[16:17], 0
	s_lshl_b32 s24, s16, 4
	s_xor_b64 s[6:7], s[0:1], 0
	s_lshl_b32 s0, s2, 2
	s_cvt_f32_u32 s3, s6
	s_add_co_i32 s0, s15, s0
	s_cvt_f32_u32 s4, s7
	s_ashr_i32 s1, s0, 31
	v_rcp_iflag_f32_e32 v4, v4
	s_lshl_b64 s[0:1], s[0:1], 3
	s_fmamk_f32 s3, s4, 0x4f800000, s3
	s_wait_kmcnt 0x0
	s_add_nc_u64 s[0:1], s[10:11], s[0:1]
	s_mov_b32 s25, 0
	s_load_b64 s[28:29], s[0:1], 0x0
	v_s_rcp_f32 s3, s3
	s_wait_xcnt 0x0
	s_lshl_b64 s[0:1], s[24:25], 2
	s_add_co_i32 s36, s2, -1
	s_add_nc_u64 s[26:27], s[10:11], s[0:1]
	s_sub_nc_u64 s[34:35], 0, s[6:7]
	v_mul_f32_e32 v4, 0x4f7ffffe, v4
	s_delay_alu instid0(TRANS32_DEP_1) | instskip(NEXT) | instid1(VALU_DEP_1)
	s_mul_f32 s3, s3, 0x5f7ffffc
	v_cvt_u32_f32_e32 v7, v4
	s_delay_alu instid0(SALU_CYCLE_2) | instskip(NEXT) | instid1(SALU_CYCLE_3)
	s_mul_f32 s4, s3, 0x2f800000
	s_trunc_f32 s4, s4
	s_wait_kmcnt 0x0
	v_mov_b32_e32 v0, s29
	global_load_b32 v1, v2, s[8:9] scale_offset
	v_ashrrev_i32_e32 v3, 31, v2
	s_fmamk_f32 s0, s4, 0xcf800000, s3
	s_cvt_u32_f32 s31, s4
	s_wait_xcnt 0x0
	s_delay_alu instid0(VALU_DEP_1)
	v_lshl_add_u64 v[2:3], v[2:3], 2, s[8:9]
	s_cvt_u32_f32 s30, s0
	s_mov_b64 s[8:9], 0xffffffff
.LBB48_9:                               ; =>This Inner Loop Header: Depth=1
	s_ashr_i32 s37, s36, 31
                                        ; implicit-def: $sgpr40_sgpr41
	s_delay_alu instid0(SALU_CYCLE_1) | instskip(NEXT) | instid1(SALU_CYCLE_1)
	s_mul_u64 s[0:1], s[36:37], s[18:19]
	s_and_b64 s[2:3], s[0:1], 0xffffffff00000000
	s_delay_alu instid0(SALU_CYCLE_1)
	s_cmp_lg_u64 s[2:3], 0
	s_mov_b32 s2, -1
	s_cbranch_scc0 .LBB48_11
; %bb.10:                               ;   in Loop: Header=BB48_9 Depth=1
	s_mul_u64 s[2:3], s[34:35], s[30:31]
	s_delay_alu instid0(SALU_CYCLE_1)
	s_mul_hi_u32 s5, s30, s3
	s_mul_i32 s4, s30, s3
	s_mul_hi_u32 s24, s30, s2
	s_mul_hi_u32 s17, s31, s2
	s_add_nc_u64 s[4:5], s[24:25], s[4:5]
	s_mul_i32 s2, s31, s2
	s_mul_hi_u32 s21, s31, s3
	s_add_co_u32 s2, s4, s2
	s_add_co_ci_u32 s24, s5, s17
	s_add_co_ci_u32 s5, s21, 0
	s_mul_i32 s4, s31, s3
	s_delay_alu instid0(SALU_CYCLE_1) | instskip(NEXT) | instid1(SALU_CYCLE_1)
	s_add_nc_u64 s[2:3], s[24:25], s[4:5]
	s_add_co_u32 s2, s30, s2
	s_cselect_b32 s4, -1, 0
	s_delay_alu instid0(SALU_CYCLE_1) | instskip(SKIP_1) | instid1(SALU_CYCLE_1)
	s_cmp_lg_u32 s4, 0
	s_add_co_ci_u32 s3, s31, s3
	s_mul_u64 s[4:5], s[34:35], s[2:3]
	s_delay_alu instid0(SALU_CYCLE_1)
	s_mul_hi_u32 s39, s2, s5
	s_mul_i32 s38, s2, s5
	s_mul_hi_u32 s24, s2, s4
	s_mul_hi_u32 s17, s3, s4
	s_mul_i32 s4, s3, s4
	s_add_nc_u64 s[38:39], s[24:25], s[38:39]
	s_mul_hi_u32 s21, s3, s5
	s_add_co_u32 s4, s38, s4
	s_add_co_ci_u32 s24, s39, s17
	s_mul_i32 s4, s3, s5
	s_add_co_ci_u32 s5, s21, 0
	s_delay_alu instid0(SALU_CYCLE_1) | instskip(NEXT) | instid1(SALU_CYCLE_1)
	s_add_nc_u64 s[4:5], s[24:25], s[4:5]
	s_add_co_u32 s17, s2, s4
	s_cselect_b32 s2, -1, 0
	s_delay_alu instid0(SALU_CYCLE_1) | instskip(SKIP_2) | instid1(SALU_CYCLE_1)
	s_cmp_lg_u32 s2, 0
	s_add_co_ci_u32 s21, s3, s5
	s_ashr_i32 s2, s1, 31
	s_mov_b32 s3, s2
	s_delay_alu instid0(SALU_CYCLE_1) | instskip(NEXT) | instid1(SALU_CYCLE_1)
	s_add_nc_u64 s[4:5], s[0:1], s[2:3]
	s_xor_b64 s[4:5], s[4:5], s[2:3]
	s_delay_alu instid0(SALU_CYCLE_1)
	s_mul_hi_u32 s39, s4, s21
	s_mul_i32 s38, s4, s21
	s_mul_hi_u32 s24, s4, s17
	s_mul_hi_u32 s29, s5, s17
	s_mul_i32 s17, s5, s17
	s_add_nc_u64 s[38:39], s[24:25], s[38:39]
	s_mul_hi_u32 s1, s5, s21
	s_add_co_u32 s17, s38, s17
	s_add_co_ci_u32 s24, s39, s29
	s_mul_i32 s40, s5, s21
	s_add_co_ci_u32 s41, s1, 0
	s_delay_alu instid0(SALU_CYCLE_1) | instskip(NEXT) | instid1(SALU_CYCLE_1)
	s_add_nc_u64 s[38:39], s[24:25], s[40:41]
	s_and_b64 s[40:41], s[38:39], 0xffffffff00000000
	s_delay_alu instid0(SALU_CYCLE_1) | instskip(NEXT) | instid1(SALU_CYCLE_1)
	s_or_b32 s40, s40, s38
	s_mul_u64 s[38:39], s[6:7], s[40:41]
	s_add_nc_u64 s[42:43], s[40:41], 1
	s_sub_co_u32 s1, s4, s38
	s_cselect_b32 s4, -1, 0
	s_sub_co_i32 s17, s5, s39
	s_cmp_lg_u32 s4, 0
	s_add_nc_u64 s[44:45], s[40:41], 2
	s_sub_co_ci_u32 s17, s17, s7
	s_sub_co_u32 s21, s1, s6
	s_cselect_b32 s24, -1, 0
	s_delay_alu instid0(SALU_CYCLE_1) | instskip(SKIP_1) | instid1(SALU_CYCLE_1)
	s_cmp_lg_u32 s24, 0
	s_sub_co_ci_u32 s17, s17, 0
	s_cmp_ge_u32 s17, s7
	s_cselect_b32 s24, -1, 0
	s_cmp_ge_u32 s21, s6
	s_cselect_b32 s21, -1, 0
	s_cmp_eq_u32 s17, s7
	s_cselect_b32 s17, s21, s24
	s_delay_alu instid0(SALU_CYCLE_1) | instskip(SKIP_4) | instid1(SALU_CYCLE_1)
	s_cmp_lg_u32 s17, 0
	s_cselect_b32 s17, s44, s42
	s_cselect_b32 s21, s45, s43
	s_cmp_lg_u32 s4, 0
	s_sub_co_ci_u32 s4, s5, s39
	s_cmp_ge_u32 s4, s7
	s_cselect_b32 s5, -1, 0
	s_cmp_ge_u32 s1, s6
	s_cselect_b32 s1, -1, 0
	s_cmp_eq_u32 s4, s7
	s_cselect_b32 s1, s1, s5
	s_delay_alu instid0(SALU_CYCLE_1) | instskip(SKIP_3) | instid1(SALU_CYCLE_1)
	s_cmp_lg_u32 s1, 0
	s_cselect_b32 s5, s21, s41
	s_cselect_b32 s4, s17, s40
	s_xor_b64 s[2:3], s[2:3], 0
	s_xor_b64 s[4:5], s[4:5], s[2:3]
	s_delay_alu instid0(SALU_CYCLE_1)
	s_sub_nc_u64 s[40:41], s[4:5], s[2:3]
	s_mov_b32 s2, 0
.LBB48_11:                              ;   in Loop: Header=BB48_9 Depth=1
	s_delay_alu instid0(SALU_CYCLE_1)
	s_and_not1_b32 vcc_lo, exec_lo, s2
	s_cbranch_vccnz .LBB48_13
; %bb.12:                               ;   in Loop: Header=BB48_9 Depth=1
	v_readfirstlane_b32 s1, v7
	s_sub_co_i32 s2, 0, s16
	s_delay_alu instid0(SALU_CYCLE_1) | instskip(NEXT) | instid1(SALU_CYCLE_1)
	s_mul_i32 s2, s2, s1
	s_mul_hi_u32 s2, s1, s2
	s_delay_alu instid0(SALU_CYCLE_1) | instskip(NEXT) | instid1(SALU_CYCLE_1)
	s_add_co_i32 s1, s1, s2
	s_mul_hi_u32 s1, s0, s1
	s_delay_alu instid0(SALU_CYCLE_1) | instskip(NEXT) | instid1(SALU_CYCLE_1)
	s_mul_i32 s2, s1, s16
	s_sub_co_i32 s0, s0, s2
	s_add_co_i32 s2, s1, 1
	s_sub_co_i32 s3, s0, s16
	s_cmp_ge_u32 s0, s16
	s_cselect_b32 s1, s2, s1
	s_cselect_b32 s0, s3, s0
	s_add_co_i32 s2, s1, 1
	s_cmp_ge_u32 s0, s16
	s_cselect_b32 s24, s2, s1
	s_delay_alu instid0(SALU_CYCLE_1)
	s_mov_b64 s[40:41], s[24:25]
.LBB48_13:                              ;   in Loop: Header=BB48_9 Depth=1
	s_delay_alu instid0(SALU_CYCLE_1)
	s_cmp_lg_u32 s20, s40
	s_mov_b32 s0, -1
                                        ; implicit-def: $vgpr4_vgpr5
                                        ; implicit-def: $sgpr24
                                        ; implicit-def: $sgpr17
                                        ; implicit-def: $sgpr21
                                        ; implicit-def: $sgpr29
	s_cbranch_scc0 .LBB48_18
; %bb.14:                               ;   in Loop: Header=BB48_9 Depth=1
	s_add_co_i32 s0, s36, s16
	v_max_num_f32_e64 v4, s28, s28
	s_lshl_b32 s0, s0, 2
	s_mov_b32 s29, s20
	s_add_co_i32 s0, s0, s15
	s_load_b64 s[38:39], s[10:11], s0 offset:0x0 scale_offset
	s_wait_xcnt 0x0
	v_readfirstlane_b32 s0, v4
	s_wait_kmcnt 0x0
	v_max_num_f32_e64 v5, s38, s38
	s_delay_alu instid0(VALU_DEP_1) | instskip(SKIP_1) | instid1(SALU_CYCLE_3)
	v_readfirstlane_b32 s1, v5
	s_max_num_f32 s17, s0, s1
	s_sub_f32 s33, s28, s17
	s_sub_f32 s37, s38, s17
	s_delay_alu instid0(SALU_CYCLE_2)
	s_cmp_nlt_f32 s33, 0xc2ce8ed0
	s_cselect_b32 s1, -1, 0
	s_cmp_ngt_f32 s33, 0x42b17218
	s_cselect_b32 s2, -1, 0
	s_cmp_ge_f32 s33, 0xc1a00000
	s_cselect_b32 s0, -1, 0
	s_cmp_nlt_f32 s37, 0xc2ce8ed0
	s_cselect_b32 s3, -1, 0
	s_cmp_ngt_f32 s37, 0x42b17218
	s_cselect_b32 s4, -1, 0
	s_cmp_ge_f32 s37, 0xc1a00000
	s_cselect_b32 s5, -1, 0
	s_and_b64 s[42:43], s[40:41], s[8:9]
	s_delay_alu instid0(SALU_CYCLE_1) | instskip(NEXT) | instid1(SALU_CYCLE_1)
	s_mul_u64 s[42:43], s[42:43], s[22:23]
	s_add_co_i32 s21, s43, s40
	s_delay_alu instid0(SALU_CYCLE_1) | instskip(NEXT) | instid1(SALU_CYCLE_1)
	s_lshr_b32 s21, s21, s13
	s_mul_i32 s24, s21, s14
	s_delay_alu instid0(SALU_CYCLE_1) | instskip(SKIP_3) | instid1(SALU_CYCLE_1)
	s_cmp_eq_u32 s24, s40
	s_cselect_b32 s24, -1, 0
	s_cmp_lt_u32 s21, s12
	s_cselect_b32 s21, -1, 0
	s_or_b32 s21, s21, s24
	s_mov_b32 s24, -1
	s_and_b32 vcc_lo, exec_lo, s21
	s_mov_b32 s21, s36
	s_cbranch_vccnz .LBB48_16
; %bb.15:                               ;   in Loop: Header=BB48_9 Depth=1
	s_add_co_i32 s21, s36, -1
	s_mov_b32 s24, 0
	s_mov_b32 s29, s40
.LBB48_16:                              ;   in Loop: Header=BB48_9 Depth=1
	v_lshl_add_u32 v4, s36, 9, v6
	s_mul_f32 s40, s33, 0x3fb8aa3b
	s_mul_f32 s38, s37, 0x3fb8aa3b
	s_delay_alu instid0(SALU_CYCLE_2)
	s_xor_b32 s42, s40, 0x80000000
	global_load_b32 v5, v4, s[26:27] scale_offset
	s_fmamk_f32 s42, s33, 0x3fb8aa3b, s42
	s_rndne_f32 s44, s40
	s_xor_b32 s41, s38, 0x80000000
	s_rndne_f32 s43, s38
	s_fmamk_f32 s33, s33, 0x32a5705f, s42
	s_sub_f32 s40, s40, s44
	s_fmamk_f32 s41, s37, 0x3fb8aa3b, s41
	s_sub_f32 s38, s38, s43
	s_delay_alu instid0(SALU_CYCLE_1) | instskip(NEXT) | instid1(SALU_CYCLE_1)
	s_add_f32 s33, s40, s33
	s_fmamk_f32 s37, s37, 0x32a5705f, s41
	s_cvt_i32_f32 s40, s44
	s_delay_alu instid0(SALU_CYCLE_1) | instskip(NEXT) | instid1(SALU_CYCLE_1)
	v_s_exp_f32 s33, s33
	s_add_f32 s37, s38, s37
	s_cvt_i32_f32 s38, s43
	s_delay_alu instid0(SALU_CYCLE_2) | instskip(NEXT) | instid1(TRANS32_DEP_2)
	v_s_exp_f32 s37, s37
	v_ldexp_f32 v8, s33, s40
	s_wait_xcnt 0x0
	s_delay_alu instid0(TRANS32_DEP_1) | instskip(NEXT) | instid1(VALU_DEP_2)
	v_ldexp_f32 v4, s37, s38
	v_cndmask_b32_e64 v8, 0, v8, s1
	s_delay_alu instid0(VALU_DEP_1) | instskip(NEXT) | instid1(VALU_DEP_1)
	v_cndmask_b32_e64 v9, 0x7f800000, v8, s2
	v_dual_cndmask_b32 v4, 0, v4, s3 :: v_dual_cndmask_b32 v10, 0, v9, s0
	s_delay_alu instid0(VALU_DEP_1) | instskip(NEXT) | instid1(VALU_DEP_1)
	v_cndmask_b32_e64 v4, 0x7f800000, v4, s4
	v_dual_cndmask_b32 v8, 0, v4, s5 :: v_dual_mov_b32 v4, s39
	s_wait_loadcnt 0x0
	s_delay_alu instid0(VALU_DEP_1) | instskip(NEXT) | instid1(VALU_DEP_1)
	v_pk_mul_f32 v[4:5], v[4:5], v[8:9] op_sel_hi:[1,0]
	v_pk_fma_f32 v[4:5], v[0:1], v[10:11], v[4:5] op_sel_hi:[1,0,1]
	s_cbranch_execz .LBB48_19
.LBB48_17:                              ;   in Loop: Header=BB48_9 Depth=1
	s_and_not1_b32 vcc_lo, exec_lo, s24
	s_cbranch_vccnz .LBB48_20
	s_branch .LBB48_23
.LBB48_18:                              ;   in Loop: Header=BB48_9 Depth=1
	s_and_not1_b32 vcc_lo, exec_lo, s0
	s_cbranch_vccnz .LBB48_17
.LBB48_19:                              ;   in Loop: Header=BB48_9 Depth=1
	s_wait_loadcnt 0x0
	v_mov_b64_e32 v[4:5], v[0:1]
	s_add_co_i32 s21, s36, -1
	s_mov_b32 s29, s20
	s_mov_b32 s17, s28
	s_cbranch_execz .LBB48_23
.LBB48_20:                              ;   in Loop: Header=BB48_9 Depth=1
	s_wait_loadcnt 0x0
	s_delay_alu instid0(VALU_DEP_1)
	v_mov_b64_e32 v[0:1], v[4:5]
	s_mov_b32 s20, s29
	s_mov_b32 s36, s21
	;; [unrolled: 1-line block ×3, first 2 shown]
	s_branch .LBB48_9
.LBB48_21:
                                        ; implicit-def: $sgpr20_sgpr21
	s_branch .LBB48_2
.LBB48_22:
                                        ; implicit-def: $sgpr24_sgpr25
	s_load_b96 s[12:14], s[0:1], 0x44
	s_branch .LBB48_5
.LBB48_23:
	s_delay_alu instid0(VALU_DEP_1) | instskip(SKIP_1) | instid1(VALU_DEP_1)
	v_div_scale_f32 v0, null, v4, v4, v5
	s_wait_loadcnt 0x0
	v_rcp_f32_e32 v1, v0
	v_nop
	s_delay_alu instid0(TRANS32_DEP_1) | instskip(NEXT) | instid1(VALU_DEP_1)
	v_fma_f32 v6, -v0, v1, 1.0
	v_fmac_f32_e32 v1, v6, v1
	v_div_scale_f32 v6, vcc_lo, v5, v4, v5
	s_delay_alu instid0(VALU_DEP_1) | instskip(NEXT) | instid1(VALU_DEP_1)
	v_mul_f32_e32 v7, v6, v1
	v_fma_f32 v8, -v0, v7, v6
	s_delay_alu instid0(VALU_DEP_1) | instskip(NEXT) | instid1(VALU_DEP_1)
	v_fmac_f32_e32 v7, v8, v1
	v_fma_f32 v0, -v0, v7, v6
	s_delay_alu instid0(VALU_DEP_1) | instskip(NEXT) | instid1(VALU_DEP_1)
	v_div_fmas_f32 v0, v0, v1, v7
	v_div_fixup_f32 v0, v0, v4, v5
	global_store_b32 v[2:3], v0, off
.LBB48_24:
	s_endpgm
	.section	.rodata,"a",@progbits
	.p2align	6, 0x0
	.amdhsa_kernel _ZL33flash_attn_stream_k_fixup_generalILi128ELi2ELi2EEvPfPK15HIP_vector_typeIfLj2EEiiiiS1_IjLj3EES5_S5_S5_
		.amdhsa_group_segment_fixed_size 0
		.amdhsa_private_segment_fixed_size 0
		.amdhsa_kernarg_size 336
		.amdhsa_user_sgpr_count 2
		.amdhsa_user_sgpr_dispatch_ptr 0
		.amdhsa_user_sgpr_queue_ptr 0
		.amdhsa_user_sgpr_kernarg_segment_ptr 1
		.amdhsa_user_sgpr_dispatch_id 0
		.amdhsa_user_sgpr_kernarg_preload_length 0
		.amdhsa_user_sgpr_kernarg_preload_offset 0
		.amdhsa_user_sgpr_private_segment_size 0
		.amdhsa_wavefront_size32 1
		.amdhsa_uses_dynamic_stack 0
		.amdhsa_enable_private_segment 0
		.amdhsa_system_sgpr_workgroup_id_x 1
		.amdhsa_system_sgpr_workgroup_id_y 1
		.amdhsa_system_sgpr_workgroup_id_z 1
		.amdhsa_system_sgpr_workgroup_info 0
		.amdhsa_system_vgpr_workitem_id 0
		.amdhsa_next_free_vgpr 12
		.amdhsa_next_free_sgpr 46
		.amdhsa_named_barrier_count 0
		.amdhsa_reserve_vcc 1
		.amdhsa_float_round_mode_32 0
		.amdhsa_float_round_mode_16_64 0
		.amdhsa_float_denorm_mode_32 3
		.amdhsa_float_denorm_mode_16_64 3
		.amdhsa_fp16_overflow 0
		.amdhsa_memory_ordered 1
		.amdhsa_forward_progress 1
		.amdhsa_inst_pref_size 27
		.amdhsa_round_robin_scheduling 0
		.amdhsa_exception_fp_ieee_invalid_op 0
		.amdhsa_exception_fp_denorm_src 0
		.amdhsa_exception_fp_ieee_div_zero 0
		.amdhsa_exception_fp_ieee_overflow 0
		.amdhsa_exception_fp_ieee_underflow 0
		.amdhsa_exception_fp_ieee_inexact 0
		.amdhsa_exception_int_div_zero 0
	.end_amdhsa_kernel
	.section	.text._ZL33flash_attn_stream_k_fixup_generalILi128ELi2ELi2EEvPfPK15HIP_vector_typeIfLj2EEiiiiS1_IjLj3EES5_S5_S5_,"axG",@progbits,_ZL33flash_attn_stream_k_fixup_generalILi128ELi2ELi2EEvPfPK15HIP_vector_typeIfLj2EEiiiiS1_IjLj3EES5_S5_S5_,comdat
.Lfunc_end48:
	.size	_ZL33flash_attn_stream_k_fixup_generalILi128ELi2ELi2EEvPfPK15HIP_vector_typeIfLj2EEiiiiS1_IjLj3EES5_S5_S5_, .Lfunc_end48-_ZL33flash_attn_stream_k_fixup_generalILi128ELi2ELi2EEvPfPK15HIP_vector_typeIfLj2EEiiiiS1_IjLj3EES5_S5_S5_
                                        ; -- End function
	.set _ZL33flash_attn_stream_k_fixup_generalILi128ELi2ELi2EEvPfPK15HIP_vector_typeIfLj2EEiiiiS1_IjLj3EES5_S5_S5_.num_vgpr, 12
	.set _ZL33flash_attn_stream_k_fixup_generalILi128ELi2ELi2EEvPfPK15HIP_vector_typeIfLj2EEiiiiS1_IjLj3EES5_S5_S5_.num_agpr, 0
	.set _ZL33flash_attn_stream_k_fixup_generalILi128ELi2ELi2EEvPfPK15HIP_vector_typeIfLj2EEiiiiS1_IjLj3EES5_S5_S5_.numbered_sgpr, 46
	.set _ZL33flash_attn_stream_k_fixup_generalILi128ELi2ELi2EEvPfPK15HIP_vector_typeIfLj2EEiiiiS1_IjLj3EES5_S5_S5_.num_named_barrier, 0
	.set _ZL33flash_attn_stream_k_fixup_generalILi128ELi2ELi2EEvPfPK15HIP_vector_typeIfLj2EEiiiiS1_IjLj3EES5_S5_S5_.private_seg_size, 0
	.set _ZL33flash_attn_stream_k_fixup_generalILi128ELi2ELi2EEvPfPK15HIP_vector_typeIfLj2EEiiiiS1_IjLj3EES5_S5_S5_.uses_vcc, 1
	.set _ZL33flash_attn_stream_k_fixup_generalILi128ELi2ELi2EEvPfPK15HIP_vector_typeIfLj2EEiiiiS1_IjLj3EES5_S5_S5_.uses_flat_scratch, 0
	.set _ZL33flash_attn_stream_k_fixup_generalILi128ELi2ELi2EEvPfPK15HIP_vector_typeIfLj2EEiiiiS1_IjLj3EES5_S5_S5_.has_dyn_sized_stack, 0
	.set _ZL33flash_attn_stream_k_fixup_generalILi128ELi2ELi2EEvPfPK15HIP_vector_typeIfLj2EEiiiiS1_IjLj3EES5_S5_S5_.has_recursion, 0
	.set _ZL33flash_attn_stream_k_fixup_generalILi128ELi2ELi2EEvPfPK15HIP_vector_typeIfLj2EEiiiiS1_IjLj3EES5_S5_S5_.has_indirect_call, 0
	.section	.AMDGPU.csdata,"",@progbits
; Kernel info:
; codeLenInByte = 3360
; TotalNumSgprs: 48
; NumVgprs: 12
; ScratchSize: 0
; MemoryBound: 0
; FloatMode: 240
; IeeeMode: 1
; LDSByteSize: 0 bytes/workgroup (compile time only)
; SGPRBlocks: 0
; VGPRBlocks: 0
; NumSGPRsForWavesPerEU: 48
; NumVGPRsForWavesPerEU: 12
; NamedBarCnt: 0
; Occupancy: 16
; WaveLimiterHint : 0
; COMPUTE_PGM_RSRC2:SCRATCH_EN: 0
; COMPUTE_PGM_RSRC2:USER_SGPR: 2
; COMPUTE_PGM_RSRC2:TRAP_HANDLER: 0
; COMPUTE_PGM_RSRC2:TGID_X_EN: 1
; COMPUTE_PGM_RSRC2:TGID_Y_EN: 1
; COMPUTE_PGM_RSRC2:TGID_Z_EN: 1
; COMPUTE_PGM_RSRC2:TIDIG_COMP_CNT: 0
	.section	.text._ZL15flash_attn_tileILi128ELi128ELi1ELi2ELb0EEvPKcS1_S1_S1_S1_PKiPfP15HIP_vector_typeIfLj2EEffffjfiS5_IjLj3EEiiiiiiiiiiiliiliiiiil,"axG",@progbits,_ZL15flash_attn_tileILi128ELi128ELi1ELi2ELb0EEvPKcS1_S1_S1_S1_PKiPfP15HIP_vector_typeIfLj2EEffffjfiS5_IjLj3EEiiiiiiiiiiiliiliiiiil,comdat
	.globl	_ZL15flash_attn_tileILi128ELi128ELi1ELi2ELb0EEvPKcS1_S1_S1_S1_PKiPfP15HIP_vector_typeIfLj2EEffffjfiS5_IjLj3EEiiiiiiiiiiiliiliiiiil ; -- Begin function _ZL15flash_attn_tileILi128ELi128ELi1ELi2ELb0EEvPKcS1_S1_S1_S1_PKiPfP15HIP_vector_typeIfLj2EEffffjfiS5_IjLj3EEiiiiiiiiiiiliiliiiiil
	.p2align	8
	.type	_ZL15flash_attn_tileILi128ELi128ELi1ELi2ELb0EEvPKcS1_S1_S1_S1_PKiPfP15HIP_vector_typeIfLj2EEffffjfiS5_IjLj3EEiiiiiiiiiiiliiliiiiil,@function
_ZL15flash_attn_tileILi128ELi128ELi1ELi2ELb0EEvPKcS1_S1_S1_S1_PKiPfP15HIP_vector_typeIfLj2EEffffjfiS5_IjLj3EEiiiiiiiiiiiliiliiiiil: ; @_ZL15flash_attn_tileILi128ELi128ELi1ELi2ELb0EEvPKcS1_S1_S1_S1_PKiPfP15HIP_vector_typeIfLj2EEffffjfiS5_IjLj3EEiiiiiiiiiiiliiliiiiil
; %bb.0:
	s_clause 0x1
	s_load_b128 s[20:23], s[0:1], 0x5c
	s_load_b64 s[30:31], s[0:1], 0x80
	s_bfe_u32 s5, ttmp6, 0x40014
	s_lshr_b32 s4, ttmp7, 16
	s_add_co_i32 s5, s5, 1
	s_bfe_u32 s6, ttmp6, 0x40008
	s_mul_i32 s5, s4, s5
	s_getreg_b32 s24, hwreg(HW_REG_IB_STS2, 6, 4)
	s_add_co_i32 s6, s6, s5
	s_load_b64 s[36:37], s[0:1], 0xb8
	s_mov_b64 s[34:35], 0
	s_wait_kmcnt 0x0
	s_lshr_b32 s2, s23, 31
	s_delay_alu instid0(SALU_CYCLE_1) | instskip(NEXT) | instid1(SALU_CYCLE_1)
	s_add_co_i32 s2, s23, s2
	s_ashr_i32 s2, s2, 1
	s_delay_alu instid0(SALU_CYCLE_1) | instskip(SKIP_1) | instid1(SALU_CYCLE_2)
	s_cvt_f32_u32 s3, s2
	s_sub_co_i32 s7, 0, s2
	v_rcp_iflag_f32_e32 v1, s3
	v_nop
	s_delay_alu instid0(TRANS32_DEP_1) | instskip(SKIP_1) | instid1(SALU_CYCLE_3)
	v_readfirstlane_b32 s3, v1
	s_mul_f32 s3, s3, 0x4f7ffffe
	s_cvt_u32_f32 s3, s3
	s_delay_alu instid0(SALU_CYCLE_3) | instskip(NEXT) | instid1(SALU_CYCLE_1)
	s_mul_i32 s7, s7, s3
	s_mul_hi_u32 s7, s3, s7
	s_delay_alu instid0(SALU_CYCLE_1) | instskip(SKIP_2) | instid1(SALU_CYCLE_1)
	s_add_co_i32 s3, s3, s7
	s_cmp_eq_u32 s24, 0
	s_cselect_b32 s4, s4, s6
	s_mul_hi_u32 s3, s4, s3
	s_delay_alu instid0(SALU_CYCLE_1) | instskip(SKIP_2) | instid1(SALU_CYCLE_1)
	s_mul_i32 s5, s3, s2
	s_add_co_i32 s6, s3, 1
	s_sub_co_i32 s5, s4, s5
	s_sub_co_i32 s7, s5, s2
	s_cmp_ge_u32 s5, s2
	s_cselect_b32 s3, s6, s3
	s_cselect_b32 s5, s7, s5
	s_add_co_i32 s6, s3, 1
	s_cmp_ge_u32 s5, s2
	s_cselect_b32 s28, s6, s3
	s_abs_i32 s2, s31
	s_abs_i32 s7, s23
	s_cvt_f32_u32 s3, s2
	s_sub_co_i32 s5, 0, s2
	s_lshl_b32 s4, s4, 1
	s_mul_i32 s6, s28, s23
	v_rcp_iflag_f32_e32 v1, s3
	s_sub_co_i32 s33, s4, s6
	s_xor_b32 s4, s23, s31
	s_delay_alu instid0(SALU_CYCLE_1) | instskip(SKIP_1) | instid1(TRANS32_DEP_1)
	s_ashr_i32 s25, s4, 31
	v_nop
	v_readfirstlane_b32 s3, v1
	s_mul_f32 s3, s3, 0x4f7ffffe
	s_delay_alu instid0(SALU_CYCLE_3) | instskip(NEXT) | instid1(SALU_CYCLE_3)
	s_cvt_u32_f32 s3, s3
	s_mul_i32 s5, s5, s3
	s_delay_alu instid0(SALU_CYCLE_1) | instskip(NEXT) | instid1(SALU_CYCLE_1)
	s_mul_hi_u32 s5, s3, s5
	s_add_co_i32 s3, s3, s5
	s_delay_alu instid0(SALU_CYCLE_1) | instskip(NEXT) | instid1(SALU_CYCLE_1)
	s_mul_hi_u32 s3, s7, s3
	s_mul_i32 s5, s3, s2
	s_delay_alu instid0(SALU_CYCLE_1)
	s_sub_co_i32 s4, s7, s5
	s_add_co_i32 s5, s3, 1
	s_sub_co_i32 s6, s4, s2
	s_cmp_ge_u32 s4, s2
	s_cselect_b32 s3, s5, s3
	s_cselect_b32 s4, s6, s4
	s_add_co_i32 s5, s3, 1
	s_cmp_ge_u32 s4, s2
	s_cselect_b32 s2, s5, s3
	s_load_b512 s[4:19], s[0:1], 0x0
	s_xor_b32 s2, s2, s25
	s_mov_b32 s3, 0
	s_sub_co_i32 s29, s2, s25
	s_delay_alu instid0(SALU_CYCLE_1) | instskip(NEXT) | instid1(SALU_CYCLE_1)
	s_abs_i32 s38, s29
	s_cvt_f32_u32 s2, s38
	s_delay_alu instid0(SALU_CYCLE_3) | instskip(SKIP_1) | instid1(TRANS32_DEP_1)
	v_rcp_iflag_f32_e32 v1, s2
	v_nop
	v_readfirstlane_b32 s2, v1
	s_wait_kmcnt 0x0
	s_cmp_eq_u64 s[10:11], 0
	s_cbranch_scc1 .LBB49_2
; %bb.1:
	s_abs_i32 s25, s36
	s_abs_i32 s31, s28
	s_cvt_f32_u32 s26, s25
	s_sub_co_i32 s27, 0, s25
	s_delay_alu instid0(SALU_CYCLE_2) | instskip(SKIP_1) | instid1(TRANS32_DEP_1)
	v_rcp_iflag_f32_e32 v1, s26
	v_nop
	v_readfirstlane_b32 s26, v1
	s_mul_f32 s26, s26, 0x4f7ffffe
	s_delay_alu instid0(SALU_CYCLE_3) | instskip(NEXT) | instid1(SALU_CYCLE_3)
	s_cvt_u32_f32 s26, s26
	s_mul_i32 s27, s27, s26
	s_delay_alu instid0(SALU_CYCLE_1) | instskip(NEXT) | instid1(SALU_CYCLE_1)
	s_mul_hi_u32 s27, s26, s27
	s_add_co_i32 s26, s26, s27
	s_delay_alu instid0(SALU_CYCLE_1) | instskip(SKIP_2) | instid1(SALU_CYCLE_1)
	s_mul_hi_u32 s34, s31, s26
	s_load_b64 s[26:27], s[0:1], 0xc8
	s_mul_i32 s34, s34, s25
	s_sub_co_i32 s31, s31, s34
	s_ashr_i32 s34, s28, 31
	s_sub_co_i32 s35, s31, s25
	s_cmp_ge_u32 s31, s25
	s_cselect_b32 s31, s35, s31
	s_delay_alu instid0(SALU_CYCLE_1) | instskip(SKIP_2) | instid1(SALU_CYCLE_1)
	s_sub_co_i32 s35, s31, s25
	s_cmp_ge_u32 s31, s25
	s_cselect_b32 s25, s35, s31
	s_xor_b32 s25, s25, s34
	s_delay_alu instid0(SALU_CYCLE_1) | instskip(NEXT) | instid1(SALU_CYCLE_1)
	s_sub_co_i32 s34, s25, s34
	s_ashr_i32 s35, s34, 31
	s_wait_kmcnt 0x0
	s_mul_u64 s[26:27], s[26:27], s[34:35]
	s_delay_alu instid0(SALU_CYCLE_1)
	s_add_nc_u64 s[34:35], s[10:11], s[26:27]
.LBB49_2:
	s_bfe_u32 s10, ttmp6, 0x4000c
	v_dual_lshrrev_b32 v1, 10, v0 :: v_dual_mov_b32 v25, 0
	s_add_co_i32 s10, s10, 1
	s_and_b32 s11, ttmp6, 15
	s_mul_i32 s10, ttmp9, s10
	s_delay_alu instid0(VALU_DEP_1)
	v_bfe_u32 v1, v1, 1, 9
	s_add_co_i32 s11, s11, s10
	s_cmp_eq_u32 s24, 0
	s_load_b96 s[40:42], s[0:1], 0x70
	s_cselect_b32 s10, ttmp9, s11
	v_and_b32_e32 v48, 0x3ff, v0
	v_add_nc_u32_e32 v49, s10, v1
	v_bfe_u32 v24, v0, 10, 1
	v_dual_mov_b32 v3, v25 :: v_dual_mov_b32 v9, v25
	v_bfe_u32 v0, v0, 10, 10
	s_delay_alu instid0(VALU_DEP_4) | instskip(SKIP_1) | instid1(VALU_DEP_3)
	v_mul_hi_u32 v1, s20, v49
	v_lshlrev_b32_e32 v8, 4, v48
	v_lshl_add_u32 v50, v0, 8, 0x1200
	s_delay_alu instid0(VALU_DEP_3) | instskip(SKIP_3) | instid1(SALU_CYCLE_1)
	v_add_nc_u32_e32 v1, v49, v1
	s_wait_kmcnt 0x0
	s_mov_b32 s20, s41
	s_mul_i32 s26, s33, s41
	s_ashr_i32 s27, s26, 31
	v_lshrrev_b32_e32 v1, s21, v1
	s_ashr_i32 s21, s41, 31
	s_ashr_i32 s41, s40, 31
	s_lshr_b64 s[20:21], s[20:21], 2
	s_delay_alu instid0(VALU_DEP_1) | instskip(SKIP_2) | instid1(VALU_DEP_2)
	v_mul_lo_u32 v1, v1, s22
	v_mul_u64_e32 v[4:5], s[20:21], v[24:25]
	s_lshr_b64 s[20:21], s[40:41], 2
	v_sub_nc_u32_e32 v2, v49, v1
	s_delay_alu instid0(VALU_DEP_1) | instskip(SKIP_1) | instid1(SALU_CYCLE_1)
	v_mul_u64_e32 v[6:7], s[20:21], v[2:3]
	s_mul_i32 s20, s28, s42
	s_ashr_i32 s21, s20, 31
	s_cmp_eq_u64 s[14:15], 0
	s_add_nc_u64 s[4:5], s[4:5], s[20:21]
	s_delay_alu instid0(SALU_CYCLE_1)
	s_add_nc_u64 s[4:5], s[4:5], s[26:27]
	s_delay_alu instid0(VALU_DEP_3) | instid1(SALU_CYCLE_1)
	v_lshl_add_u64 v[4:5], v[4:5], 2, s[4:5]
	s_load_b32 s4, s[0:1], 0x40
	s_delay_alu instid0(VALU_DEP_1) | instskip(NEXT) | instid1(VALU_DEP_1)
	v_lshl_add_u64 v[4:5], v[6:7], 2, v[4:5]
	v_add_nc_u64_e32 v[4:5], v[4:5], v[8:9]
	global_load_b128 v[4:7], v[4:5], off
	s_wait_loadcnt 0x0
	s_wait_kmcnt 0x0
	v_fma_mixlo_f16 v1, s4, v4, 0
	v_mov_b32_e32 v4, v7
	s_delay_alu instid0(VALU_DEP_2) | instskip(NEXT) | instid1(VALU_DEP_2)
	v_and_b32_e32 v1, 0xffff, v1
	v_pk_mul_f32 v[4:5], s[4:5], v[4:5] op_sel_hi:[0,1]
	s_delay_alu instid0(VALU_DEP_1) | instskip(SKIP_2) | instid1(VALU_DEP_3)
	v_cvt_pk_f16_f32 v3, v4, v5
	v_fma_mixlo_f16 v4, s4, v6, 0
	v_lshlrev_b32_e32 v47, 3, v48
	v_and_b32_e32 v5, 0xffff0000, v3
	s_delay_alu instid0(VALU_DEP_3) | instskip(SKIP_1) | instid1(VALU_DEP_3)
	v_and_b32_e32 v4, 0xffff, v4
	v_lshlrev_b32_e32 v3, 16, v3
	v_dual_add_nc_u32 v6, v50, v47 :: v_dual_bitop2_b32 v1, v5, v1 bitop3:0x54
	s_delay_alu instid0(VALU_DEP_2) | instskip(NEXT) | instid1(VALU_DEP_2)
	v_or3_b32 v5, v3, v4, 0
	v_or3_b32 v4, 0, 0, v1
	ds_store_b64 v6, v[4:5]
	s_wait_dscnt 0x0
	s_barrier_signal -1
	s_barrier_wait -1
	s_cbranch_scc1 .LBB49_4
; %bb.3:
	s_load_b32 s4, s[0:1], 0xd0
	s_wait_kmcnt 0x0
	s_mul_i32 s4, s4, s28
	s_delay_alu instid0(SALU_CYCLE_1)
	s_add_co_i32 s4, s4, s10
	s_load_b32 s30, s[14:15], s4 offset:0x0 scale_offset
.LBB49_4:
	s_wait_xcnt 0x0
	s_bfe_u32 s4, ttmp6, 0x40010
	s_and_b32 s5, ttmp7, 0xffff
	s_add_co_i32 s4, s4, 1
	s_bfe_u32 s10, ttmp6, 0x40004
	s_mul_i32 s4, s5, s4
	v_mbcnt_lo_u32_b32 v51, -1, 0
	s_add_co_i32 s10, s10, s4
	s_cmp_eq_u32 s24, 0
	s_cselect_b32 s31, s5, s10
	s_mov_b32 s5, 0
	s_lshl_b32 s4, s31, 5
	s_wait_kmcnt 0x0
	s_cmp_lt_i32 s4, s30
	s_cbranch_scc1 .LBB49_7
; %bb.5:
	v_mbcnt_lo_u32_b32 v1, -1, 0
	s_delay_alu instid0(VALU_DEP_1)
	v_dual_mov_b32 v52, 32 :: v_dual_bitop2_b32 v57, 16, v1 bitop3:0x14
	v_xor_b32_e32 v56, 8, v1
	v_xor_b32_e32 v55, 4, v1
	;; [unrolled: 1-line block ×3, first 2 shown]
	v_dual_lshlrev_b32 v25, 2, v48 :: v_dual_bitop2_b32 v53, 1, v1 bitop3:0x14
	s_and_not1_b32 vcc_lo, exec_lo, s5
	s_cbranch_vccz .LBB49_8
; %bb.6:
	v_dual_mov_b32 v16, 0 :: v_dual_mov_b32 v71, 0
	v_dual_mov_b32 v46, 0xfeffffff :: v_dual_mov_b32 v17, 0
	s_branch .LBB49_11
.LBB49_7:
                                        ; implicit-def: $vgpr1
                                        ; implicit-def: $vgpr52
                                        ; implicit-def: $vgpr57
                                        ; implicit-def: $vgpr56
                                        ; implicit-def: $vgpr55
                                        ; implicit-def: $vgpr54
                                        ; implicit-def: $vgpr53
	v_lshlrev_b32_e32 v25, 2, v48
.LBB49_8:
	s_clause 0x1
	s_load_b64 s[14:15], s[0:1], 0x8c
	s_load_b128 s[24:27], s[0:1], 0x98
	s_mul_f32 s2, s2, 0x4f7ffffe
	s_sub_co_i32 s5, 0, s38
	s_mov_b32 s11, s3
	s_ashr_i32 s36, s33, 31
	s_cvt_u32_f32 s10, s2
	s_abs_i32 s2, s33
	s_ashr_i32 s39, s29, 31
	s_load_b64 s[20:21], s[0:1], 0xa8
	s_mul_i32 s5, s5, s10
	s_ashr_i32 s29, s28, 31
	s_mul_hi_u32 s5, s10, s5
	s_xor_b32 s36, s36, s39
	s_add_co_i32 s10, s10, s5
	s_ashr_i32 s5, s37, 1
	s_mul_u64 s[10:11], s[2:3], s[10:11]
	v_dual_lshrrev_b32 v1, 3, v48 :: v_dual_bitop2_b32 v4, 28, v25 bitop3:0x40
	s_mul_i32 s3, s11, s38
	s_wait_kmcnt 0x0
	s_ashr_i32 s14, s14, 2
	s_sub_co_i32 s2, s2, s3
	s_ashr_i32 s10, s26, 2
	s_add_co_i32 s3, s11, 1
	s_sub_co_i32 s37, s2, s38
	s_cmp_ge_u32 s2, s38
	v_lshl_add_u32 v1, v0, 2, v1
	s_cselect_b32 s3, s3, s11
	s_cselect_b32 s2, s37, s2
	s_add_co_i32 s11, s3, 1
	s_cmp_ge_u32 s2, s38
	v_mul_lo_u32 v26, s14, v1
	s_cselect_b32 s2, s11, s3
	v_dual_lshlrev_b32 v5, 2, v4 :: v_dual_mov_b32 v31, 0
	s_xor_b32 s2, s2, s36
	v_lshl_add_u32 v62, v0, 6, 0x1400
	s_sub_co_i32 s11, s2, s36
	s_mul_u64 s[2:3], s[24:25], s[28:29]
	s_mul_i32 s24, s11, s15
	s_add_nc_u64 s[2:3], s[6:7], s[2:3]
	s_ashr_i32 s25, s24, 31
	v_mad_u32_u24 v58, 0x90, v1, v5
	s_add_nc_u64 s[6:7], s[2:3], s[24:25]
	s_mul_u64 s[2:3], s[20:21], s[28:29]
	v_mad_u32 v65, v2, s5, v48
	s_add_nc_u64 s[2:3], s[8:9], s[2:3]
	s_mul_i32 s8, s11, s27
	v_dual_mov_b32 v52, 32 :: v_dual_add_nc_u32 v59, 0x480, v58
	s_ashr_i32 s9, s8, 31
	v_dual_mov_b32 v39, v31 :: v_dual_add_nc_u32 v60, 0x900, v58
	s_add_nc_u64 s[8:9], s[2:3], s[8:9]
	s_lshl_b32 s2, s14, 3
	s_delay_alu instid0(SALU_CYCLE_1) | instskip(SKIP_2) | instid1(VALU_DEP_3)
	v_dual_lshrrev_b32 v3, 4, v48 :: v_dual_add_nc_u32 v28, s2, v26
	v_dual_ashrrev_i32 v27, 31, v26 :: v_dual_bitop2_b32 v8, 60, v25 bitop3:0x40
	v_dual_mov_b32 v16, v31 :: v_dual_add_nc_u32 v61, 0xd80, v58
	v_lshl_add_u32 v3, v0, 1, v3
	s_delay_alu instid0(VALU_DEP_4) | instskip(SKIP_2) | instid1(VALU_DEP_4)
	v_dual_add_nc_u32 v32, s2, v28 :: v_dual_ashrrev_i32 v29, 31, v28
	v_mul_u32_u24_e32 v63, 0x90, v48
	v_lshl_add_u32 v66, v48, 1, v62
	v_mul_lo_u32 v6, s10, v3
	s_delay_alu instid0(VALU_DEP_4)
	v_dual_ashrrev_i32 v33, 31, v32 :: v_dual_add_nc_u32 v34, s2, v32
	s_and_b32 s2, s26, -4
	v_lshlrev_b32_e32 v1, 2, v8
	v_dual_lshlrev_b32 v30, 2, v4 :: v_dual_bitop2_b32 v57, 16, v51 bitop3:0x14
	v_dual_lshlrev_b32 v38, 2, v8 :: v_dual_bitop2_b32 v56, 8, v51 bitop3:0x14
	v_dual_mov_b32 v71, v31 :: v_dual_bitop2_b32 v55, 4, v51 bitop3:0x14
	v_add_nc_u32_e32 v10, s2, v6
	v_lshl_or_b32 v64, v3, 8, v1
	v_xor_b32_e32 v54, 2, v51
	v_xor_b32_e32 v53, 1, v51
	v_mov_b32_e32 v46, 0xfeffffff
	v_dual_add_nc_u32 v0, s2, v10 :: v_dual_ashrrev_i32 v11, 31, v10
	v_ashrrev_i32_e32 v35, 31, v34
	v_ashrrev_i32_e32 v7, 31, v6
	v_add_nc_u32_e32 v67, 0x400, v64
	s_delay_alu instid0(VALU_DEP_4) | instskip(SKIP_1) | instid1(VALU_DEP_4)
	v_dual_add_nc_u32 v2, s2, v0 :: v_dual_ashrrev_i32 v1, 31, v0
	v_lshlrev_b64_e32 v[40:41], 2, v[10:11]
	v_lshlrev_b64_e32 v[36:37], 2, v[6:7]
	v_dual_mov_b32 v17, v31 :: v_dual_add_nc_u32 v68, 0x800, v64
	s_delay_alu instid0(VALU_DEP_4)
	v_ashrrev_i32_e32 v3, 31, v2
	v_lshlrev_b64_e32 v[42:43], 2, v[0:1]
	v_add_nc_u32_e32 v69, 0xc00, v64
	v_add_nc_u32_e32 v70, 0x800, v47
	s_ashr_i32 s15, s14, 31
	v_lshlrev_b64_e32 v[44:45], 2, v[2:3]
	s_ashr_i32 s11, s10, 31
	s_add_nc_u64 s[20:21], s[0:1], 0xd0
.LBB49_9:                               ; =>This Inner Loop Header: Depth=1
	s_ashr_i32 s5, s4, 31
	v_mov_b32_e32 v72, 0
	s_mul_u64 s[2:3], s[4:5], s[14:15]
	v_cmp_gt_i32_e32 vcc_lo, 32, v57
	s_lshl_b64 s[2:3], s[2:3], 2
	s_mul_u64 s[24:25], s[4:5], s[10:11]
	s_add_nc_u64 s[2:3], s[6:7], s[2:3]
	s_lshl_b64 s[24:25], s[24:25], 2
	v_lshl_add_u64 v[0:1], v[26:27], 2, s[2:3]
	v_lshl_add_u64 v[2:3], v[28:29], 2, s[2:3]
	;; [unrolled: 1-line block ×4, first 2 shown]
	s_add_nc_u64 s[24:25], s[8:9], s[24:25]
	v_add_nc_u64_e32 v[0:1], v[0:1], v[30:31]
	v_add_nc_u64_e32 v[4:5], v[2:3], v[30:31]
	;; [unrolled: 1-line block ×4, first 2 shown]
	s_or_b32 s2, s4, 16
	s_clause 0x3
	global_load_b128 v[18:21], v[0:1], off
	global_load_b128 v[74:77], v[4:5], off
	;; [unrolled: 1-line block ×4, first 2 shown]
	s_ashr_i32 s3, s2, 31
	s_wait_loadcnt 0x3
	ds_store_b128 v58, v[18:21]
	s_wait_loadcnt 0x2
	ds_store_b128 v59, v[74:77]
	;; [unrolled: 2-line block ×4, first 2 shown]
	s_wait_dscnt 0x0
	s_barrier_signal -1
	s_barrier_wait -1
	ds_load_b128 v[18:21], v63
	ds_load_b128 v[74:77], v50
	s_mul_u64 s[2:3], s[2:3], s[10:11]
	s_wait_dscnt 0x0
	;;#ASMSTART
	v_dot2_f32_f16 v72, v18, v74, v72
	;;#ASMEND
	;;#ASMSTART
	v_dot2_f32_f16 v72, v19, v75, v72
	;;#ASMEND
	;; [unrolled: 3-line block ×4, first 2 shown]
	ds_load_b128 v[18:21], v63 offset:16
	ds_load_b128 v[74:77], v50 offset:16
	s_lshl_b64 s[2:3], s[2:3], 2
	s_wait_dscnt 0x0
	;;#ASMSTART
	v_dot2_f32_f16 v72, v18, v74, v72
	;;#ASMEND
	;;#ASMSTART
	v_dot2_f32_f16 v72, v19, v75, v72
	;;#ASMEND
	;; [unrolled: 3-line block ×4, first 2 shown]
	ds_load_b128 v[18:21], v63 offset:32
	ds_load_b128 v[74:77], v50 offset:32
	s_add_nc_u64 s[2:3], s[8:9], s[2:3]
	s_wait_dscnt 0x0
	;;#ASMSTART
	v_dot2_f32_f16 v72, v18, v74, v72
	;;#ASMEND
	;;#ASMSTART
	v_dot2_f32_f16 v72, v19, v75, v72
	;;#ASMEND
	;;#ASMSTART
	v_dot2_f32_f16 v72, v20, v76, v72
	;;#ASMEND
	;;#ASMSTART
	v_dot2_f32_f16 v72, v21, v77, v72
	;;#ASMEND
	ds_load_b128 v[18:21], v63 offset:48
	ds_load_b128 v[74:77], v50 offset:48
	s_wait_dscnt 0x0
	;;#ASMSTART
	v_dot2_f32_f16 v72, v18, v74, v72
	;;#ASMEND
	;;#ASMSTART
	v_dot2_f32_f16 v72, v19, v75, v72
	;;#ASMEND
	;;#ASMSTART
	v_dot2_f32_f16 v72, v20, v76, v72
	;;#ASMEND
	;;#ASMSTART
	v_dot2_f32_f16 v72, v21, v77, v72
	;;#ASMEND
	ds_load_b128 v[18:21], v63 offset:64
	ds_load_b128 v[74:77], v50 offset:64
	;; [unrolled: 15-line block ×5, first 2 shown]
	s_wait_dscnt 0x0
	;;#ASMSTART
	v_dot2_f32_f16 v72, v18, v74, v72
	;;#ASMEND
	;;#ASMSTART
	v_dot2_f32_f16 v72, v19, v75, v72
	;;#ASMEND
	;; [unrolled: 3-line block ×4, first 2 shown]
	s_barrier_signal -1
	s_barrier_wait -1
	s_clause 0x3
	global_load_b128 v[0:3], v[0:1], off offset:128
	global_load_b128 v[4:7], v[4:5], off offset:128
	;; [unrolled: 1-line block ×4, first 2 shown]
	v_cndmask_b32_e32 v20, v51, v57, vcc_lo
	v_cmp_gt_i32_e32 vcc_lo, 32, v56
	v_dual_mov_b32 v18, v46 :: v_dual_add_nc_u32 v19, s4, v65
	v_add_nc_u64_e32 v[74:75], s[2:3], v[42:43]
	s_wait_loadcnt 0x3
	ds_store_b128 v58, v[0:3]
	s_wait_loadcnt 0x2
	ds_store_b128 v59, v[4:7]
	;; [unrolled: 2-line block ×4, first 2 shown]
	s_wait_dscnt 0x0
	s_barrier_signal -1
	s_barrier_wait -1
	ds_load_b128 v[0:3], v63
	ds_load_b128 v[4:7], v50 offset:128
	s_wait_dscnt 0x0
	;;#ASMSTART
	v_dot2_f32_f16 v72, v0, v4, v72
	;;#ASMEND
	;;#ASMSTART
	v_dot2_f32_f16 v72, v1, v5, v72
	;;#ASMEND
	;;#ASMSTART
	v_dot2_f32_f16 v72, v2, v6, v72
	;;#ASMEND
	;;#ASMSTART
	v_dot2_f32_f16 v72, v3, v7, v72
	;;#ASMEND
	ds_load_b128 v[0:3], v63 offset:16
	ds_load_b128 v[4:7], v50 offset:144
	s_wait_dscnt 0x0
	;;#ASMSTART
	v_dot2_f32_f16 v72, v0, v4, v72
	;;#ASMEND
	;;#ASMSTART
	v_dot2_f32_f16 v72, v1, v5, v72
	;;#ASMEND
	;;#ASMSTART
	v_dot2_f32_f16 v72, v2, v6, v72
	;;#ASMEND
	;;#ASMSTART
	v_dot2_f32_f16 v72, v3, v7, v72
	;;#ASMEND
	ds_load_b128 v[0:3], v63 offset:32
	;; [unrolled: 15-line block ×7, first 2 shown]
	ds_load_b128 v[4:7], v50 offset:240
	s_wait_dscnt 0x0
	;;#ASMSTART
	v_dot2_f32_f16 v72, v0, v4, v72
	;;#ASMEND
	;;#ASMSTART
	v_dot2_f32_f16 v72, v1, v5, v72
	;;#ASMEND
	;; [unrolled: 3-line block ×3, first 2 shown]
	v_cndmask_b32_e32 v21, v51, v56, vcc_lo
	;;#ASMSTART
	v_dot2_f32_f16 v72, v3, v7, v72
	;;#ASMEND
	global_load_u16 v19, v19, s[34:35] scale_offset
	v_add_nc_u64_e32 v[0:1], s[24:25], v[36:37]
	v_add_nc_u64_e32 v[2:3], s[24:25], v[40:41]
	;; [unrolled: 1-line block ×4, first 2 shown]
	s_wait_loadcnt 0x0
	s_barrier_signal -1
	s_barrier_wait -1
	v_add_nc_u64_e32 v[0:1], v[0:1], v[38:39]
	v_add_nc_u64_e32 v[8:9], v[2:3], v[38:39]
	;; [unrolled: 1-line block ×4, first 2 shown]
	s_clause 0x3
	global_load_b128 v[0:3], v[0:1], off
	global_load_b128 v[4:7], v[8:9], off
	;; [unrolled: 1-line block ×4, first 2 shown]
	v_cmp_gt_i32_e32 vcc_lo, 32, v55
	v_add_nc_u64_e32 v[80:81], v[74:75], v[38:39]
	v_dual_cndmask_b32 v22, v51, v55 :: v_dual_max_num_f32 v73, v18, v18
	v_dual_lshlrev_b32 v76, 2, v20 :: v_dual_lshlrev_b32 v77, 2, v21
	v_cmp_gt_i32_e32 vcc_lo, 32, v54
	s_delay_alu instid0(VALU_DEP_3) | instskip(SKIP_3) | instid1(VALU_DEP_2)
	v_lshlrev_b32_e32 v78, 2, v22
	v_add_nc_u64_e32 v[20:21], s[2:3], v[36:37]
	v_cndmask_b32_e32 v23, v51, v54, vcc_lo
	v_cmp_gt_i32_e32 vcc_lo, 32, v53
	v_dual_cndmask_b32 v46, v51, v53 :: v_dual_lshlrev_b32 v79, 2, v23
	v_add_nc_u64_e32 v[22:23], s[2:3], v[40:41]
	s_delay_alu instid0(VALU_DEP_2) | instskip(NEXT) | instid1(VALU_DEP_2)
	v_lshlrev_b32_e32 v46, 2, v46
	v_add_nc_u64_e32 v[22:23], v[22:23], v[38:39]
	v_cvt_f32_f16_e32 v19, v19
	s_delay_alu instid0(VALU_DEP_1) | instskip(NEXT) | instid1(VALU_DEP_1)
	v_add_f32_e32 v19, v72, v19
	v_add_f32_e32 v72, 0x40051340, v19
	s_delay_alu instid0(VALU_DEP_1) | instskip(SKIP_3) | instid1(VALU_DEP_1)
	v_max_num_f32_e32 v72, v73, v72
	ds_bpermute_b32 v73, v76, v72
	s_wait_dscnt 0x0
	v_max_num_f32_e32 v73, v73, v73
	v_max_num_f32_e32 v72, v72, v73
	ds_bpermute_b32 v73, v77, v72
	s_wait_dscnt 0x0
	v_max_num_f32_e32 v73, v73, v73
	s_delay_alu instid0(VALU_DEP_1) | instskip(SKIP_3) | instid1(VALU_DEP_1)
	v_max_num_f32_e32 v72, v72, v73
	ds_bpermute_b32 v73, v78, v72
	s_wait_dscnt 0x0
	v_max_num_f32_e32 v73, v73, v73
	v_max_num_f32_e32 v72, v72, v73
	ds_bpermute_b32 v73, v79, v72
	s_wait_dscnt 0x0
	v_max_num_f32_e32 v73, v73, v73
	s_delay_alu instid0(VALU_DEP_1) | instskip(SKIP_3) | instid1(VALU_DEP_1)
	v_max_num_f32_e32 v72, v72, v73
	ds_bpermute_b32 v46, v46, v72
	s_wait_dscnt 0x0
	v_max_num_f32_e32 v46, v46, v46
	v_max_num_f32_e32 v46, v72, v46
	s_delay_alu instid0(VALU_DEP_1) | instskip(NEXT) | instid1(VALU_DEP_1)
	v_dual_sub_f32 v72, v19, v46 :: v_dual_sub_f32 v73, v18, v46
	v_mul_f32_e32 v19, 0x3fb8aa3b, v73
	v_cmp_ngt_f32_e32 vcc_lo, 0xc2ce8ed0, v73
	s_delay_alu instid0(VALU_DEP_2) | instskip(SKIP_1) | instid1(VALU_DEP_1)
	v_fma_f32 v78, 0x3fb8aa3b, v73, -v19
	v_rndne_f32_e32 v84, v19
	v_dual_fmac_f32 v78, 0x32a5705f, v73 :: v_dual_sub_f32 v19, v19, v84
	s_delay_alu instid0(VALU_DEP_1) | instskip(NEXT) | instid1(VALU_DEP_1)
	v_dual_mul_f32 v18, 0x3fb8aa3b, v72 :: v_dual_add_f32 v85, v19, v78
	v_fma_f32 v76, 0x3fb8aa3b, v72, -v18
	v_rndne_f32_e32 v77, v18
	v_add_nc_u64_e32 v[78:79], v[20:21], v[38:39]
	s_delay_alu instid0(VALU_DEP_4) | instskip(NEXT) | instid1(VALU_DEP_3)
	v_exp_f32_e32 v21, v85
	v_fmac_f32_e32 v76, 0x32a5705f, v72
	s_delay_alu instid0(VALU_DEP_3) | instskip(NEXT) | instid1(VALU_DEP_1)
	v_sub_f32_e32 v18, v18, v77
	v_add_f32_e32 v76, v18, v76
	v_add_nc_u64_e32 v[18:19], s[2:3], v[44:45]
	v_cmp_ngt_f32_e64 s2, 0xc2ce8ed0, v72
	s_delay_alu instid0(VALU_DEP_3) | instskip(NEXT) | instid1(VALU_DEP_2)
	v_exp_f32_e32 v20, v76
	v_add_nc_u64_e32 v[82:83], v[18:19], v[38:39]
	v_cvt_i32_f32_e32 v18, v77
	v_cvt_i32_f32_e32 v19, v84
	s_delay_alu instid0(TRANS32_DEP_1) | instid1(VALU_DEP_2)
	v_ldexp_f32 v18, v20, v18
	s_delay_alu instid0(VALU_DEP_2) | instskip(NEXT) | instid1(VALU_DEP_2)
	v_ldexp_f32 v19, v21, v19
	v_cndmask_b32_e64 v18, 0, v18, s2
	v_cmp_nlt_f32_e64 s2, 0x42b17218, v72
	s_delay_alu instid0(VALU_DEP_3) | instskip(SKIP_1) | instid1(VALU_DEP_3)
	v_cndmask_b32_e32 v19, 0, v19, vcc_lo
	v_cmp_nlt_f32_e32 vcc_lo, 0x42b17218, v73
	v_cndmask_b32_e64 v72, 0x7f800000, v18, s2
	s_delay_alu instid0(VALU_DEP_3) | instskip(NEXT) | instid1(VALU_DEP_2)
	v_cndmask_b32_e32 v73, 0x7f800000, v19, vcc_lo
	v_cvt_f16_f32_e32 v18, v72
	ds_store_b16 v66, v18
	s_wait_loadcnt 0x3
	ds_store_b128 v64, v[0:3]
	s_wait_loadcnt 0x2
	ds_store_b128 v67, v[4:7]
	s_wait_loadcnt 0x1
	ds_store_b128 v68, v[8:11]
	s_wait_loadcnt 0x0
	ds_store_b128 v69, v[12:15]
	s_wait_dscnt 0x0
	s_barrier_signal -1
	s_barrier_wait -1
	ds_load_b128 v[0:3], v62
	ds_load_2addr_b64 v[4:7], v47 offset1:32
	v_cvt_f16_f32_e32 v19, v73
	s_delay_alu instid0(VALU_DEP_1)
	v_and_b32_e32 v12, 0xffff, v19
	ds_load_2addr_b64 v[8:11], v47 offset0:64 offset1:96
	ds_load_b128 v[18:21], v62 offset:16
	ds_load_2addr_b64 v[74:77], v70 offset0:64 offset1:96
	v_mul_u32_u24_e32 v12, 0x10001, v12
	s_wait_dscnt 0x4
	v_and_b32_e32 v13, 0xffff, v0
	v_lshrrev_b32_e32 v0, 16, v0
	s_delay_alu instid0(VALU_DEP_2) | instskip(SKIP_1) | instid1(VALU_DEP_1)
	v_mul_u32_u24_e32 v13, 0x10001, v13
	s_wait_dscnt 0x3
	v_pk_mul_f16 v4, v4, v13
	v_pk_mul_f16 v5, v5, v13
	v_and_b32_e32 v13, 0xffff, v1
	v_lshrrev_b32_e32 v1, 16, v1
	v_mul_u32_u24_e32 v0, 0x10001, v0
	v_pk_fma_f16 v4, v17, v12, v4
	v_pk_fma_f16 v5, v16, v12, v5
	v_mul_u32_u24_e32 v13, 0x10001, v13
	v_mul_u32_u24_e32 v1, 0x10001, v1
	v_and_b32_e32 v17, 0xffff, v3
	v_pk_fma_f16 v12, v6, v0, v4
	v_pk_fma_f16 v0, v7, v0, v5
	ds_load_2addr_b64 v[4:7], v47 offset0:128 offset1:160
	v_lshrrev_b32_e32 v3, 16, v3
	s_wait_dscnt 0x3
	v_pk_fma_f16 v8, v8, v13, v12
	v_pk_fma_f16 v0, v9, v13, v0
	ds_load_2addr_b64 v[12:15], v70 offset1:32
	v_mul_u32_u24_e32 v3, 0x10001, v3
	v_pk_fma_f16 v16, v10, v1, v8
	v_pk_fma_f16 v0, v11, v1, v0
	ds_load_2addr_b64 v[8:11], v47 offset0:192 offset1:224
	v_and_b32_e32 v1, 0xffff, v2
	v_lshrrev_b32_e32 v2, 16, v2
	s_delay_alu instid0(VALU_DEP_2) | instskip(NEXT) | instid1(VALU_DEP_2)
	v_mul_u32_u24_e32 v1, 0x10001, v1
	v_mul_u32_u24_e32 v2, 0x10001, v2
	s_wait_dscnt 0x2
	s_delay_alu instid0(VALU_DEP_2) | instskip(SKIP_1) | instid1(VALU_DEP_2)
	v_pk_fma_f16 v4, v4, v1, v16
	v_pk_fma_f16 v0, v5, v1, v0
	;; [unrolled: 1-line block ×3, first 2 shown]
	s_delay_alu instid0(VALU_DEP_2) | instskip(SKIP_4) | instid1(VALU_DEP_3)
	v_pk_fma_f16 v0, v7, v2, v0
	v_mul_u32_u24_e32 v2, 0x10001, v17
	v_and_b32_e32 v6, 0xffff, v18
	v_lshrrev_b32_e32 v7, 16, v18
	s_wait_dscnt 0x0
	v_pk_fma_f16 v1, v8, v2, v1
	v_pk_fma_f16 v0, v9, v2, v0
	v_mul_u32_u24_e32 v6, 0x10001, v6
	v_mul_u32_u24_e32 v7, 0x10001, v7
	s_delay_alu instid0(VALU_DEP_4) | instskip(NEXT) | instid1(VALU_DEP_4)
	v_pk_fma_f16 v4, v10, v3, v1
	v_pk_fma_f16 v5, v11, v3, v0
	ds_load_2addr_b64 v[0:3], v70 offset0:128 offset1:160
	v_pk_fma_f16 v4, v12, v6, v4
	v_pk_fma_f16 v5, v13, v6, v5
	s_delay_alu instid0(VALU_DEP_2) | instskip(SKIP_1) | instid1(VALU_DEP_3)
	v_pk_fma_f16 v12, v14, v7, v4
	v_and_b32_e32 v14, 0xffff, v19
	v_pk_fma_f16 v13, v15, v7, v5
	v_lshrrev_b32_e32 v15, 16, v19
	ds_load_2addr_b64 v[4:7], v70 offset0:192 offset1:224
	s_wait_dscnt 0x0
	v_mul_u32_u24_e32 v14, 0x10001, v14
	s_barrier_signal -1
	v_mul_u32_u24_e32 v15, 0x10001, v15
	s_barrier_wait -1
	s_delay_alu instid0(VALU_DEP_2)
	v_pk_fma_f16 v12, v74, v14, v12
	v_pk_fma_f16 v13, v75, v14, v13
	global_load_b128 v[8:11], v[78:79], off
	v_pk_fma_f16 v74, v76, v15, v12
	v_pk_fma_f16 v75, v77, v15, v13
	global_load_b128 v[12:15], v[22:23], off
	v_and_b32_e32 v76, 0xffff, v20
	s_wait_xcnt 0x1
	v_dual_lshrrev_b32 v77, 16, v20 :: v_dual_lshrrev_b32 v79, 16, v21
	v_and_b32_e32 v78, 0xffff, v21
	s_clause 0x1
	global_load_b128 v[16:19], v[80:81], off
	global_load_b128 v[20:23], v[82:83], off
	s_wait_xcnt 0x1
	v_mov_b32_e32 v80, v71
	v_mul_u32_u24_e32 v71, 0x10001, v76
	v_mul_u32_u24_e32 v76, 0x10001, v77
	;; [unrolled: 1-line block ×4, first 2 shown]
	s_wait_loadcnt 0x3
	ds_store_b128 v64, v[8:11]
	s_wait_loadcnt 0x2
	ds_store_b128 v67, v[12:15]
	;; [unrolled: 2-line block ×4, first 2 shown]
	v_pk_fma_f16 v0, v0, v71, v74
	v_pk_fma_f16 v1, v1, v71, v75
	s_wait_dscnt 0x0
	s_barrier_signal -1
	s_barrier_wait -1
	v_pk_fma_f16 v0, v2, v76, v0
	v_pk_fma_f16 v1, v3, v76, v1
	s_delay_alu instid0(VALU_DEP_2) | instskip(NEXT) | instid1(VALU_DEP_2)
	v_pk_fma_f16 v0, v4, v77, v0
	v_pk_fma_f16 v1, v5, v77, v1
	s_delay_alu instid0(VALU_DEP_2) | instskip(NEXT) | instid1(VALU_DEP_2)
	v_pk_fma_f16 v71, v6, v78, v0
	v_pk_fma_f16 v74, v7, v78, v1
	ds_load_b128 v[0:3], v62 offset:32
	ds_load_2addr_b64 v[4:7], v47 offset1:32
	ds_load_2addr_b64 v[8:11], v47 offset0:64 offset1:96
	ds_load_2addr_b64 v[12:15], v47 offset0:128 offset1:160
	;; [unrolled: 1-line block ×3, first 2 shown]
	ds_load_b128 v[20:23], v62 offset:48
	s_wait_dscnt 0x5
	v_and_b32_e32 v75, 0xffff, v0
	v_dual_lshrrev_b32 v0, 16, v0 :: v_dual_lshrrev_b32 v76, 16, v2
	v_and_b32_e32 v77, 0xffff, v3
	v_lshrrev_b32_e32 v78, 16, v3
	s_delay_alu instid0(VALU_DEP_4) | instskip(NEXT) | instid1(VALU_DEP_4)
	v_mul_u32_u24_e32 v75, 0x10001, v75
	v_mul_u32_u24_e32 v0, 0x10001, v0
	;; [unrolled: 1-line block ×3, first 2 shown]
	s_wait_dscnt 0x4
	s_delay_alu instid0(VALU_DEP_3)
	v_pk_fma_f16 v4, v4, v75, v71
	v_pk_fma_f16 v5, v5, v75, v74
	v_and_b32_e32 v74, 0xffff, v1
	v_lshrrev_b32_e32 v1, 16, v1
	v_and_b32_e32 v75, 0xffff, v2
	v_pk_fma_f16 v71, v6, v0, v4
	v_pk_fma_f16 v0, v7, v0, v5
	v_mul_u32_u24_e32 v74, 0x10001, v74
	v_mul_u32_u24_e32 v1, 0x10001, v1
	;; [unrolled: 1-line block ×3, first 2 shown]
	ds_load_2addr_b64 v[4:7], v70 offset1:32
	s_wait_dscnt 0x4
	v_pk_fma_f16 v8, v8, v74, v71
	v_pk_fma_f16 v0, v9, v74, v0
	s_delay_alu instid0(VALU_DEP_2) | instskip(NEXT) | instid1(VALU_DEP_2)
	v_pk_fma_f16 v71, v10, v1, v8
	v_pk_fma_f16 v74, v11, v1, v0
	ds_load_2addr_b64 v[8:11], v70 offset0:64 offset1:96
	ds_load_2addr_b64 v[0:3], v70 offset0:128 offset1:160
	s_wait_dscnt 0x5
	v_pk_fma_f16 v12, v12, v75, v71
	v_pk_fma_f16 v13, v13, v75, v74
	s_wait_dscnt 0x3
	v_and_b32_e32 v75, 0xffff, v20
	v_lshrrev_b32_e32 v20, 16, v20
	v_pk_fma_f16 v71, v14, v76, v12
	v_pk_fma_f16 v74, v15, v76, v13
	v_mul_u32_u24_e32 v76, 0x10001, v77
	s_delay_alu instid0(VALU_DEP_4)
	v_mul_u32_u24_e32 v20, 0x10001, v20
	ds_load_2addr_b64 v[12:15], v70 offset0:192 offset1:224
	s_wait_dscnt 0x0
	s_barrier_signal -1
	v_pk_fma_f16 v16, v16, v76, v71
	v_pk_fma_f16 v17, v17, v76, v74
	v_mul_u32_u24_e32 v74, 0x10001, v78
	v_and_b32_e32 v71, 0xffff, v21
	s_barrier_wait -1
	s_load_b32 s2, s[20:21], 0x4
	s_delay_alu instid0(VALU_DEP_2)
	v_pk_fma_f16 v16, v18, v74, v16
	v_pk_fma_f16 v17, v19, v74, v17
	v_mul_u32_u24_e32 v74, 0x10001, v75
	v_dual_lshrrev_b32 v18, 16, v21 :: v_dual_lshrrev_b32 v21, 16, v22
	v_mul_u32_u24_e32 v71, 0x10001, v71
	v_and_b32_e32 v19, 0xffff, v22
	s_delay_alu instid0(VALU_DEP_4)
	v_pk_fma_f16 v4, v4, v74, v16
	v_pk_fma_f16 v5, v5, v74, v17
	v_mul_u32_u24_e32 v18, 0x10001, v18
	v_lshrrev_b32_e32 v22, 16, v23
	v_mul_u32_u24_e32 v19, 0x10001, v19
	v_pk_fma_f16 v4, v6, v20, v4
	v_pk_fma_f16 v5, v7, v20, v5
	v_and_b32_e32 v23, 0xffff, v23
	v_mul_u32_u24_e32 v21, 0x10001, v21
	s_delay_alu instid0(VALU_DEP_4) | instskip(NEXT) | instid1(VALU_DEP_4)
	v_pk_fma_f16 v4, v8, v71, v4
	v_pk_fma_f16 v5, v9, v71, v5
	s_delay_alu instid0(VALU_DEP_4)
	v_mul_u32_u24_e32 v23, 0x10001, v23
	v_mov_b32_e32 v71, v72
	s_wait_kmcnt 0x0
	s_lshl_b32 s2, s2, 5
	v_pk_fma_f16 v4, v10, v18, v4
	v_pk_fma_f16 v5, v11, v18, v5
	s_add_co_i32 s4, s2, s4
	v_fmac_f32_e32 v71, v80, v73
	s_cmp_ge_i32 s4, s30
	v_pk_fma_f16 v0, v0, v19, v4
	v_pk_fma_f16 v1, v1, v19, v5
	s_delay_alu instid0(VALU_DEP_2) | instskip(NEXT) | instid1(VALU_DEP_2)
	v_pk_fma_f16 v0, v2, v21, v0
	v_pk_fma_f16 v1, v3, v21, v1
	v_mul_u32_u24_e32 v2, 0x10001, v22
	s_delay_alu instid0(VALU_DEP_3) | instskip(NEXT) | instid1(VALU_DEP_3)
	v_pk_fma_f16 v0, v12, v23, v0
	v_pk_fma_f16 v1, v13, v23, v1
	s_delay_alu instid0(VALU_DEP_2) | instskip(NEXT) | instid1(VALU_DEP_2)
	v_pk_fma_f16 v17, v14, v2, v0
	v_pk_fma_f16 v16, v15, v2, v1
	s_cbranch_scc0 .LBB49_9
; %bb.10:
	v_mov_b32_e32 v1, v51
.LBB49_11:
	v_cmp_lt_i32_e32 vcc_lo, v57, v52
	s_cmp_lg_u64 s[12:13], 0
	s_cselect_b32 s2, -1, 0
	s_cmp_eq_u32 s31, 0
	v_cndmask_b32_e32 v0, v1, v57, vcc_lo
	v_cmp_lt_i32_e32 vcc_lo, v56, v52
	s_cselect_b32 s3, -1, 0
	s_delay_alu instid0(SALU_CYCLE_1) | instskip(SKIP_3) | instid1(VALU_DEP_3)
	s_and_b32 s2, s3, s2
	v_cndmask_b32_e32 v2, v1, v56, vcc_lo
	v_lshlrev_b32_e32 v0, 2, v0
	v_cmp_lt_i32_e32 vcc_lo, v55, v52
	v_lshlrev_b32_e32 v2, 2, v2
	ds_bpermute_b32 v0, v0, v71
	v_cndmask_b32_e32 v3, v1, v55, vcc_lo
	v_cmp_lt_i32_e32 vcc_lo, v54, v52
	s_wait_dscnt 0x0
	v_add_f32_e32 v0, v71, v0
	ds_bpermute_b32 v2, v2, v0
	s_wait_dscnt 0x0
	v_dual_add_f32 v0, v0, v2 :: v_dual_lshlrev_b32 v3, 2, v3
	ds_bpermute_b32 v2, v3, v0
	v_cndmask_b32_e32 v3, v1, v54, vcc_lo
	v_cmp_lt_i32_e32 vcc_lo, v53, v52
	s_delay_alu instid0(VALU_DEP_2)
	v_dual_cndmask_b32 v1, v1, v53, vcc_lo :: v_dual_lshlrev_b32 v3, 2, v3
	s_and_b32 vcc_lo, exec_lo, s2
	s_wait_dscnt 0x0
	v_add_f32_e32 v0, v0, v2
	ds_bpermute_b32 v2, v3, v0
	s_wait_dscnt 0x0
	v_dual_add_f32 v0, v0, v2 :: v_dual_lshlrev_b32 v1, 2, v1
	ds_bpermute_b32 v1, v1, v0
	s_wait_dscnt 0x0
	v_dual_add_f32 v47, v0, v1 :: v_dual_add_nc_u32 v2, s33, v24
	s_cbranch_vccz .LBB49_13
; %bb.12:
	global_load_b32 v1, v2, s[12:13] scale_offset
	s_wait_loadcnt 0x0
	v_dual_max_num_f32 v0, v46, v46 :: v_dual_max_num_f32 v3, v1, v1
	s_delay_alu instid0(VALU_DEP_1) | instskip(NEXT) | instid1(VALU_DEP_1)
	v_max_num_f32_e32 v0, v0, v3
	v_sub_f32_e32 v1, v1, v0
	s_delay_alu instid0(VALU_DEP_1) | instskip(SKIP_1) | instid1(VALU_DEP_2)
	v_mul_f32_e32 v7, 0x3fb8aa3b, v1
	v_sub_f32_e32 v3, v46, v0
	v_rndne_f32_e32 v9, v7
	s_delay_alu instid0(VALU_DEP_2) | instskip(NEXT) | instid1(VALU_DEP_1)
	v_mul_f32_e32 v4, 0x3fb8aa3b, v3
	v_fma_f32 v5, 0x3fb8aa3b, v3, -v4
	v_rndne_f32_e32 v6, v4
	s_delay_alu instid0(VALU_DEP_1) | instskip(SKIP_2) | instid1(VALU_DEP_3)
	v_dual_sub_f32 v4, v4, v6 :: v_dual_fmac_f32 v5, 0x32a5705f, v3
	v_cvt_i32_f32_e32 v6, v6
	v_cmp_ngt_f32_e32 vcc_lo, 0xc2ce8ed0, v3
	v_add_f32_e32 v4, v4, v5
	v_fma_f32 v8, 0x3fb8aa3b, v1, -v7
	v_sub_f32_e32 v5, v7, v9
	s_delay_alu instid0(VALU_DEP_3) | instskip(NEXT) | instid1(VALU_DEP_2)
	v_exp_f32_e32 v4, v4
	v_fmac_f32_e32 v8, 0x32a5705f, v1
	s_delay_alu instid0(TRANS32_DEP_1) | instskip(SKIP_1) | instid1(VALU_DEP_2)
	v_ldexp_f32 v4, v4, v6
	v_cvt_i32_f32_e32 v6, v9
	v_cndmask_b32_e32 v4, 0, v4, vcc_lo
	v_cmp_nlt_f32_e32 vcc_lo, 0x42b17218, v3
	s_delay_alu instid0(VALU_DEP_2) | instskip(SKIP_2) | instid1(VALU_DEP_2)
	v_cndmask_b32_e32 v3, 0x7f800000, v4, vcc_lo
	v_add_f32_e32 v5, v5, v8
	v_cmp_ngt_f32_e32 vcc_lo, 0xc2ce8ed0, v1
	v_exp_f32_e32 v5, v5
	v_nop
	s_delay_alu instid0(TRANS32_DEP_1) | instskip(SKIP_1) | instid1(VALU_DEP_2)
	v_ldexp_f32 v4, v5, v6
	v_cvt_f16_f32_e32 v5, v3
	v_cndmask_b32_e32 v4, 0, v4, vcc_lo
	v_cmp_nlt_f32_e32 vcc_lo, 0x42b17218, v1
	s_delay_alu instid0(VALU_DEP_3) | instskip(NEXT) | instid1(VALU_DEP_3)
	v_and_b32_e32 v5, 0xffff, v5
	v_cndmask_b32_e32 v1, 0x7f800000, v4, vcc_lo
	s_delay_alu instid0(VALU_DEP_2) | instskip(NEXT) | instid1(VALU_DEP_2)
	v_mul_u32_u24_e32 v4, 0x10001, v5
	v_fmac_f32_e32 v1, v47, v3
	s_delay_alu instid0(VALU_DEP_2) | instskip(SKIP_1) | instid1(VALU_DEP_3)
	v_pk_mul_f16 v17, v17, v4
	v_pk_mul_f16 v16, v16, v4
	v_mov_b64_e32 v[46:47], v[0:1]
	s_branch .LBB49_14
.LBB49_13:
	s_delay_alu instid0(VALU_DEP_1)
	v_mov_b32_e32 v1, v47
.LBB49_14:
	s_delay_alu instid0(VALU_DEP_1) | instskip(SKIP_2) | instid1(VALU_DEP_3)
	v_div_scale_f32 v0, null, v1, v1, 1.0
	v_div_scale_f32 v5, vcc_lo, 1.0, v1, 1.0
	v_mad_u32 v6, s28, s22, v49
	v_rcp_f32_e32 v4, v0
	s_load_b32 s0, s[0:1], 0xd4
	v_nop
	s_delay_alu instid0(TRANS32_DEP_1) | instskip(NEXT) | instid1(VALU_DEP_3)
	v_fma_f32 v3, -v0, v4, 1.0
	v_mad_u32 v2, v6, s23, v2
	v_cvt_f32_f16_e32 v6, v16
	s_delay_alu instid0(VALU_DEP_3) | instskip(NEXT) | instid1(VALU_DEP_1)
	v_fmac_f32_e32 v4, v3, v4
	v_mul_f32_e32 v7, v5, v4
	s_wait_kmcnt 0x0
	s_cmp_lg_u32 s0, 1
	s_delay_alu instid0(VALU_DEP_1) | instskip(NEXT) | instid1(VALU_DEP_1)
	v_fma_f32 v3, -v0, v7, v5
	v_dual_fmac_f32 v7, v3, v4 :: v_dual_mov_b32 v3, 0
	s_delay_alu instid0(VALU_DEP_1) | instskip(SKIP_2) | instid1(VALU_DEP_2)
	v_fma_f32 v5, -v0, v7, v5
	v_mad_u32 v0, s0, v2, s31
	s_cselect_b32 s0, -1, 0
	v_div_fmas_f32 v2, v5, v4, v7
	v_dual_lshrrev_b32 v5, 16, v17 :: v_dual_lshrrev_b32 v7, 16, v16
	v_cvt_f32_f16_e32 v4, v17
	v_cmp_eq_u32_e32 vcc_lo, 0, v48
	s_delay_alu instid0(VALU_DEP_4) | instskip(NEXT) | instid1(VALU_DEP_4)
	v_div_fixup_f32 v1, v2, v1, 1.0
	v_cvt_f32_f16_e32 v5, v5
	v_lshl_add_u32 v2, v0, 7, v25
	v_cvt_f32_f16_e32 v7, v7
	s_delay_alu instid0(VALU_DEP_4) | instskip(SKIP_1) | instid1(VALU_DEP_3)
	v_cndmask_b32_e64 v8, v1, 1.0, s0
	s_and_b32 s0, vcc_lo, s0
	v_lshl_add_u64 v[10:11], v[2:3], 2, s[16:17]
	s_delay_alu instid0(VALU_DEP_2)
	v_pk_mul_f32 v[2:3], v[8:9], v[4:5] op_sel_hi:[0,1]
	v_pk_mul_f32 v[4:5], v[8:9], v[6:7] op_sel_hi:[0,1]
	global_store_b128 v[10:11], v[2:5], off
	s_wait_xcnt 0x0
	s_and_saveexec_b32 s1, s0
	s_cbranch_execz .LBB49_16
; %bb.15:
	global_store_b64 v0, v[46:47], s[18:19] scale_offset
.LBB49_16:
	s_sendmsg sendmsg(MSG_DEALLOC_VGPRS)
	s_endpgm
	.section	.rodata,"a",@progbits
	.p2align	6, 0x0
	.amdhsa_kernel _ZL15flash_attn_tileILi128ELi128ELi1ELi2ELb0EEvPKcS1_S1_S1_S1_PKiPfP15HIP_vector_typeIfLj2EEffffjfiS5_IjLj3EEiiiiiiiiiiiliiliiiiil
		.amdhsa_group_segment_fixed_size 5248
		.amdhsa_private_segment_fixed_size 0
		.amdhsa_kernarg_size 464
		.amdhsa_user_sgpr_count 2
		.amdhsa_user_sgpr_dispatch_ptr 0
		.amdhsa_user_sgpr_queue_ptr 0
		.amdhsa_user_sgpr_kernarg_segment_ptr 1
		.amdhsa_user_sgpr_dispatch_id 0
		.amdhsa_user_sgpr_kernarg_preload_length 0
		.amdhsa_user_sgpr_kernarg_preload_offset 0
		.amdhsa_user_sgpr_private_segment_size 0
		.amdhsa_wavefront_size32 1
		.amdhsa_uses_dynamic_stack 0
		.amdhsa_enable_private_segment 0
		.amdhsa_system_sgpr_workgroup_id_x 1
		.amdhsa_system_sgpr_workgroup_id_y 1
		.amdhsa_system_sgpr_workgroup_id_z 1
		.amdhsa_system_sgpr_workgroup_info 0
		.amdhsa_system_vgpr_workitem_id 1
		.amdhsa_next_free_vgpr 86
		.amdhsa_next_free_sgpr 43
		.amdhsa_named_barrier_count 0
		.amdhsa_reserve_vcc 1
		.amdhsa_float_round_mode_32 0
		.amdhsa_float_round_mode_16_64 0
		.amdhsa_float_denorm_mode_32 3
		.amdhsa_float_denorm_mode_16_64 3
		.amdhsa_fp16_overflow 0
		.amdhsa_memory_ordered 1
		.amdhsa_forward_progress 1
		.amdhsa_inst_pref_size 42
		.amdhsa_round_robin_scheduling 0
		.amdhsa_exception_fp_ieee_invalid_op 0
		.amdhsa_exception_fp_denorm_src 0
		.amdhsa_exception_fp_ieee_div_zero 0
		.amdhsa_exception_fp_ieee_overflow 0
		.amdhsa_exception_fp_ieee_underflow 0
		.amdhsa_exception_fp_ieee_inexact 0
		.amdhsa_exception_int_div_zero 0
	.end_amdhsa_kernel
	.section	.text._ZL15flash_attn_tileILi128ELi128ELi1ELi2ELb0EEvPKcS1_S1_S1_S1_PKiPfP15HIP_vector_typeIfLj2EEffffjfiS5_IjLj3EEiiiiiiiiiiiliiliiiiil,"axG",@progbits,_ZL15flash_attn_tileILi128ELi128ELi1ELi2ELb0EEvPKcS1_S1_S1_S1_PKiPfP15HIP_vector_typeIfLj2EEffffjfiS5_IjLj3EEiiiiiiiiiiiliiliiiiil,comdat
.Lfunc_end49:
	.size	_ZL15flash_attn_tileILi128ELi128ELi1ELi2ELb0EEvPKcS1_S1_S1_S1_PKiPfP15HIP_vector_typeIfLj2EEffffjfiS5_IjLj3EEiiiiiiiiiiiliiliiiiil, .Lfunc_end49-_ZL15flash_attn_tileILi128ELi128ELi1ELi2ELb0EEvPKcS1_S1_S1_S1_PKiPfP15HIP_vector_typeIfLj2EEffffjfiS5_IjLj3EEiiiiiiiiiiiliiliiiiil
                                        ; -- End function
	.set _ZL15flash_attn_tileILi128ELi128ELi1ELi2ELb0EEvPKcS1_S1_S1_S1_PKiPfP15HIP_vector_typeIfLj2EEffffjfiS5_IjLj3EEiiiiiiiiiiiliiliiiiil.num_vgpr, 86
	.set _ZL15flash_attn_tileILi128ELi128ELi1ELi2ELb0EEvPKcS1_S1_S1_S1_PKiPfP15HIP_vector_typeIfLj2EEffffjfiS5_IjLj3EEiiiiiiiiiiiliiliiiiil.num_agpr, 0
	.set _ZL15flash_attn_tileILi128ELi128ELi1ELi2ELb0EEvPKcS1_S1_S1_S1_PKiPfP15HIP_vector_typeIfLj2EEffffjfiS5_IjLj3EEiiiiiiiiiiiliiliiiiil.numbered_sgpr, 43
	.set _ZL15flash_attn_tileILi128ELi128ELi1ELi2ELb0EEvPKcS1_S1_S1_S1_PKiPfP15HIP_vector_typeIfLj2EEffffjfiS5_IjLj3EEiiiiiiiiiiiliiliiiiil.num_named_barrier, 0
	.set _ZL15flash_attn_tileILi128ELi128ELi1ELi2ELb0EEvPKcS1_S1_S1_S1_PKiPfP15HIP_vector_typeIfLj2EEffffjfiS5_IjLj3EEiiiiiiiiiiiliiliiiiil.private_seg_size, 0
	.set _ZL15flash_attn_tileILi128ELi128ELi1ELi2ELb0EEvPKcS1_S1_S1_S1_PKiPfP15HIP_vector_typeIfLj2EEffffjfiS5_IjLj3EEiiiiiiiiiiiliiliiiiil.uses_vcc, 1
	.set _ZL15flash_attn_tileILi128ELi128ELi1ELi2ELb0EEvPKcS1_S1_S1_S1_PKiPfP15HIP_vector_typeIfLj2EEffffjfiS5_IjLj3EEiiiiiiiiiiiliiliiiiil.uses_flat_scratch, 0
	.set _ZL15flash_attn_tileILi128ELi128ELi1ELi2ELb0EEvPKcS1_S1_S1_S1_PKiPfP15HIP_vector_typeIfLj2EEffffjfiS5_IjLj3EEiiiiiiiiiiiliiliiiiil.has_dyn_sized_stack, 0
	.set _ZL15flash_attn_tileILi128ELi128ELi1ELi2ELb0EEvPKcS1_S1_S1_S1_PKiPfP15HIP_vector_typeIfLj2EEffffjfiS5_IjLj3EEiiiiiiiiiiiliiliiiiil.has_recursion, 0
	.set _ZL15flash_attn_tileILi128ELi128ELi1ELi2ELb0EEvPKcS1_S1_S1_S1_PKiPfP15HIP_vector_typeIfLj2EEffffjfiS5_IjLj3EEiiiiiiiiiiiliiliiiiil.has_indirect_call, 0
	.section	.AMDGPU.csdata,"",@progbits
; Kernel info:
; codeLenInByte = 5308
; TotalNumSgprs: 45
; NumVgprs: 86
; ScratchSize: 0
; MemoryBound: 0
; FloatMode: 240
; IeeeMode: 1
; LDSByteSize: 5248 bytes/workgroup (compile time only)
; SGPRBlocks: 0
; VGPRBlocks: 5
; NumSGPRsForWavesPerEU: 45
; NumVGPRsForWavesPerEU: 86
; NamedBarCnt: 0
; Occupancy: 10
; WaveLimiterHint : 1
; COMPUTE_PGM_RSRC2:SCRATCH_EN: 0
; COMPUTE_PGM_RSRC2:USER_SGPR: 2
; COMPUTE_PGM_RSRC2:TRAP_HANDLER: 0
; COMPUTE_PGM_RSRC2:TGID_X_EN: 1
; COMPUTE_PGM_RSRC2:TGID_Y_EN: 1
; COMPUTE_PGM_RSRC2:TGID_Z_EN: 1
; COMPUTE_PGM_RSRC2:TIDIG_COMP_CNT: 1
	.section	.text._ZL33flash_attn_stream_k_fixup_uniformILi128ELi1ELi2EEvPfPK15HIP_vector_typeIfLj2EEiiiiiiS1_IjLj3EES5_S5_,"axG",@progbits,_ZL33flash_attn_stream_k_fixup_uniformILi128ELi1ELi2EEvPfPK15HIP_vector_typeIfLj2EEiiiiiiS1_IjLj3EES5_S5_,comdat
	.globl	_ZL33flash_attn_stream_k_fixup_uniformILi128ELi1ELi2EEvPfPK15HIP_vector_typeIfLj2EEiiiiiiS1_IjLj3EES5_S5_ ; -- Begin function _ZL33flash_attn_stream_k_fixup_uniformILi128ELi1ELi2EEvPfPK15HIP_vector_typeIfLj2EEiiiiiiS1_IjLj3EES5_S5_
	.p2align	8
	.type	_ZL33flash_attn_stream_k_fixup_uniformILi128ELi1ELi2EEvPfPK15HIP_vector_typeIfLj2EEiiiiiiS1_IjLj3EES5_S5_,@function
_ZL33flash_attn_stream_k_fixup_uniformILi128ELi1ELi2EEvPfPK15HIP_vector_typeIfLj2EEiiiiiiS1_IjLj3EES5_S5_: ; @_ZL33flash_attn_stream_k_fixup_uniformILi128ELi1ELi2EEvPfPK15HIP_vector_typeIfLj2EEiiiiiiS1_IjLj3EES5_S5_
; %bb.0:
	s_load_b256 s[4:11], s[0:1], 0x1c
	s_bfe_u32 s2, ttmp6, 0x40014
	s_lshr_b32 s3, ttmp7, 16
	s_add_co_i32 s2, s2, 1
	s_bfe_u32 s13, ttmp6, 0x40010
	s_mul_i32 s2, s3, s2
	s_bfe_u32 s12, ttmp6, 0x40008
	s_and_b32 s15, ttmp7, 0xffff
	s_add_co_i32 s13, s13, 1
	s_bfe_u32 s14, ttmp6, 0x4000c
	s_add_co_i32 s12, s12, s2
	s_mul_i32 s2, s15, s13
	s_bfe_u32 s13, ttmp6, 0x40004
	s_add_co_i32 s14, s14, 1
	s_add_co_i32 s13, s13, s2
	s_and_b32 s2, ttmp6, 15
	s_mul_i32 s14, ttmp9, s14
	s_getreg_b32 s20, hwreg(HW_REG_IB_STS2, 6, 4)
	s_add_co_i32 s2, s2, s14
	s_load_b128 s[16:19], s[0:1], 0x3c
	s_cmp_eq_u32 s20, 0
	s_cselect_b32 s14, ttmp9, s2
	s_cselect_b32 s13, s15, s13
	s_wait_kmcnt 0x0
	s_mul_hi_u32 s2, s7, s14
	s_cselect_b32 s12, s3, s12
	s_add_co_i32 s2, s14, s2
	s_delay_alu instid0(SALU_CYCLE_1) | instskip(NEXT) | instid1(SALU_CYCLE_1)
	s_lshr_b32 s7, s2, s8
	s_mul_i32 s2, s7, s9
	s_delay_alu instid0(SALU_CYCLE_1) | instskip(SKIP_2) | instid1(SALU_CYCLE_1)
	s_sub_co_i32 s8, s14, s2
	s_load_b64 s[2:3], s[0:1], 0x10
	s_mul_hi_u32 s9, s8, s10
	s_add_co_i32 s9, s8, s9
	s_delay_alu instid0(SALU_CYCLE_1) | instskip(NEXT) | instid1(SALU_CYCLE_1)
	s_lshr_b32 s15, s9, s11
	s_mul_i32 s9, s15, s16
	s_delay_alu instid0(SALU_CYCLE_1) | instskip(NEXT) | instid1(SALU_CYCLE_1)
	s_sub_co_i32 s8, s8, s9
	s_mul_hi_u32 s9, s8, s17
	s_delay_alu instid0(SALU_CYCLE_1) | instskip(NEXT) | instid1(SALU_CYCLE_1)
	s_add_co_i32 s9, s8, s9
	s_lshr_b32 s9, s9, s18
	s_delay_alu instid0(SALU_CYCLE_1) | instskip(SKIP_2) | instid1(SALU_CYCLE_1)
	s_mul_i32 s10, s9, s19
	s_lshl_b32 s17, s9, 1
	s_sub_co_i32 s16, s8, s10
	s_add_co_i32 s16, s16, s13
	s_wait_kmcnt 0x0
	s_cmp_lt_i32 s16, s2
	s_cselect_b32 s8, -1, 0
	s_add_co_i32 s17, s17, s12
	s_delay_alu instid0(SALU_CYCLE_1) | instskip(SKIP_1) | instid1(SALU_CYCLE_1)
	s_cmp_lt_i32 s17, s5
	s_cselect_b32 s9, -1, 0
	s_and_b32 s8, s8, s9
	s_delay_alu instid0(SALU_CYCLE_1)
	s_and_not1_b32 vcc_lo, exec_lo, s8
	s_cbranch_vccnz .LBB50_6
; %bb.1:
	s_load_b128 s[8:11], s[0:1], 0x0
	s_mul_i32 s7, s7, s2
	s_mul_i32 s15, s15, s5
	s_wait_xcnt 0x0
	s_add_co_i32 s0, s16, s7
	s_add_co_i32 s1, s17, s15
	s_mul_i32 s0, s0, s3
	s_mul_i32 s7, s6, s14
	s_add_co_i32 s1, s1, s0
	s_add_co_i32 s5, s7, s6
	v_lshl_or_b32 v4, s1, 7, v0
	s_add_co_i32 s0, s13, s5
	s_add_co_i32 s2, s5, -2
	s_lshl_b32 s0, s0, 1
	s_delay_alu instid0(SALU_CYCLE_1) | instskip(SKIP_2) | instid1(SALU_CYCLE_1)
	s_add_co_i32 s0, s0, s12
	v_ashrrev_i32_e32 v5, 31, v4
	s_add_co_i32 s0, s0, -2
	s_ashr_i32 s1, s0, 31
	s_delay_alu instid0(SALU_CYCLE_1)
	s_lshl_b64 s[0:1], s[0:1], 3
	s_wait_kmcnt 0x0
	global_load_b32 v3, v4, s[8:9] scale_offset
	s_add_nc_u64 s[0:1], s[10:11], s[0:1]
	s_cmp_lt_i32 s2, s7
	s_load_b32 s15, s[0:1], 0x4
	s_cbranch_scc1 .LBB50_4
; %bb.2:
	s_wait_xcnt 0x0
	s_load_b32 s0, s[0:1], 0x0
	s_add_co_i32 s14, s14, 1
	s_wait_xcnt 0x0
	s_lshl_b32 s1, s12, 7
	s_mul_i32 s3, s6, s14
	s_lshl_b32 s6, s13, 8
	s_lshl_b32 s14, s3, 8
	s_add_co_i32 s1, s1, s6
	s_lshl_b32 s2, s4, 3
	s_add_co_i32 s1, s1, s14
	s_add_co_i32 s4, s13, s4
	s_wait_kmcnt 0x0
	v_dual_mov_b32 v2, s15 :: v_dual_bitop2_b32 v0, s1, v0 bitop3:0x54
	s_add_co_i32 s4, s4, s5
	s_ashr_i32 s3, s2, 31
	s_lshl_b32 s1, s4, 1
	s_delay_alu instid0(VALU_DEP_1)
	v_add_nc_u32_e32 v0, 0xfffffe00, v0
	s_lshl_b64 s[2:3], s[2:3], 2
	s_add_co_i32 s4, s12, s1
	s_add_nc_u64 s[2:3], s[10:11], s[2:3]
	s_add_co_i32 s1, s5, -1
	s_add_co_i32 s4, s4, -4
.LBB50_3:                               ; =>This Inner Loop Header: Depth=1
	global_load_b32 v7, v0, s[2:3] scale_offset
	s_ashr_i32 s5, s4, 31
	v_max_num_f32_e64 v1, s0, s0
	s_lshl_b64 s[12:13], s[4:5], 3
	s_delay_alu instid0(SALU_CYCLE_1) | instskip(SKIP_1) | instid1(VALU_DEP_1)
	s_add_nc_u64 s[12:13], s[10:11], s[12:13]
	s_load_b64 s[12:13], s[12:13], 0x0
	v_readfirstlane_b32 s5, v1
	v_add_nc_u32_e32 v0, 0xffffff00, v0
	s_wait_kmcnt 0x0
	v_max_num_f32_e64 v1, s12, s12
	s_delay_alu instid0(VALU_DEP_1) | instskip(SKIP_1) | instid1(SALU_CYCLE_3)
	v_readfirstlane_b32 s6, v1
	s_max_num_f32 s5, s5, s6
	s_sub_f32 s0, s0, s5
	s_sub_f32 s6, s12, s5
	s_delay_alu instid0(SALU_CYCLE_2) | instskip(NEXT) | instid1(SALU_CYCLE_2)
	s_mul_f32 s12, s0, 0x3fb8aa3b
	s_mul_f32 s14, s6, 0x3fb8aa3b
	s_delay_alu instid0(SALU_CYCLE_2)
	s_xor_b32 s15, s12, 0x80000000
	s_rndne_f32 s16, s12
	s_fmamk_f32 s15, s0, 0x3fb8aa3b, s15
	s_cmp_nlt_f32 s0, 0xc2ce8ed0
	s_rndne_f32 s17, s14
	s_sub_f32 s12, s12, s16
	s_fmamk_f32 s15, s0, 0x32a5705f, s15
	s_cselect_b32 vcc_lo, -1, 0
	s_cmp_ngt_f32 s0, 0x42b17218
	s_delay_alu instid0(SALU_CYCLE_1) | instskip(SKIP_2) | instid1(SALU_CYCLE_1)
	s_add_f32 s12, s12, s15
	s_cvt_i32_f32 s15, s16
	s_sub_f32 s16, s14, s17
	v_s_exp_f32 s12, s12
	v_nop
	s_delay_alu instid0(TRANS32_DEP_1) | instskip(SKIP_1) | instid1(VALU_DEP_1)
	v_ldexp_f32 v1, s12, s15
	s_cvt_i32_f32 s12, s17
	v_cndmask_b32_e32 v1, 0, v1, vcc_lo
	s_cselect_b32 vcc_lo, -1, 0
	s_cmp_ge_f32 s0, 0xc1a00000
	s_delay_alu instid0(VALU_DEP_1)
	v_cndmask_b32_e32 v1, 0x7f800000, v1, vcc_lo
	s_cselect_b32 vcc_lo, -1, 0
	s_xor_b32 s0, s14, 0x80000000
	s_cmp_nlt_f32 s6, 0xc2ce8ed0
	s_fmamk_f32 s0, s6, 0x3fb8aa3b, s0
	v_cndmask_b32_e32 v10, 0, v1, vcc_lo
	s_delay_alu instid0(SALU_CYCLE_2) | instskip(NEXT) | instid1(SALU_CYCLE_3)
	s_fmamk_f32 s0, s6, 0x32a5705f, s0
	s_add_f32 s0, s16, s0
	s_delay_alu instid0(SALU_CYCLE_3) | instskip(SKIP_1) | instid1(TRANS32_DEP_1)
	v_s_exp_f32 s0, s0
	v_nop
	v_ldexp_f32 v6, s0, s12
	s_cselect_b32 s0, -1, 0
	s_cmp_ngt_f32 s6, 0x42b17218
	s_delay_alu instid0(VALU_DEP_1) | instskip(SKIP_2) | instid1(VALU_DEP_1)
	v_cndmask_b32_e64 v6, 0, v6, s0
	s_cselect_b32 s0, -1, 0
	s_cmp_ge_f32 s6, 0xc1a00000
	v_cndmask_b32_e64 v8, 0x7f800000, v6, s0
	s_cselect_b32 s0, -1, 0
	v_mov_b32_e32 v6, s13
	s_add_co_i32 s1, s1, -1
	s_add_co_i32 s4, s4, -2
	v_cndmask_b32_e64 v8, 0, v8, s0
	s_cmp_le_i32 s1, s7
	s_mov_b32 s0, s5
	s_wait_loadcnt 0x0
	s_delay_alu instid0(VALU_DEP_1) | instskip(NEXT) | instid1(VALU_DEP_1)
	v_pk_mul_f32 v[6:7], v[6:7], v[8:9] op_sel_hi:[1,0]
	v_pk_fma_f32 v[2:3], v[2:3], v[10:11], v[6:7] op_sel_hi:[1,0,1]
	s_cbranch_scc0 .LBB50_3
	s_branch .LBB50_5
.LBB50_4:
	s_wait_kmcnt 0x0
	v_mov_b32_e32 v2, s15
.LBB50_5:
	v_lshl_add_u64 v[0:1], v[4:5], 2, s[8:9]
	s_wait_loadcnt 0x0
	s_delay_alu instid0(VALU_DEP_2) | instskip(NEXT) | instid1(VALU_DEP_1)
	v_div_scale_f32 v4, null, v2, v2, v3
	v_rcp_f32_e32 v5, v4
	v_nop
	s_delay_alu instid0(TRANS32_DEP_1) | instskip(NEXT) | instid1(VALU_DEP_1)
	v_fma_f32 v6, -v4, v5, 1.0
	v_fmac_f32_e32 v5, v6, v5
	v_div_scale_f32 v6, vcc_lo, v3, v2, v3
	s_delay_alu instid0(VALU_DEP_1) | instskip(NEXT) | instid1(VALU_DEP_1)
	v_mul_f32_e32 v7, v6, v5
	v_fma_f32 v8, -v4, v7, v6
	s_delay_alu instid0(VALU_DEP_1) | instskip(NEXT) | instid1(VALU_DEP_1)
	v_fmac_f32_e32 v7, v8, v5
	v_fma_f32 v4, -v4, v7, v6
	s_delay_alu instid0(VALU_DEP_1) | instskip(NEXT) | instid1(VALU_DEP_1)
	v_div_fmas_f32 v4, v4, v5, v7
	v_div_fixup_f32 v2, v4, v2, v3
	global_store_b32 v[0:1], v2, off
.LBB50_6:
	s_endpgm
	.section	.rodata,"a",@progbits
	.p2align	6, 0x0
	.amdhsa_kernel _ZL33flash_attn_stream_k_fixup_uniformILi128ELi1ELi2EEvPfPK15HIP_vector_typeIfLj2EEiiiiiiS1_IjLj3EES5_S5_
		.amdhsa_group_segment_fixed_size 0
		.amdhsa_private_segment_fixed_size 0
		.amdhsa_kernarg_size 76
		.amdhsa_user_sgpr_count 2
		.amdhsa_user_sgpr_dispatch_ptr 0
		.amdhsa_user_sgpr_queue_ptr 0
		.amdhsa_user_sgpr_kernarg_segment_ptr 1
		.amdhsa_user_sgpr_dispatch_id 0
		.amdhsa_user_sgpr_kernarg_preload_length 0
		.amdhsa_user_sgpr_kernarg_preload_offset 0
		.amdhsa_user_sgpr_private_segment_size 0
		.amdhsa_wavefront_size32 1
		.amdhsa_uses_dynamic_stack 0
		.amdhsa_enable_private_segment 0
		.amdhsa_system_sgpr_workgroup_id_x 1
		.amdhsa_system_sgpr_workgroup_id_y 1
		.amdhsa_system_sgpr_workgroup_id_z 1
		.amdhsa_system_sgpr_workgroup_info 0
		.amdhsa_system_vgpr_workitem_id 0
		.amdhsa_next_free_vgpr 12
		.amdhsa_next_free_sgpr 21
		.amdhsa_named_barrier_count 0
		.amdhsa_reserve_vcc 1
		.amdhsa_float_round_mode_32 0
		.amdhsa_float_round_mode_16_64 0
		.amdhsa_float_denorm_mode_32 3
		.amdhsa_float_denorm_mode_16_64 3
		.amdhsa_fp16_overflow 0
		.amdhsa_memory_ordered 1
		.amdhsa_forward_progress 1
		.amdhsa_inst_pref_size 9
		.amdhsa_round_robin_scheduling 0
		.amdhsa_exception_fp_ieee_invalid_op 0
		.amdhsa_exception_fp_denorm_src 0
		.amdhsa_exception_fp_ieee_div_zero 0
		.amdhsa_exception_fp_ieee_overflow 0
		.amdhsa_exception_fp_ieee_underflow 0
		.amdhsa_exception_fp_ieee_inexact 0
		.amdhsa_exception_int_div_zero 0
	.end_amdhsa_kernel
	.section	.text._ZL33flash_attn_stream_k_fixup_uniformILi128ELi1ELi2EEvPfPK15HIP_vector_typeIfLj2EEiiiiiiS1_IjLj3EES5_S5_,"axG",@progbits,_ZL33flash_attn_stream_k_fixup_uniformILi128ELi1ELi2EEvPfPK15HIP_vector_typeIfLj2EEiiiiiiS1_IjLj3EES5_S5_,comdat
.Lfunc_end50:
	.size	_ZL33flash_attn_stream_k_fixup_uniformILi128ELi1ELi2EEvPfPK15HIP_vector_typeIfLj2EEiiiiiiS1_IjLj3EES5_S5_, .Lfunc_end50-_ZL33flash_attn_stream_k_fixup_uniformILi128ELi1ELi2EEvPfPK15HIP_vector_typeIfLj2EEiiiiiiS1_IjLj3EES5_S5_
                                        ; -- End function
	.set _ZL33flash_attn_stream_k_fixup_uniformILi128ELi1ELi2EEvPfPK15HIP_vector_typeIfLj2EEiiiiiiS1_IjLj3EES5_S5_.num_vgpr, 12
	.set _ZL33flash_attn_stream_k_fixup_uniformILi128ELi1ELi2EEvPfPK15HIP_vector_typeIfLj2EEiiiiiiS1_IjLj3EES5_S5_.num_agpr, 0
	.set _ZL33flash_attn_stream_k_fixup_uniformILi128ELi1ELi2EEvPfPK15HIP_vector_typeIfLj2EEiiiiiiS1_IjLj3EES5_S5_.numbered_sgpr, 21
	.set _ZL33flash_attn_stream_k_fixup_uniformILi128ELi1ELi2EEvPfPK15HIP_vector_typeIfLj2EEiiiiiiS1_IjLj3EES5_S5_.num_named_barrier, 0
	.set _ZL33flash_attn_stream_k_fixup_uniformILi128ELi1ELi2EEvPfPK15HIP_vector_typeIfLj2EEiiiiiiS1_IjLj3EES5_S5_.private_seg_size, 0
	.set _ZL33flash_attn_stream_k_fixup_uniformILi128ELi1ELi2EEvPfPK15HIP_vector_typeIfLj2EEiiiiiiS1_IjLj3EES5_S5_.uses_vcc, 1
	.set _ZL33flash_attn_stream_k_fixup_uniformILi128ELi1ELi2EEvPfPK15HIP_vector_typeIfLj2EEiiiiiiS1_IjLj3EES5_S5_.uses_flat_scratch, 0
	.set _ZL33flash_attn_stream_k_fixup_uniformILi128ELi1ELi2EEvPfPK15HIP_vector_typeIfLj2EEiiiiiiS1_IjLj3EES5_S5_.has_dyn_sized_stack, 0
	.set _ZL33flash_attn_stream_k_fixup_uniformILi128ELi1ELi2EEvPfPK15HIP_vector_typeIfLj2EEiiiiiiS1_IjLj3EES5_S5_.has_recursion, 0
	.set _ZL33flash_attn_stream_k_fixup_uniformILi128ELi1ELi2EEvPfPK15HIP_vector_typeIfLj2EEiiiiiiS1_IjLj3EES5_S5_.has_indirect_call, 0
	.section	.AMDGPU.csdata,"",@progbits
; Kernel info:
; codeLenInByte = 1072
; TotalNumSgprs: 23
; NumVgprs: 12
; ScratchSize: 0
; MemoryBound: 0
; FloatMode: 240
; IeeeMode: 1
; LDSByteSize: 0 bytes/workgroup (compile time only)
; SGPRBlocks: 0
; VGPRBlocks: 0
; NumSGPRsForWavesPerEU: 23
; NumVGPRsForWavesPerEU: 12
; NamedBarCnt: 0
; Occupancy: 16
; WaveLimiterHint : 0
; COMPUTE_PGM_RSRC2:SCRATCH_EN: 0
; COMPUTE_PGM_RSRC2:USER_SGPR: 2
; COMPUTE_PGM_RSRC2:TRAP_HANDLER: 0
; COMPUTE_PGM_RSRC2:TGID_X_EN: 1
; COMPUTE_PGM_RSRC2:TGID_Y_EN: 1
; COMPUTE_PGM_RSRC2:TGID_Z_EN: 1
; COMPUTE_PGM_RSRC2:TIDIG_COMP_CNT: 0
	.section	.text._ZL33flash_attn_stream_k_fixup_generalILi128ELi1ELi2EEvPfPK15HIP_vector_typeIfLj2EEiiiiS1_IjLj3EES5_S5_S5_,"axG",@progbits,_ZL33flash_attn_stream_k_fixup_generalILi128ELi1ELi2EEvPfPK15HIP_vector_typeIfLj2EEiiiiS1_IjLj3EES5_S5_S5_,comdat
	.globl	_ZL33flash_attn_stream_k_fixup_generalILi128ELi1ELi2EEvPfPK15HIP_vector_typeIfLj2EEiiiiS1_IjLj3EES5_S5_S5_ ; -- Begin function _ZL33flash_attn_stream_k_fixup_generalILi128ELi1ELi2EEvPfPK15HIP_vector_typeIfLj2EEiiiiS1_IjLj3EES5_S5_S5_
	.p2align	8
	.type	_ZL33flash_attn_stream_k_fixup_generalILi128ELi1ELi2EEvPfPK15HIP_vector_typeIfLj2EEiiiiS1_IjLj3EES5_S5_S5_,@function
_ZL33flash_attn_stream_k_fixup_generalILi128ELi1ELi2EEvPfPK15HIP_vector_typeIfLj2EEiiiiS1_IjLj3EES5_S5_S5_: ; @_ZL33flash_attn_stream_k_fixup_generalILi128ELi1ELi2EEvPfPK15HIP_vector_typeIfLj2EEiiiiS1_IjLj3EES5_S5_S5_
; %bb.0:
	s_clause 0x1
	s_load_b128 s[4:7], s[0:1], 0x10
	s_load_b32 s16, s[0:1], 0x50
	s_bfe_u32 s2, ttmp6, 0x4000c
	s_and_b32 s3, ttmp6, 15
	s_add_co_i32 s2, s2, 1
	s_getreg_b32 s15, hwreg(HW_REG_IB_STS2, 6, 4)
	s_mul_i32 s2, ttmp9, s2
	s_mov_b32 s17, 0
	s_add_co_i32 s3, s3, s2
	s_cmp_eq_u32 s15, 0
	s_cselect_b32 s2, ttmp9, s3
	s_delay_alu instid0(SALU_CYCLE_1) | instskip(SKIP_3) | instid1(SALU_CYCLE_1)
	s_ashr_i32 s3, s2, 31
	s_wait_kmcnt 0x0
	s_ashr_i32 s19, s7, 31
	s_mov_b32 s18, s7
	s_mul_u64 s[8:9], s[18:19], s[2:3]
	s_delay_alu instid0(SALU_CYCLE_1) | instskip(NEXT) | instid1(SALU_CYCLE_1)
	s_and_b64 s[10:11], s[8:9], 0xffffffff00000000
	s_cmp_lg_u64 s[10:11], 0
	s_cbranch_scc0 .LBB51_21
; %bb.1:
	s_add_nc_u64 s[10:11], s[16:17], 0
	s_mov_b32 s23, s17
	s_xor_b64 s[10:11], s[10:11], 0
	s_mov_b32 s27, s17
	s_cvt_f32_u32 s3, s10
	s_cvt_f32_u32 s7, s11
	s_sub_nc_u64 s[20:21], 0, s[10:11]
	s_delay_alu instid0(SALU_CYCLE_2) | instskip(NEXT) | instid1(SALU_CYCLE_3)
	s_fmamk_f32 s3, s7, 0x4f800000, s3
	v_s_rcp_f32 s3, s3
	s_delay_alu instid0(TRANS32_DEP_1) | instskip(NEXT) | instid1(SALU_CYCLE_3)
	s_mul_f32 s3, s3, 0x5f7ffffc
	s_mul_f32 s7, s3, 0x2f800000
	s_delay_alu instid0(SALU_CYCLE_3) | instskip(NEXT) | instid1(SALU_CYCLE_3)
	s_trunc_f32 s7, s7
	s_fmamk_f32 s3, s7, 0xcf800000, s3
	s_cvt_u32_f32 s13, s7
	s_delay_alu instid0(SALU_CYCLE_2) | instskip(NEXT) | instid1(SALU_CYCLE_3)
	s_cvt_u32_f32 s12, s3
	s_mul_u64 s[24:25], s[20:21], s[12:13]
	s_delay_alu instid0(SALU_CYCLE_1)
	s_mul_hi_u32 s29, s12, s25
	s_mul_i32 s28, s12, s25
	s_mul_hi_u32 s22, s12, s24
	s_mul_i32 s7, s13, s24
	s_add_nc_u64 s[22:23], s[22:23], s[28:29]
	s_mul_hi_u32 s3, s13, s24
	s_mul_hi_u32 s14, s13, s25
	s_add_co_u32 s7, s22, s7
	s_add_co_ci_u32 s26, s23, s3
	s_mul_i32 s24, s13, s25
	s_add_co_ci_u32 s25, s14, 0
	s_delay_alu instid0(SALU_CYCLE_1) | instskip(SKIP_3) | instid1(SALU_CYCLE_1)
	s_add_nc_u64 s[22:23], s[26:27], s[24:25]
	s_mov_b32 s25, s17
	s_add_co_u32 s12, s12, s22
	s_cselect_b32 s3, -1, 0
	s_cmp_lg_u32 s3, 0
	s_add_co_ci_u32 s13, s13, s23
	s_mov_b32 s23, s17
	s_mul_u64 s[20:21], s[20:21], s[12:13]
	s_delay_alu instid0(SALU_CYCLE_1)
	s_mul_hi_u32 s27, s12, s21
	s_mul_i32 s26, s12, s21
	s_mul_hi_u32 s22, s12, s20
	s_mul_i32 s7, s13, s20
	s_add_nc_u64 s[22:23], s[22:23], s[26:27]
	s_mul_hi_u32 s3, s13, s20
	s_mul_hi_u32 s14, s13, s21
	s_add_co_u32 s7, s22, s7
	s_add_co_ci_u32 s24, s23, s3
	s_mul_i32 s20, s13, s21
	s_add_co_ci_u32 s21, s14, 0
	s_mov_b32 s23, s17
	s_add_nc_u64 s[20:21], s[24:25], s[20:21]
	s_delay_alu instid0(SALU_CYCLE_1) | instskip(SKIP_1) | instid1(SALU_CYCLE_1)
	s_add_co_u32 s3, s12, s20
	s_cselect_b32 s7, -1, 0
	s_cmp_lg_u32 s7, 0
	s_add_co_ci_u32 s7, s13, s21
	s_ashr_i32 s12, s9, 31
	s_delay_alu instid0(SALU_CYCLE_1) | instskip(NEXT) | instid1(SALU_CYCLE_1)
	s_mov_b32 s13, s12
	s_add_nc_u64 s[20:21], s[8:9], s[12:13]
	s_delay_alu instid0(SALU_CYCLE_1) | instskip(NEXT) | instid1(SALU_CYCLE_1)
	s_xor_b64 s[20:21], s[20:21], s[12:13]
	s_mul_hi_u32 s27, s20, s7
	s_mul_i32 s26, s20, s7
	s_mul_hi_u32 s22, s20, s3
	s_mul_hi_u32 s14, s21, s3
	s_mul_i32 s3, s21, s3
	s_add_nc_u64 s[22:23], s[22:23], s[26:27]
	s_mul_hi_u32 s9, s21, s7
	s_add_co_u32 s3, s22, s3
	s_add_co_ci_u32 s24, s23, s14
	s_mul_i32 s26, s21, s7
	s_add_co_ci_u32 s27, s9, 0
	s_delay_alu instid0(SALU_CYCLE_1) | instskip(NEXT) | instid1(SALU_CYCLE_1)
	s_add_nc_u64 s[22:23], s[24:25], s[26:27]
	s_and_b64 s[24:25], s[22:23], 0xffffffff00000000
	s_delay_alu instid0(SALU_CYCLE_1) | instskip(NEXT) | instid1(SALU_CYCLE_1)
	s_or_b32 s24, s24, s22
	s_mul_u64 s[22:23], s[10:11], s[24:25]
	s_add_nc_u64 s[26:27], s[24:25], 1
	s_sub_co_u32 s3, s20, s22
	s_cselect_b32 s7, -1, 0
	s_sub_co_i32 s9, s21, s23
	s_cmp_lg_u32 s7, 0
	s_add_nc_u64 s[28:29], s[24:25], 2
	s_sub_co_ci_u32 s9, s9, s11
	s_sub_co_u32 s14, s3, s10
	s_cselect_b32 s20, -1, 0
	s_delay_alu instid0(SALU_CYCLE_1) | instskip(SKIP_1) | instid1(SALU_CYCLE_1)
	s_cmp_lg_u32 s20, 0
	s_sub_co_ci_u32 s9, s9, 0
	s_cmp_ge_u32 s9, s11
	s_cselect_b32 s20, -1, 0
	s_cmp_ge_u32 s14, s10
	s_cselect_b32 s14, -1, 0
	s_cmp_eq_u32 s9, s11
	s_cselect_b32 s9, s14, s20
	s_delay_alu instid0(SALU_CYCLE_1) | instskip(SKIP_4) | instid1(SALU_CYCLE_1)
	s_cmp_lg_u32 s9, 0
	s_cselect_b32 s9, s28, s26
	s_cselect_b32 s14, s29, s27
	s_cmp_lg_u32 s7, 0
	s_sub_co_ci_u32 s7, s21, s23
	s_cmp_ge_u32 s7, s11
	s_cselect_b32 s20, -1, 0
	s_cmp_ge_u32 s3, s10
	s_cselect_b32 s3, -1, 0
	s_cmp_eq_u32 s7, s11
	s_cselect_b32 s3, s3, s20
	s_delay_alu instid0(SALU_CYCLE_1) | instskip(SKIP_4) | instid1(SALU_CYCLE_1)
	s_cmp_lg_u32 s3, 0
	s_mov_b32 s3, s17
	s_cselect_b32 s11, s14, s25
	s_cselect_b32 s10, s9, s24
	s_xor_b64 s[12:13], s[12:13], 0
	s_xor_b64 s[10:11], s[10:11], s[12:13]
	s_delay_alu instid0(SALU_CYCLE_1)
	s_sub_nc_u64 s[20:21], s[10:11], s[12:13]
	s_and_not1_b32 vcc_lo, exec_lo, s3
	s_cbranch_vccnz .LBB51_3
.LBB51_2:
	v_cvt_f32_u32_e32 v1, s16
	s_sub_co_i32 s7, 0, s16
	s_mov_b32 s21, 0
	s_delay_alu instid0(VALU_DEP_1) | instskip(SKIP_1) | instid1(TRANS32_DEP_1)
	v_rcp_iflag_f32_e32 v1, v1
	v_nop
	v_mul_f32_e32 v1, 0x4f7ffffe, v1
	s_delay_alu instid0(VALU_DEP_1) | instskip(NEXT) | instid1(VALU_DEP_1)
	v_cvt_u32_f32_e32 v1, v1
	v_readfirstlane_b32 s3, v1
	s_mul_i32 s7, s7, s3
	s_delay_alu instid0(SALU_CYCLE_1) | instskip(NEXT) | instid1(SALU_CYCLE_1)
	s_mul_hi_u32 s7, s3, s7
	s_add_co_i32 s3, s3, s7
	s_delay_alu instid0(SALU_CYCLE_1) | instskip(NEXT) | instid1(SALU_CYCLE_1)
	s_mul_hi_u32 s3, s8, s3
	s_mul_i32 s7, s3, s16
	s_delay_alu instid0(SALU_CYCLE_1)
	s_sub_co_i32 s7, s8, s7
	s_add_co_i32 s8, s3, 1
	s_sub_co_i32 s9, s7, s16
	s_cmp_ge_u32 s7, s16
	s_cselect_b32 s3, s8, s3
	s_cselect_b32 s7, s9, s7
	s_add_co_i32 s8, s3, 1
	s_cmp_ge_u32 s7, s16
	s_cselect_b32 s20, s8, s3
.LBB51_3:
	s_add_co_i32 s8, s2, 1
	s_delay_alu instid0(SALU_CYCLE_1) | instskip(NEXT) | instid1(SALU_CYCLE_1)
	s_ashr_i32 s9, s8, 31
	s_mul_u64 s[8:9], s[18:19], s[8:9]
	s_delay_alu instid0(SALU_CYCLE_1) | instskip(NEXT) | instid1(SALU_CYCLE_1)
	s_and_b64 s[10:11], s[8:9], 0xffffffff00000000
	s_cmp_lg_u64 s[10:11], 0
	s_cbranch_scc0 .LBB51_22
; %bb.4:
	s_add_nc_u64 s[10:11], s[16:17], 0
	s_delay_alu instid0(SALU_CYCLE_1) | instskip(SKIP_4) | instid1(SALU_CYCLE_2)
	s_xor_b64 s[12:13], s[10:11], 0
	s_mov_b32 s11, 0
	s_cvt_f32_u32 s3, s12
	s_cvt_f32_u32 s7, s13
	s_sub_nc_u64 s[24:25], 0, s[12:13]
	s_fmamk_f32 s3, s7, 0x4f800000, s3
	s_delay_alu instid0(SALU_CYCLE_3) | instskip(NEXT) | instid1(TRANS32_DEP_1)
	v_s_rcp_f32 s3, s3
	s_mul_f32 s3, s3, 0x5f7ffffc
	s_delay_alu instid0(SALU_CYCLE_3) | instskip(NEXT) | instid1(SALU_CYCLE_3)
	s_mul_f32 s7, s3, 0x2f800000
	s_trunc_f32 s7, s7
	s_delay_alu instid0(SALU_CYCLE_3) | instskip(SKIP_1) | instid1(SALU_CYCLE_2)
	s_fmamk_f32 s3, s7, 0xcf800000, s3
	s_cvt_u32_f32 s23, s7
	s_cvt_u32_f32 s22, s3
	s_delay_alu instid0(SALU_CYCLE_3) | instskip(NEXT) | instid1(SALU_CYCLE_1)
	s_mul_u64 s[26:27], s[24:25], s[22:23]
	s_mul_hi_u32 s29, s22, s27
	s_mul_i32 s28, s22, s27
	s_mul_hi_u32 s10, s22, s26
	s_mul_i32 s7, s23, s26
	s_add_nc_u64 s[28:29], s[10:11], s[28:29]
	s_mul_hi_u32 s3, s23, s26
	s_mul_hi_u32 s14, s23, s27
	s_add_co_u32 s7, s28, s7
	s_add_co_ci_u32 s10, s29, s3
	s_mul_i32 s26, s23, s27
	s_add_co_ci_u32 s27, s14, 0
	s_delay_alu instid0(SALU_CYCLE_1) | instskip(NEXT) | instid1(SALU_CYCLE_1)
	s_add_nc_u64 s[26:27], s[10:11], s[26:27]
	s_add_co_u32 s22, s22, s26
	s_cselect_b32 s3, -1, 0
	s_delay_alu instid0(SALU_CYCLE_1) | instskip(SKIP_1) | instid1(SALU_CYCLE_1)
	s_cmp_lg_u32 s3, 0
	s_add_co_ci_u32 s23, s23, s27
	s_mul_u64 s[24:25], s[24:25], s[22:23]
	s_delay_alu instid0(SALU_CYCLE_1)
	s_mul_hi_u32 s27, s22, s25
	s_mul_i32 s26, s22, s25
	s_mul_hi_u32 s10, s22, s24
	s_mul_i32 s7, s23, s24
	s_add_nc_u64 s[26:27], s[10:11], s[26:27]
	s_mul_hi_u32 s3, s23, s24
	s_mul_hi_u32 s14, s23, s25
	s_add_co_u32 s7, s26, s7
	s_add_co_ci_u32 s10, s27, s3
	s_mul_i32 s24, s23, s25
	s_add_co_ci_u32 s25, s14, 0
	s_delay_alu instid0(SALU_CYCLE_1) | instskip(NEXT) | instid1(SALU_CYCLE_1)
	s_add_nc_u64 s[24:25], s[10:11], s[24:25]
	s_add_co_u32 s3, s22, s24
	s_cselect_b32 s7, -1, 0
	s_delay_alu instid0(SALU_CYCLE_1) | instskip(SKIP_2) | instid1(SALU_CYCLE_1)
	s_cmp_lg_u32 s7, 0
	s_add_co_ci_u32 s7, s23, s25
	s_ashr_i32 s22, s9, 31
	s_mov_b32 s23, s22
	s_delay_alu instid0(SALU_CYCLE_1) | instskip(NEXT) | instid1(SALU_CYCLE_1)
	s_add_nc_u64 s[24:25], s[8:9], s[22:23]
	s_xor_b64 s[24:25], s[24:25], s[22:23]
	s_delay_alu instid0(SALU_CYCLE_1)
	s_mul_hi_u32 s27, s24, s7
	s_mul_i32 s26, s24, s7
	s_mul_hi_u32 s10, s24, s3
	s_mul_hi_u32 s14, s25, s3
	s_mul_i32 s3, s25, s3
	s_add_nc_u64 s[26:27], s[10:11], s[26:27]
	s_mul_hi_u32 s9, s25, s7
	s_add_co_u32 s3, s26, s3
	s_add_co_ci_u32 s10, s27, s14
	s_mul_i32 s28, s25, s7
	s_add_co_ci_u32 s29, s9, 0
	s_delay_alu instid0(SALU_CYCLE_1) | instskip(NEXT) | instid1(SALU_CYCLE_1)
	s_add_nc_u64 s[26:27], s[10:11], s[28:29]
	s_and_b64 s[28:29], s[26:27], 0xffffffff00000000
	s_delay_alu instid0(SALU_CYCLE_1) | instskip(NEXT) | instid1(SALU_CYCLE_1)
	s_or_b32 s28, s28, s26
	s_mul_u64 s[26:27], s[12:13], s[28:29]
	s_add_nc_u64 s[30:31], s[28:29], 1
	s_sub_co_u32 s3, s24, s26
	s_cselect_b32 s7, -1, 0
	s_sub_co_i32 s9, s25, s27
	s_cmp_lg_u32 s7, 0
	s_add_nc_u64 s[34:35], s[28:29], 2
	s_sub_co_ci_u32 s9, s9, s13
	s_sub_co_u32 s10, s3, s12
	s_cselect_b32 s14, -1, 0
	s_delay_alu instid0(SALU_CYCLE_1) | instskip(SKIP_1) | instid1(SALU_CYCLE_1)
	s_cmp_lg_u32 s14, 0
	s_sub_co_ci_u32 s9, s9, 0
	s_cmp_ge_u32 s9, s13
	s_cselect_b32 s14, -1, 0
	s_cmp_ge_u32 s10, s12
	s_cselect_b32 s10, -1, 0
	s_cmp_eq_u32 s9, s13
	s_cselect_b32 s9, s10, s14
	s_delay_alu instid0(SALU_CYCLE_1) | instskip(SKIP_4) | instid1(SALU_CYCLE_1)
	s_cmp_lg_u32 s9, 0
	s_cselect_b32 s9, s34, s30
	s_cselect_b32 s10, s35, s31
	s_cmp_lg_u32 s7, 0
	s_sub_co_ci_u32 s7, s25, s27
	s_cmp_ge_u32 s7, s13
	s_cselect_b32 s14, -1, 0
	s_cmp_ge_u32 s3, s12
	s_cselect_b32 s3, -1, 0
	s_cmp_eq_u32 s7, s13
	s_cselect_b32 s3, s3, s14
	s_delay_alu instid0(SALU_CYCLE_1) | instskip(SKIP_3) | instid1(SALU_CYCLE_1)
	s_cmp_lg_u32 s3, 0
	s_cselect_b32 s13, s10, s29
	s_cselect_b32 s12, s9, s28
	s_xor_b64 s[22:23], s[22:23], 0
	s_xor_b64 s[12:13], s[12:13], s[22:23]
	s_delay_alu instid0(SALU_CYCLE_1)
	s_sub_nc_u64 s[24:25], s[12:13], s[22:23]
	s_load_b96 s[12:14], s[0:1], 0x44
	s_cbranch_execnz .LBB51_6
.LBB51_5:
	v_cvt_f32_u32_e32 v1, s16
	s_sub_co_i32 s7, 0, s16
	s_delay_alu instid0(VALU_DEP_1) | instskip(SKIP_1) | instid1(TRANS32_DEP_1)
	v_rcp_iflag_f32_e32 v1, v1
	v_nop
	v_mul_f32_e32 v1, 0x4f7ffffe, v1
	s_delay_alu instid0(VALU_DEP_1) | instskip(NEXT) | instid1(VALU_DEP_1)
	v_cvt_u32_f32_e32 v1, v1
	v_readfirstlane_b32 s3, v1
	s_mul_i32 s7, s7, s3
	s_delay_alu instid0(SALU_CYCLE_1) | instskip(NEXT) | instid1(SALU_CYCLE_1)
	s_mul_hi_u32 s7, s3, s7
	s_add_co_i32 s3, s3, s7
	s_delay_alu instid0(SALU_CYCLE_1) | instskip(NEXT) | instid1(SALU_CYCLE_1)
	s_mul_hi_u32 s3, s8, s3
	s_mul_i32 s7, s3, s16
	s_delay_alu instid0(SALU_CYCLE_1)
	s_sub_co_i32 s7, s8, s7
	s_add_co_i32 s8, s3, 1
	s_sub_co_i32 s9, s7, s16
	s_cmp_ge_u32 s7, s16
	s_cselect_b32 s3, s8, s3
	s_cselect_b32 s7, s9, s7
	s_add_co_i32 s8, s3, 1
	s_cmp_ge_u32 s7, s16
	s_cselect_b32 s24, s8, s3
.LBB51_6:
	s_delay_alu instid0(SALU_CYCLE_1)
	s_cmp_eq_u32 s20, s24
	s_mov_b64 s[8:9], 0xffffffff
	s_cselect_b32 s3, -1, 0
	s_and_b64 s[8:9], s[20:21], s[8:9]
	s_mov_b32 s23, 0
	s_wait_kmcnt 0x0
	s_mov_b32 s22, s12
	s_mov_b32 s25, s23
	s_mul_u64 s[10:11], s[8:9], s[22:23]
	s_delay_alu instid0(SALU_CYCLE_1) | instskip(SKIP_2) | instid1(SALU_CYCLE_1)
	s_add_co_i32 s7, s11, s20
	s_mul_u64 s[10:11], s[24:25], s[22:23]
	s_lshr_b32 s12, s7, s13
	s_mul_i32 s7, s12, s14
	s_delay_alu instid0(SALU_CYCLE_1) | instskip(SKIP_2) | instid1(SALU_CYCLE_1)
	s_cmp_eq_u32 s7, s20
	s_cselect_b32 s7, -1, 0
	s_add_co_i32 s10, s11, s24
	s_lshr_b32 s10, s10, s13
	s_delay_alu instid0(SALU_CYCLE_1)
	s_cmp_eq_u32 s12, s10
	s_mul_i32 s10, s10, s14
	s_cselect_b32 s11, -1, 0
	s_cmp_lg_u32 s10, s24
	s_cselect_b32 s10, -1, 0
	s_or_b32 s3, s3, s7
	s_and_b32 s10, s11, s10
	s_delay_alu instid0(SALU_CYCLE_1) | instskip(NEXT) | instid1(SALU_CYCLE_1)
	s_or_b32 s3, s3, s10
	s_and_b32 vcc_lo, exec_lo, s3
	s_cbranch_vccnz .LBB51_24
; %bb.7:
	s_load_b256 s[24:31], s[0:1], 0x20
	s_bfe_u32 s7, ttmp6, 0x40014
	s_bfe_u32 s33, ttmp6, 0x40010
	s_lshr_b32 s3, ttmp7, 16
	s_add_co_i32 s7, s7, 1
	s_and_b32 s21, ttmp7, 0xffff
	s_add_co_i32 s33, s33, 1
	s_bfe_u32 s10, ttmp6, 0x40008
	s_mul_i32 s7, s3, s7
	s_bfe_u32 s34, ttmp6, 0x40004
	s_mul_i32 s33, s21, s33
	s_mov_b32 s11, s23
	s_add_co_i32 s7, s10, s7
	s_add_co_i32 s34, s34, s33
	s_cmp_eq_u32 s15, 0
	s_cselect_b32 s15, s21, s34
	s_cselect_b32 s21, s3, s7
	s_wait_kmcnt 0x0
	s_mov_b32 s10, s24
	s_delay_alu instid0(SALU_CYCLE_1) | instskip(SKIP_2) | instid1(SALU_CYCLE_1)
	s_mul_u64 s[8:9], s[8:9], s[10:11]
	s_load_b32 s8, s[0:1], 0x40
	s_add_co_i32 s3, s9, s20
	s_lshr_b32 s3, s3, s25
	s_delay_alu instid0(SALU_CYCLE_1) | instskip(NEXT) | instid1(SALU_CYCLE_1)
	s_mul_i32 s7, s3, s26
	s_sub_co_i32 s9, s20, s7
	s_delay_alu instid0(SALU_CYCLE_1) | instskip(NEXT) | instid1(SALU_CYCLE_1)
	s_mul_hi_u32 s7, s9, s27
	s_add_co_i32 s7, s9, s7
	s_delay_alu instid0(SALU_CYCLE_1) | instskip(NEXT) | instid1(SALU_CYCLE_1)
	s_lshr_b32 s7, s7, s28
	s_mul_i32 s10, s7, s29
	s_delay_alu instid0(SALU_CYCLE_1) | instskip(NEXT) | instid1(SALU_CYCLE_1)
	s_sub_co_i32 s10, s9, s10
	s_mul_hi_u32 s9, s10, s30
	s_delay_alu instid0(SALU_CYCLE_1) | instskip(NEXT) | instid1(SALU_CYCLE_1)
	s_add_co_i32 s9, s10, s9
	s_lshr_b32 s25, s9, s31
	s_mov_b32 s9, s23
	s_wait_kmcnt 0x0
	s_mul_i32 s8, s25, s8
	s_lshl_b32 s25, s25, 1
	s_sub_co_i32 s8, s10, s8
	s_delay_alu instid0(SALU_CYCLE_1) | instskip(NEXT) | instid1(SALU_CYCLE_1)
	s_mul_u64 s[10:11], s[8:9], s[22:23]
	s_add_co_i32 s8, s8, s11
	s_delay_alu instid0(SALU_CYCLE_1) | instskip(NEXT) | instid1(SALU_CYCLE_1)
	s_lshr_b32 s24, s8, s13
	s_add_co_i32 s24, s24, s15
	s_delay_alu instid0(SALU_CYCLE_1) | instskip(SKIP_2) | instid1(SALU_CYCLE_1)
	s_cmp_lt_i32 s24, s4
	s_cselect_b32 s8, -1, 0
	s_add_co_i32 s25, s25, s21
	s_cmp_lt_i32 s25, s6
	s_cselect_b32 s9, -1, 0
	s_delay_alu instid0(SALU_CYCLE_1) | instskip(NEXT) | instid1(SALU_CYCLE_1)
	s_and_b32 s8, s8, s9
	s_and_not1_b32 vcc_lo, exec_lo, s8
	s_cbranch_vccnz .LBB51_24
; %bb.8:
	s_load_b128 s[8:11], s[0:1], 0x0
	s_mul_i32 s3, s3, s4
	s_mul_i32 s7, s7, s6
	s_wait_xcnt 0x0
	s_add_co_i32 s0, s24, s3
	s_add_co_i32 s1, s25, s7
	s_mul_i32 s0, s0, s5
	s_add_co_i32 s3, s15, s2
	s_add_co_i32 s1, s1, s0
	v_cvt_f32_u32_e32 v4, s16
	v_lshl_or_b32 v2, s1, 7, v0
	s_add_nc_u64 s[0:1], s[16:17], 0
	s_lshl_b32 s24, s16, 3
	s_xor_b64 s[6:7], s[0:1], 0
	s_lshl_b32 s0, s3, 1
	s_cvt_f32_u32 s3, s6
	s_cvt_f32_u32 s4, s7
	s_add_co_i32 s0, s0, s21
	v_rcp_iflag_f32_e32 v4, v4
	s_ashr_i32 s1, s0, 31
	s_fmamk_f32 s3, s4, 0x4f800000, s3
	s_wait_kmcnt 0x0
	global_load_b32 v1, v2, s[8:9] scale_offset
	s_lshl_b64 s[0:1], s[0:1], 3
	s_mov_b32 s25, 0
	v_s_rcp_f32 s3, s3
	s_add_nc_u64 s[0:1], s[10:11], s[0:1]
	v_dual_mul_f32 v4, 0x4f7ffffe, v4 :: v_dual_ashrrev_i32 v3, 31, v2
	s_load_b64 s[28:29], s[0:1], 0x0
	s_wait_xcnt 0x0
	s_lshl_b64 s[0:1], s[24:25], 2
	v_lshl_or_b32 v6, s21, 7, v0
	s_add_nc_u64 s[26:27], s[10:11], s[0:1]
	s_mul_f32 s3, s3, 0x5f7ffffc
	v_lshl_add_u64 v[2:3], v[2:3], 2, s[8:9]
	v_cvt_u32_f32_e32 v7, v4
	s_mov_b64 s[8:9], 0xffffffff
	s_mul_f32 s4, s3, 0x2f800000
	s_add_co_i32 s36, s2, -1
	s_sub_nc_u64 s[34:35], 0, s[6:7]
	s_delay_alu instid0(SALU_CYCLE_1) | instskip(NEXT) | instid1(SALU_CYCLE_3)
	s_trunc_f32 s4, s4
	s_fmamk_f32 s0, s4, 0xcf800000, s3
	s_cvt_u32_f32 s31, s4
	s_wait_kmcnt 0x0
	v_mov_b32_e32 v0, s29
	s_cvt_u32_f32 s30, s0
.LBB51_9:                               ; =>This Inner Loop Header: Depth=1
	s_ashr_i32 s37, s36, 31
                                        ; implicit-def: $sgpr40_sgpr41
	s_delay_alu instid0(SALU_CYCLE_1) | instskip(NEXT) | instid1(SALU_CYCLE_1)
	s_mul_u64 s[0:1], s[36:37], s[18:19]
	s_and_b64 s[2:3], s[0:1], 0xffffffff00000000
	s_delay_alu instid0(SALU_CYCLE_1)
	s_cmp_lg_u64 s[2:3], 0
	s_mov_b32 s2, -1
	s_cbranch_scc0 .LBB51_11
; %bb.10:                               ;   in Loop: Header=BB51_9 Depth=1
	s_mul_u64 s[2:3], s[34:35], s[30:31]
	s_delay_alu instid0(SALU_CYCLE_1)
	s_mul_hi_u32 s5, s30, s3
	s_mul_i32 s4, s30, s3
	s_mul_hi_u32 s24, s30, s2
	s_mul_hi_u32 s17, s31, s2
	s_add_nc_u64 s[4:5], s[24:25], s[4:5]
	s_mul_i32 s2, s31, s2
	s_mul_hi_u32 s29, s31, s3
	s_add_co_u32 s2, s4, s2
	s_add_co_ci_u32 s24, s5, s17
	s_add_co_ci_u32 s5, s29, 0
	s_mul_i32 s4, s31, s3
	s_delay_alu instid0(SALU_CYCLE_1) | instskip(NEXT) | instid1(SALU_CYCLE_1)
	s_add_nc_u64 s[2:3], s[24:25], s[4:5]
	s_add_co_u32 s2, s30, s2
	s_cselect_b32 s4, -1, 0
	s_delay_alu instid0(SALU_CYCLE_1) | instskip(SKIP_1) | instid1(SALU_CYCLE_1)
	s_cmp_lg_u32 s4, 0
	s_add_co_ci_u32 s3, s31, s3
	s_mul_u64 s[4:5], s[34:35], s[2:3]
	s_delay_alu instid0(SALU_CYCLE_1)
	s_mul_hi_u32 s39, s2, s5
	s_mul_i32 s38, s2, s5
	s_mul_hi_u32 s24, s2, s4
	s_mul_hi_u32 s17, s3, s4
	s_mul_i32 s4, s3, s4
	s_add_nc_u64 s[38:39], s[24:25], s[38:39]
	s_mul_hi_u32 s29, s3, s5
	s_add_co_u32 s4, s38, s4
	s_add_co_ci_u32 s24, s39, s17
	s_mul_i32 s4, s3, s5
	s_add_co_ci_u32 s5, s29, 0
	s_delay_alu instid0(SALU_CYCLE_1) | instskip(NEXT) | instid1(SALU_CYCLE_1)
	s_add_nc_u64 s[4:5], s[24:25], s[4:5]
	s_add_co_u32 s17, s2, s4
	s_cselect_b32 s2, -1, 0
	s_delay_alu instid0(SALU_CYCLE_1) | instskip(SKIP_2) | instid1(SALU_CYCLE_1)
	s_cmp_lg_u32 s2, 0
	s_add_co_ci_u32 s29, s3, s5
	s_ashr_i32 s2, s1, 31
	s_mov_b32 s3, s2
	s_delay_alu instid0(SALU_CYCLE_1) | instskip(NEXT) | instid1(SALU_CYCLE_1)
	s_add_nc_u64 s[4:5], s[0:1], s[2:3]
	s_xor_b64 s[4:5], s[4:5], s[2:3]
	s_delay_alu instid0(SALU_CYCLE_1)
	s_mul_hi_u32 s39, s4, s29
	s_mul_i32 s38, s4, s29
	s_mul_hi_u32 s24, s4, s17
	s_mul_hi_u32 s33, s5, s17
	s_mul_i32 s17, s5, s17
	s_add_nc_u64 s[38:39], s[24:25], s[38:39]
	s_mul_hi_u32 s1, s5, s29
	s_add_co_u32 s17, s38, s17
	s_add_co_ci_u32 s24, s39, s33
	s_mul_i32 s40, s5, s29
	s_add_co_ci_u32 s41, s1, 0
	s_delay_alu instid0(SALU_CYCLE_1) | instskip(NEXT) | instid1(SALU_CYCLE_1)
	s_add_nc_u64 s[38:39], s[24:25], s[40:41]
	s_and_b64 s[40:41], s[38:39], 0xffffffff00000000
	s_delay_alu instid0(SALU_CYCLE_1) | instskip(NEXT) | instid1(SALU_CYCLE_1)
	s_or_b32 s40, s40, s38
	s_mul_u64 s[38:39], s[6:7], s[40:41]
	s_add_nc_u64 s[42:43], s[40:41], 1
	s_sub_co_u32 s1, s4, s38
	s_cselect_b32 s4, -1, 0
	s_sub_co_i32 s17, s5, s39
	s_cmp_lg_u32 s4, 0
	s_add_nc_u64 s[44:45], s[40:41], 2
	s_sub_co_ci_u32 s17, s17, s7
	s_sub_co_u32 s24, s1, s6
	s_cselect_b32 s29, -1, 0
	s_delay_alu instid0(SALU_CYCLE_1) | instskip(SKIP_1) | instid1(SALU_CYCLE_1)
	s_cmp_lg_u32 s29, 0
	s_sub_co_ci_u32 s17, s17, 0
	s_cmp_ge_u32 s17, s7
	s_cselect_b32 s29, -1, 0
	s_cmp_ge_u32 s24, s6
	s_cselect_b32 s24, -1, 0
	s_cmp_eq_u32 s17, s7
	s_cselect_b32 s17, s24, s29
	s_delay_alu instid0(SALU_CYCLE_1) | instskip(SKIP_4) | instid1(SALU_CYCLE_1)
	s_cmp_lg_u32 s17, 0
	s_cselect_b32 s17, s44, s42
	s_cselect_b32 s24, s45, s43
	s_cmp_lg_u32 s4, 0
	s_sub_co_ci_u32 s4, s5, s39
	s_cmp_ge_u32 s4, s7
	s_cselect_b32 s5, -1, 0
	s_cmp_ge_u32 s1, s6
	s_cselect_b32 s1, -1, 0
	s_cmp_eq_u32 s4, s7
	s_cselect_b32 s1, s1, s5
	s_delay_alu instid0(SALU_CYCLE_1) | instskip(SKIP_3) | instid1(SALU_CYCLE_1)
	s_cmp_lg_u32 s1, 0
	s_cselect_b32 s5, s24, s41
	s_cselect_b32 s4, s17, s40
	s_xor_b64 s[2:3], s[2:3], 0
	s_xor_b64 s[4:5], s[4:5], s[2:3]
	s_delay_alu instid0(SALU_CYCLE_1)
	s_sub_nc_u64 s[40:41], s[4:5], s[2:3]
	s_mov_b32 s2, 0
.LBB51_11:                              ;   in Loop: Header=BB51_9 Depth=1
	s_delay_alu instid0(SALU_CYCLE_1)
	s_and_not1_b32 vcc_lo, exec_lo, s2
	s_cbranch_vccnz .LBB51_13
; %bb.12:                               ;   in Loop: Header=BB51_9 Depth=1
	v_readfirstlane_b32 s1, v7
	s_sub_co_i32 s2, 0, s16
	s_delay_alu instid0(SALU_CYCLE_1) | instskip(NEXT) | instid1(SALU_CYCLE_1)
	s_mul_i32 s2, s2, s1
	s_mul_hi_u32 s2, s1, s2
	s_delay_alu instid0(SALU_CYCLE_1) | instskip(NEXT) | instid1(SALU_CYCLE_1)
	s_add_co_i32 s1, s1, s2
	s_mul_hi_u32 s1, s0, s1
	s_delay_alu instid0(SALU_CYCLE_1) | instskip(NEXT) | instid1(SALU_CYCLE_1)
	s_mul_i32 s2, s1, s16
	s_sub_co_i32 s0, s0, s2
	s_add_co_i32 s2, s1, 1
	s_sub_co_i32 s3, s0, s16
	s_cmp_ge_u32 s0, s16
	s_cselect_b32 s1, s2, s1
	s_cselect_b32 s0, s3, s0
	s_add_co_i32 s2, s1, 1
	s_cmp_ge_u32 s0, s16
	s_cselect_b32 s24, s2, s1
	s_delay_alu instid0(SALU_CYCLE_1)
	s_mov_b64 s[40:41], s[24:25]
.LBB51_13:                              ;   in Loop: Header=BB51_9 Depth=1
	s_delay_alu instid0(SALU_CYCLE_1)
	s_cmp_lg_u32 s20, s40
	s_mov_b32 s0, -1
                                        ; implicit-def: $vgpr4_vgpr5
                                        ; implicit-def: $sgpr29
                                        ; implicit-def: $sgpr17
                                        ; implicit-def: $sgpr24
                                        ; implicit-def: $sgpr33
	s_cbranch_scc0 .LBB51_18
; %bb.14:                               ;   in Loop: Header=BB51_9 Depth=1
	s_add_co_i32 s42, s36, s15
	v_max_num_f32_e64 v4, s28, s28
	s_add_co_i32 s0, s42, s16
	s_mov_b32 s33, s20
	s_lshl_b32 s0, s0, 1
	s_delay_alu instid0(SALU_CYCLE_1)
	s_add_co_i32 s0, s0, s21
	s_load_b64 s[38:39], s[10:11], s0 offset:0x0 scale_offset
	s_wait_xcnt 0x0
	v_readfirstlane_b32 s0, v4
	s_wait_kmcnt 0x0
	v_max_num_f32_e64 v5, s38, s38
	s_delay_alu instid0(VALU_DEP_1) | instskip(SKIP_1) | instid1(SALU_CYCLE_3)
	v_readfirstlane_b32 s1, v5
	s_max_num_f32 s17, s0, s1
	s_sub_f32 s37, s28, s17
	s_sub_f32 s38, s38, s17
	s_delay_alu instid0(SALU_CYCLE_2)
	s_cmp_nlt_f32 s37, 0xc2ce8ed0
	s_cselect_b32 s1, -1, 0
	s_cmp_ngt_f32 s37, 0x42b17218
	s_cselect_b32 s2, -1, 0
	s_cmp_ge_f32 s37, 0xc1a00000
	s_cselect_b32 s0, -1, 0
	s_cmp_nlt_f32 s38, 0xc2ce8ed0
	s_cselect_b32 s3, -1, 0
	s_cmp_ngt_f32 s38, 0x42b17218
	s_cselect_b32 s4, -1, 0
	s_cmp_ge_f32 s38, 0xc1a00000
	s_cselect_b32 s5, -1, 0
	s_and_b64 s[44:45], s[40:41], s[8:9]
	s_delay_alu instid0(SALU_CYCLE_1) | instskip(NEXT) | instid1(SALU_CYCLE_1)
	s_mul_u64 s[44:45], s[44:45], s[22:23]
	s_add_co_i32 s24, s45, s40
	s_delay_alu instid0(SALU_CYCLE_1) | instskip(NEXT) | instid1(SALU_CYCLE_1)
	s_lshr_b32 s24, s24, s13
	s_mul_i32 s29, s24, s14
	s_delay_alu instid0(SALU_CYCLE_1) | instskip(SKIP_3) | instid1(SALU_CYCLE_1)
	s_cmp_eq_u32 s29, s40
	s_cselect_b32 s29, -1, 0
	s_cmp_lt_u32 s24, s12
	s_cselect_b32 s24, -1, 0
	s_or_b32 s24, s24, s29
	s_mov_b32 s29, -1
	s_and_b32 vcc_lo, exec_lo, s24
	s_mov_b32 s24, s36
	s_cbranch_vccnz .LBB51_16
; %bb.15:                               ;   in Loop: Header=BB51_9 Depth=1
	s_add_co_i32 s24, s36, -1
	s_mov_b32 s29, 0
	s_mov_b32 s33, s40
.LBB51_16:                              ;   in Loop: Header=BB51_9 Depth=1
	v_lshl_add_u32 v4, s42, 8, v6
	s_mul_f32 s41, s37, 0x3fb8aa3b
	s_mul_f32 s40, s38, 0x3fb8aa3b
	s_delay_alu instid0(SALU_CYCLE_2)
	s_xor_b32 s43, s41, 0x80000000
	global_load_b32 v5, v4, s[26:27] scale_offset
	s_fmamk_f32 s43, s37, 0x3fb8aa3b, s43
	s_rndne_f32 s45, s41
	s_xor_b32 s42, s40, 0x80000000
	s_rndne_f32 s44, s40
	s_fmamk_f32 s37, s37, 0x32a5705f, s43
	s_sub_f32 s41, s41, s45
	s_fmamk_f32 s42, s38, 0x3fb8aa3b, s42
	s_sub_f32 s40, s40, s44
	s_delay_alu instid0(SALU_CYCLE_1) | instskip(NEXT) | instid1(SALU_CYCLE_1)
	s_add_f32 s37, s41, s37
	s_fmamk_f32 s38, s38, 0x32a5705f, s42
	s_cvt_i32_f32 s41, s45
	s_delay_alu instid0(SALU_CYCLE_1) | instskip(NEXT) | instid1(SALU_CYCLE_1)
	v_s_exp_f32 s37, s37
	s_add_f32 s38, s40, s38
	s_cvt_i32_f32 s40, s44
	s_delay_alu instid0(SALU_CYCLE_2) | instskip(NEXT) | instid1(TRANS32_DEP_2)
	v_s_exp_f32 s38, s38
	v_ldexp_f32 v8, s37, s41
	s_wait_xcnt 0x0
	s_delay_alu instid0(TRANS32_DEP_1) | instskip(NEXT) | instid1(VALU_DEP_2)
	v_ldexp_f32 v4, s38, s40
	v_cndmask_b32_e64 v8, 0, v8, s1
	s_delay_alu instid0(VALU_DEP_1) | instskip(NEXT) | instid1(VALU_DEP_1)
	v_cndmask_b32_e64 v9, 0x7f800000, v8, s2
	v_dual_cndmask_b32 v4, 0, v4, s3 :: v_dual_cndmask_b32 v10, 0, v9, s0
	s_delay_alu instid0(VALU_DEP_1) | instskip(NEXT) | instid1(VALU_DEP_1)
	v_cndmask_b32_e64 v4, 0x7f800000, v4, s4
	v_dual_cndmask_b32 v8, 0, v4, s5 :: v_dual_mov_b32 v4, s39
	s_wait_loadcnt 0x0
	s_delay_alu instid0(VALU_DEP_1) | instskip(NEXT) | instid1(VALU_DEP_1)
	v_pk_mul_f32 v[4:5], v[4:5], v[8:9] op_sel_hi:[1,0]
	v_pk_fma_f32 v[4:5], v[0:1], v[10:11], v[4:5] op_sel_hi:[1,0,1]
	s_cbranch_execz .LBB51_19
.LBB51_17:                              ;   in Loop: Header=BB51_9 Depth=1
	s_and_not1_b32 vcc_lo, exec_lo, s29
	s_cbranch_vccnz .LBB51_20
	s_branch .LBB51_23
.LBB51_18:                              ;   in Loop: Header=BB51_9 Depth=1
	s_and_not1_b32 vcc_lo, exec_lo, s0
	s_cbranch_vccnz .LBB51_17
.LBB51_19:                              ;   in Loop: Header=BB51_9 Depth=1
	s_wait_loadcnt 0x0
	v_mov_b64_e32 v[4:5], v[0:1]
	s_add_co_i32 s24, s36, -1
	s_mov_b32 s33, s20
	s_mov_b32 s17, s28
	s_cbranch_execz .LBB51_23
.LBB51_20:                              ;   in Loop: Header=BB51_9 Depth=1
	s_wait_loadcnt 0x0
	s_delay_alu instid0(VALU_DEP_1)
	v_mov_b64_e32 v[0:1], v[4:5]
	s_mov_b32 s20, s33
	s_mov_b32 s36, s24
	;; [unrolled: 1-line block ×3, first 2 shown]
	s_branch .LBB51_9
.LBB51_21:
                                        ; implicit-def: $sgpr20_sgpr21
	s_branch .LBB51_2
.LBB51_22:
                                        ; implicit-def: $sgpr24_sgpr25
	s_load_b96 s[12:14], s[0:1], 0x44
	s_branch .LBB51_5
.LBB51_23:
	s_delay_alu instid0(VALU_DEP_1) | instskip(SKIP_1) | instid1(VALU_DEP_1)
	v_div_scale_f32 v0, null, v4, v4, v5
	s_wait_loadcnt 0x0
	v_rcp_f32_e32 v1, v0
	v_nop
	s_delay_alu instid0(TRANS32_DEP_1) | instskip(NEXT) | instid1(VALU_DEP_1)
	v_fma_f32 v6, -v0, v1, 1.0
	v_fmac_f32_e32 v1, v6, v1
	v_div_scale_f32 v6, vcc_lo, v5, v4, v5
	s_delay_alu instid0(VALU_DEP_1) | instskip(NEXT) | instid1(VALU_DEP_1)
	v_mul_f32_e32 v7, v6, v1
	v_fma_f32 v8, -v0, v7, v6
	s_delay_alu instid0(VALU_DEP_1) | instskip(NEXT) | instid1(VALU_DEP_1)
	v_fmac_f32_e32 v7, v8, v1
	v_fma_f32 v0, -v0, v7, v6
	s_delay_alu instid0(VALU_DEP_1) | instskip(NEXT) | instid1(VALU_DEP_1)
	v_div_fmas_f32 v0, v0, v1, v7
	v_div_fixup_f32 v0, v0, v4, v5
	global_store_b32 v[2:3], v0, off
.LBB51_24:
	s_endpgm
	.section	.rodata,"a",@progbits
	.p2align	6, 0x0
	.amdhsa_kernel _ZL33flash_attn_stream_k_fixup_generalILi128ELi1ELi2EEvPfPK15HIP_vector_typeIfLj2EEiiiiS1_IjLj3EES5_S5_S5_
		.amdhsa_group_segment_fixed_size 0
		.amdhsa_private_segment_fixed_size 0
		.amdhsa_kernarg_size 336
		.amdhsa_user_sgpr_count 2
		.amdhsa_user_sgpr_dispatch_ptr 0
		.amdhsa_user_sgpr_queue_ptr 0
		.amdhsa_user_sgpr_kernarg_segment_ptr 1
		.amdhsa_user_sgpr_dispatch_id 0
		.amdhsa_user_sgpr_kernarg_preload_length 0
		.amdhsa_user_sgpr_kernarg_preload_offset 0
		.amdhsa_user_sgpr_private_segment_size 0
		.amdhsa_wavefront_size32 1
		.amdhsa_uses_dynamic_stack 0
		.amdhsa_enable_private_segment 0
		.amdhsa_system_sgpr_workgroup_id_x 1
		.amdhsa_system_sgpr_workgroup_id_y 1
		.amdhsa_system_sgpr_workgroup_id_z 1
		.amdhsa_system_sgpr_workgroup_info 0
		.amdhsa_system_vgpr_workitem_id 0
		.amdhsa_next_free_vgpr 12
		.amdhsa_next_free_sgpr 46
		.amdhsa_named_barrier_count 0
		.amdhsa_reserve_vcc 1
		.amdhsa_float_round_mode_32 0
		.amdhsa_float_round_mode_16_64 0
		.amdhsa_float_denorm_mode_32 3
		.amdhsa_float_denorm_mode_16_64 3
		.amdhsa_fp16_overflow 0
		.amdhsa_memory_ordered 1
		.amdhsa_forward_progress 1
		.amdhsa_inst_pref_size 26
		.amdhsa_round_robin_scheduling 0
		.amdhsa_exception_fp_ieee_invalid_op 0
		.amdhsa_exception_fp_denorm_src 0
		.amdhsa_exception_fp_ieee_div_zero 0
		.amdhsa_exception_fp_ieee_overflow 0
		.amdhsa_exception_fp_ieee_underflow 0
		.amdhsa_exception_fp_ieee_inexact 0
		.amdhsa_exception_int_div_zero 0
	.end_amdhsa_kernel
	.section	.text._ZL33flash_attn_stream_k_fixup_generalILi128ELi1ELi2EEvPfPK15HIP_vector_typeIfLj2EEiiiiS1_IjLj3EES5_S5_S5_,"axG",@progbits,_ZL33flash_attn_stream_k_fixup_generalILi128ELi1ELi2EEvPfPK15HIP_vector_typeIfLj2EEiiiiS1_IjLj3EES5_S5_S5_,comdat
.Lfunc_end51:
	.size	_ZL33flash_attn_stream_k_fixup_generalILi128ELi1ELi2EEvPfPK15HIP_vector_typeIfLj2EEiiiiS1_IjLj3EES5_S5_S5_, .Lfunc_end51-_ZL33flash_attn_stream_k_fixup_generalILi128ELi1ELi2EEvPfPK15HIP_vector_typeIfLj2EEiiiiS1_IjLj3EES5_S5_S5_
                                        ; -- End function
	.set _ZL33flash_attn_stream_k_fixup_generalILi128ELi1ELi2EEvPfPK15HIP_vector_typeIfLj2EEiiiiS1_IjLj3EES5_S5_S5_.num_vgpr, 12
	.set _ZL33flash_attn_stream_k_fixup_generalILi128ELi1ELi2EEvPfPK15HIP_vector_typeIfLj2EEiiiiS1_IjLj3EES5_S5_S5_.num_agpr, 0
	.set _ZL33flash_attn_stream_k_fixup_generalILi128ELi1ELi2EEvPfPK15HIP_vector_typeIfLj2EEiiiiS1_IjLj3EES5_S5_S5_.numbered_sgpr, 46
	.set _ZL33flash_attn_stream_k_fixup_generalILi128ELi1ELi2EEvPfPK15HIP_vector_typeIfLj2EEiiiiS1_IjLj3EES5_S5_S5_.num_named_barrier, 0
	.set _ZL33flash_attn_stream_k_fixup_generalILi128ELi1ELi2EEvPfPK15HIP_vector_typeIfLj2EEiiiiS1_IjLj3EES5_S5_S5_.private_seg_size, 0
	.set _ZL33flash_attn_stream_k_fixup_generalILi128ELi1ELi2EEvPfPK15HIP_vector_typeIfLj2EEiiiiS1_IjLj3EES5_S5_S5_.uses_vcc, 1
	.set _ZL33flash_attn_stream_k_fixup_generalILi128ELi1ELi2EEvPfPK15HIP_vector_typeIfLj2EEiiiiS1_IjLj3EES5_S5_S5_.uses_flat_scratch, 0
	.set _ZL33flash_attn_stream_k_fixup_generalILi128ELi1ELi2EEvPfPK15HIP_vector_typeIfLj2EEiiiiS1_IjLj3EES5_S5_S5_.has_dyn_sized_stack, 0
	.set _ZL33flash_attn_stream_k_fixup_generalILi128ELi1ELi2EEvPfPK15HIP_vector_typeIfLj2EEiiiiS1_IjLj3EES5_S5_S5_.has_recursion, 0
	.set _ZL33flash_attn_stream_k_fixup_generalILi128ELi1ELi2EEvPfPK15HIP_vector_typeIfLj2EEiiiiS1_IjLj3EES5_S5_S5_.has_indirect_call, 0
	.section	.AMDGPU.csdata,"",@progbits
; Kernel info:
; codeLenInByte = 3328
; TotalNumSgprs: 48
; NumVgprs: 12
; ScratchSize: 0
; MemoryBound: 0
; FloatMode: 240
; IeeeMode: 1
; LDSByteSize: 0 bytes/workgroup (compile time only)
; SGPRBlocks: 0
; VGPRBlocks: 0
; NumSGPRsForWavesPerEU: 48
; NumVGPRsForWavesPerEU: 12
; NamedBarCnt: 0
; Occupancy: 16
; WaveLimiterHint : 0
; COMPUTE_PGM_RSRC2:SCRATCH_EN: 0
; COMPUTE_PGM_RSRC2:USER_SGPR: 2
; COMPUTE_PGM_RSRC2:TRAP_HANDLER: 0
; COMPUTE_PGM_RSRC2:TGID_X_EN: 1
; COMPUTE_PGM_RSRC2:TGID_Y_EN: 1
; COMPUTE_PGM_RSRC2:TGID_Z_EN: 1
; COMPUTE_PGM_RSRC2:TIDIG_COMP_CNT: 0
	.section	.text._ZL15flash_attn_tileILi128ELi128ELi64ELi1ELb0EEvPKcS1_S1_S1_S1_PKiPfP15HIP_vector_typeIfLj2EEffffjfiS5_IjLj3EEiiiiiiiiiiiliiliiiiil,"axG",@progbits,_ZL15flash_attn_tileILi128ELi128ELi64ELi1ELb0EEvPKcS1_S1_S1_S1_PKiPfP15HIP_vector_typeIfLj2EEffffjfiS5_IjLj3EEiiiiiiiiiiiliiliiiiil,comdat
	.globl	_ZL15flash_attn_tileILi128ELi128ELi64ELi1ELb0EEvPKcS1_S1_S1_S1_PKiPfP15HIP_vector_typeIfLj2EEffffjfiS5_IjLj3EEiiiiiiiiiiiliiliiiiil ; -- Begin function _ZL15flash_attn_tileILi128ELi128ELi64ELi1ELb0EEvPKcS1_S1_S1_S1_PKiPfP15HIP_vector_typeIfLj2EEffffjfiS5_IjLj3EEiiiiiiiiiiiliiliiiiil
	.p2align	8
	.type	_ZL15flash_attn_tileILi128ELi128ELi64ELi1ELb0EEvPKcS1_S1_S1_S1_PKiPfP15HIP_vector_typeIfLj2EEffffjfiS5_IjLj3EEiiiiiiiiiiiliiliiiiil,@function
_ZL15flash_attn_tileILi128ELi128ELi64ELi1ELb0EEvPKcS1_S1_S1_S1_PKiPfP15HIP_vector_typeIfLj2EEffffjfiS5_IjLj3EEiiiiiiiiiiiliiliiiiil: ; @_ZL15flash_attn_tileILi128ELi128ELi64ELi1ELb0EEvPKcS1_S1_S1_S1_PKiPfP15HIP_vector_typeIfLj2EEffffjfiS5_IjLj3EEiiiiiiiiiiiliiliiiiil
; %bb.0:
	s_clause 0x1
	s_load_b128 s[20:23], s[0:1], 0x5c
	s_load_b64 s[2:3], s[0:1], 0x80
	s_bfe_u32 s6, ttmp6, 0x40014
	s_lshr_b32 s5, ttmp7, 16
	s_add_co_i32 s6, s6, 1
	s_bfe_u32 s7, ttmp6, 0x40008
	s_mul_i32 s6, s5, s6
	s_getreg_b32 s43, hwreg(HW_REG_IB_STS2, 6, 4)
	s_add_co_i32 s7, s7, s6
	s_load_b64 s[30:31], s[0:1], 0xb8
	s_mov_b32 s39, 0
	s_mov_b64 s[36:37], 0
	s_wait_kmcnt 0x0
	s_cvt_f32_u32 s4, s23
	s_sub_co_i32 s8, 0, s23
	s_delay_alu instid0(SALU_CYCLE_2) | instskip(SKIP_1) | instid1(TRANS32_DEP_1)
	v_rcp_iflag_f32_e32 v1, s4
	v_nop
	v_readfirstlane_b32 s4, v1
	s_mul_f32 s4, s4, 0x4f7ffffe
	s_delay_alu instid0(SALU_CYCLE_3) | instskip(NEXT) | instid1(SALU_CYCLE_3)
	s_cvt_u32_f32 s4, s4
	s_mul_i32 s8, s8, s4
	s_delay_alu instid0(SALU_CYCLE_1) | instskip(NEXT) | instid1(SALU_CYCLE_1)
	s_mul_hi_u32 s8, s4, s8
	s_add_co_i32 s4, s4, s8
	s_cmp_eq_u32 s43, 0
	s_cselect_b32 s5, s5, s7
	s_delay_alu instid0(SALU_CYCLE_1) | instskip(NEXT) | instid1(SALU_CYCLE_1)
	s_mul_hi_u32 s4, s5, s4
	s_mul_i32 s6, s4, s23
	s_add_co_i32 s7, s4, 1
	s_sub_co_i32 s6, s5, s6
	s_delay_alu instid0(SALU_CYCLE_1)
	s_sub_co_i32 s8, s6, s23
	s_cmp_ge_u32 s6, s23
	s_cselect_b32 s4, s7, s4
	s_cselect_b32 s6, s8, s6
	s_add_co_i32 s7, s4, 1
	s_cmp_ge_u32 s6, s23
	s_cselect_b32 s34, s7, s4
	s_abs_i32 s4, s3
	s_mul_i32 s8, s34, s23
	s_cvt_f32_u32 s6, s4
	s_sub_co_i32 s7, 0, s4
	s_abs_i32 s9, s23
	s_sub_co_i32 s33, s5, s8
	v_rcp_iflag_f32_e32 v1, s6
	s_xor_b32 s3, s23, s3
	s_delay_alu instid0(SALU_CYCLE_1) | instskip(SKIP_1) | instid1(TRANS32_DEP_1)
	s_ashr_i32 s3, s3, 31
	v_nop
	v_readfirstlane_b32 s6, v1
	s_mul_f32 s6, s6, 0x4f7ffffe
	s_delay_alu instid0(SALU_CYCLE_3) | instskip(NEXT) | instid1(SALU_CYCLE_3)
	s_cvt_u32_f32 s6, s6
	s_mul_i32 s7, s7, s6
	s_delay_alu instid0(SALU_CYCLE_1) | instskip(NEXT) | instid1(SALU_CYCLE_1)
	s_mul_hi_u32 s7, s6, s7
	s_add_co_i32 s6, s6, s7
	s_delay_alu instid0(SALU_CYCLE_1) | instskip(NEXT) | instid1(SALU_CYCLE_1)
	s_mul_hi_u32 s5, s9, s6
	s_mul_i32 s6, s5, s4
	s_add_co_i32 s7, s5, 1
	s_sub_co_i32 s6, s9, s6
	s_delay_alu instid0(SALU_CYCLE_1)
	s_sub_co_i32 s8, s6, s4
	s_cmp_ge_u32 s6, s4
	s_cselect_b32 s5, s7, s5
	s_cselect_b32 s6, s8, s6
	s_add_co_i32 s7, s5, 1
	s_cmp_ge_u32 s6, s4
	s_cselect_b32 s4, s7, s5
	s_abs_i32 s38, s33
	s_xor_b32 s4, s4, s3
	s_delay_alu instid0(SALU_CYCLE_1) | instskip(NEXT) | instid1(SALU_CYCLE_1)
	s_sub_co_i32 s28, s4, s3
	s_abs_i32 s3, s28
	s_delay_alu instid0(SALU_CYCLE_1) | instskip(SKIP_1) | instid1(SALU_CYCLE_2)
	s_cvt_f32_u32 s4, s3
	s_sub_co_i32 s25, 0, s3
	v_rcp_iflag_f32_e32 v1, s4
	s_load_b512 s[4:19], s[0:1], 0x0
	v_nop
	s_delay_alu instid0(TRANS32_DEP_1) | instskip(SKIP_1) | instid1(SALU_CYCLE_3)
	v_readfirstlane_b32 s24, v1
	s_mul_f32 s24, s24, 0x4f7ffffe
	s_cvt_u32_f32 s24, s24
	s_delay_alu instid0(SALU_CYCLE_3) | instskip(NEXT) | instid1(SALU_CYCLE_1)
	s_mul_i32 s25, s25, s24
	s_mul_hi_u32 s25, s24, s25
	s_delay_alu instid0(SALU_CYCLE_1)
	s_add_co_i32 s40, s24, s25
	s_wait_kmcnt 0x0
	s_cmp_eq_u64 s[10:11], 0
	s_cbranch_scc1 .LBB52_2
; %bb.1:
	s_abs_i32 s26, s30
	s_abs_i32 s27, s34
	s_cvt_f32_u32 s24, s26
	s_sub_co_i32 s25, 0, s26
	s_delay_alu instid0(SALU_CYCLE_2) | instskip(SKIP_1) | instid1(TRANS32_DEP_1)
	v_rcp_iflag_f32_e32 v1, s24
	v_nop
	v_readfirstlane_b32 s24, v1
	s_mul_f32 s24, s24, 0x4f7ffffe
	s_delay_alu instid0(SALU_CYCLE_3) | instskip(NEXT) | instid1(SALU_CYCLE_3)
	s_cvt_u32_f32 s24, s24
	s_mul_i32 s25, s25, s24
	s_delay_alu instid0(SALU_CYCLE_1) | instskip(NEXT) | instid1(SALU_CYCLE_1)
	s_mul_hi_u32 s25, s24, s25
	s_add_co_i32 s24, s24, s25
	s_delay_alu instid0(SALU_CYCLE_1) | instskip(SKIP_2) | instid1(SALU_CYCLE_1)
	s_mul_hi_u32 s29, s27, s24
	s_load_b64 s[24:25], s[0:1], 0xc8
	s_mul_i32 s29, s29, s26
	s_sub_co_i32 s27, s27, s29
	s_ashr_i32 s29, s34, 31
	s_sub_co_i32 s30, s27, s26
	s_cmp_ge_u32 s27, s26
	s_cselect_b32 s27, s30, s27
	s_delay_alu instid0(SALU_CYCLE_1) | instskip(SKIP_2) | instid1(SALU_CYCLE_1)
	s_sub_co_i32 s30, s27, s26
	s_cmp_ge_u32 s27, s26
	s_cselect_b32 s26, s30, s27
	s_xor_b32 s26, s26, s29
	s_delay_alu instid0(SALU_CYCLE_1) | instskip(NEXT) | instid1(SALU_CYCLE_1)
	s_sub_co_i32 s26, s26, s29
	s_ashr_i32 s27, s26, 31
	s_wait_kmcnt 0x0
	s_mul_u64 s[24:25], s[24:25], s[26:27]
	s_delay_alu instid0(SALU_CYCLE_1)
	s_add_nc_u64 s[36:37], s[10:11], s[24:25]
.LBB52_2:
	s_clause 0x1
	s_load_b128 s[24:27], s[0:1], 0x40
	s_load_b32 s10, s[0:1], 0x50
	v_mov_b32_e32 v86, 1.0
	s_mov_b32 s41, s39
	s_wait_kmcnt 0x0
	s_cmp_le_f32 s25, 0
	s_cbranch_scc1 .LBB52_4
; %bb.3:
	v_sub_co_u32 v1, s10, s33, s10
	s_and_b32 s25, s10, exec_lo
	s_cselect_b32 s25, s26, s27
	s_add_co_i32 s26, s33, 1
	v_readfirstlane_b32 s11, v1
	s_lshl_b32 s11, s11, 1
	s_delay_alu instid0(SALU_CYCLE_1) | instskip(SKIP_4) | instid1(SALU_CYCLE_3)
	s_or_b32 s11, s11, 1
	s_and_b32 s10, s10, exec_lo
	s_cselect_b32 s10, s26, s11
	s_cmp_neq_f32 s25, 1.0
	s_cvt_f32_i32 s10, s10
	s_cselect_b32 s11, s10, 1.0
	s_delay_alu instid0(SALU_CYCLE_1) | instskip(SKIP_1) | instid1(SALU_CYCLE_1)
	s_cmp_neq_f32 s11, 0
	s_cselect_b32 s10, s25, 1.0
	v_cvt_f64_f32_e64 v[2:3], |s10|
	s_delay_alu instid0(VALU_DEP_1) | instskip(SKIP_1) | instid1(VALU_DEP_1)
	v_frexp_exp_i32_f64_e32 v1, v[2:3]
	v_frexp_mant_f32_e64 v2, |s10|
	v_readfirstlane_b32 s25, v2
	s_cmp_lt_f32 s25, 0x3f2aaaab
	s_cselect_b32 vcc_lo, -1, 0
	s_delay_alu instid0(SALU_CYCLE_1) | instskip(SKIP_1) | instid1(SALU_CYCLE_1)
	s_and_b32 s26, vcc_lo, exec_lo
	s_cselect_b32 s26, 2.0, 1.0
	s_mul_f32 s25, s25, s26
	s_delay_alu instid0(SALU_CYCLE_3) | instskip(SKIP_1) | instid1(SALU_CYCLE_2)
	s_add_f32 s26, s25, 1.0
	s_add_f32 s29, s25, -1.0
	v_s_rcp_f32 s27, s26
	s_add_f32 s42, s26, -1.0
	v_subrev_co_ci_u32_e64 v1, null, 0, v1, vcc_lo
	s_delay_alu instid0(SALU_CYCLE_2) | instskip(NEXT) | instid1(TRANS32_DEP_1)
	s_sub_f32 s25, s25, s42
	s_mul_f32 s30, s29, s27
	v_cvt_f32_i32_e32 v1, v1
	s_delay_alu instid0(SALU_CYCLE_2) | instskip(NEXT) | instid1(SALU_CYCLE_3)
	s_mul_f32 s35, s26, s30
	v_dual_mov_b32 v3, s29 :: v_dual_mov_b32 v4, s35
	s_xor_b32 s44, s35, 0x80000000
	s_delay_alu instid0(SALU_CYCLE_1) | instskip(NEXT) | instid1(SALU_CYCLE_3)
	s_fmac_f32 s44, s30, s26
	s_fmac_f32 s44, s30, s25
	s_delay_alu instid0(SALU_CYCLE_3) | instskip(NEXT) | instid1(SALU_CYCLE_3)
	s_add_f32 s25, s35, s44
	v_dual_mov_b32 v6, s44 :: v_dual_mov_b32 v7, s25
	s_sub_f32 s26, s29, s25
	s_delay_alu instid0(SALU_CYCLE_3) | instskip(NEXT) | instid1(VALU_DEP_1)
	v_dual_mov_b32 v2, s25 :: v_dual_mov_b32 v5, s26
	v_pk_add_f32 v[2:3], v[2:3], v[4:5] neg_lo:[0,1] neg_hi:[0,1]
	s_delay_alu instid0(VALU_DEP_1) | instskip(NEXT) | instid1(VALU_DEP_1)
	v_pk_add_f32 v[2:3], v[2:3], v[6:7] neg_lo:[0,1] neg_hi:[0,1]
	v_readfirstlane_b32 s25, v3
	s_delay_alu instid0(VALU_DEP_2) | instskip(SKIP_1) | instid1(SALU_CYCLE_3)
	v_readfirstlane_b32 s29, v2
	s_add_f32 s25, s29, s25
	s_add_f32 s25, s26, s25
	s_delay_alu instid0(SALU_CYCLE_3) | instskip(NEXT) | instid1(SALU_CYCLE_3)
	s_mul_f32 s25, s27, s25
	s_add_f32 s26, s30, s25
	s_delay_alu instid0(SALU_CYCLE_3) | instskip(SKIP_1) | instid1(SALU_CYCLE_2)
	s_sub_f32 s27, s26, s30
	s_mul_f32 s29, s26, s26
	s_sub_f32 s25, s25, s27
	s_delay_alu instid0(SALU_CYCLE_2) | instskip(NEXT) | instid1(SALU_CYCLE_1)
	s_xor_b32 s27, s29, 0x80000000
	s_fmac_f32 s27, s26, s26
	s_delay_alu instid0(SALU_CYCLE_1) | instskip(NEXT) | instid1(SALU_CYCLE_3)
	s_add_f32 s30, s25, s25
	s_fmac_f32 s27, s26, s30
	s_mov_b32 s30, 0x3e76c4e1
	s_delay_alu instid0(SALU_CYCLE_2) | instskip(NEXT) | instid1(SALU_CYCLE_3)
	s_add_f32 s44, s29, s27
	s_fmaak_f32 s30, s44, s30, 0x3e91f4c4
	s_sub_f32 s29, s44, s29
	s_delay_alu instid0(SALU_CYCLE_2) | instskip(NEXT) | instid1(SALU_CYCLE_2)
	s_fmaak_f32 s30, s44, s30, 0x3ecccdef
	s_sub_f32 s29, s27, s29
	s_delay_alu instid0(SALU_CYCLE_2) | instskip(NEXT) | instid1(SALU_CYCLE_3)
	s_mul_f32 s35, s44, s30
	s_xor_b32 s42, s35, 0x80000000
	s_delay_alu instid0(SALU_CYCLE_1) | instskip(NEXT) | instid1(SALU_CYCLE_3)
	s_fmac_f32 s42, s44, s30
	s_fmac_f32 s42, s29, s30
	s_delay_alu instid0(SALU_CYCLE_3) | instskip(NEXT) | instid1(SALU_CYCLE_3)
	s_add_f32 s30, s35, s42
	s_sub_f32 s27, s30, s35
	s_add_f32 s35, s30, 0x3f2aaaaa
	s_delay_alu instid0(SALU_CYCLE_2) | instskip(NEXT) | instid1(SALU_CYCLE_2)
	s_sub_f32 s27, s42, s27
	s_add_f32 s42, s35, 0xbf2aaaaa
	s_delay_alu instid0(SALU_CYCLE_2) | instskip(NEXT) | instid1(SALU_CYCLE_2)
	s_add_f32 s27, s27, 0x31739010
	s_sub_f32 s45, s30, s42
	s_delay_alu instid0(SALU_CYCLE_2) | instskip(NEXT) | instid1(SALU_CYCLE_2)
	v_mov_b64_e32 v[2:3], s[26:27]
	v_mov_b64_e32 v[4:5], s[44:45]
	s_delay_alu instid0(VALU_DEP_1) | instskip(SKIP_2) | instid1(VALU_DEP_3)
	v_pk_mul_f32 v[6:7], v[2:3], v[4:5]
	v_pk_add_f32 v[2:3], v[2:3], v[4:5]
	v_mov_b32_e32 v9, s35
	v_xor_b32_e32 v8, 0x80000000, v6
	s_delay_alu instid0(VALU_DEP_3) | instskip(NEXT) | instid1(VALU_DEP_2)
	v_mov_b32_e32 v7, v3
	v_fmac_f32_e64 v8, s44, s26
	s_delay_alu instid0(VALU_DEP_1) | instskip(NEXT) | instid1(VALU_DEP_1)
	v_fmac_f32_e64 v8, s44, s25
	v_fmac_f32_e64 v8, s29, s26
	s_delay_alu instid0(VALU_DEP_1) | instskip(NEXT) | instid1(VALU_DEP_1)
	v_pk_add_f32 v[4:5], v[6:7], v[8:9]
	v_dual_mov_b32 v2, v5 :: v_dual_sub_f32 v7, s35, v5
	v_mul_f32_e32 v12, 0x3f317218, v1
	s_delay_alu instid0(VALU_DEP_2) | instskip(NEXT) | instid1(VALU_DEP_3)
	v_pk_mul_f32 v[10:11], v[4:5], v[2:3]
	v_add_f32_e32 v3, v3, v7
	s_delay_alu instid0(VALU_DEP_3) | instskip(NEXT) | instid1(VALU_DEP_3)
	v_xor_b32_e32 v7, 0x80000000, v12
	v_xor_b32_e32 v2, 0x80000000, v10
	s_delay_alu instid0(VALU_DEP_2) | instskip(NEXT) | instid1(VALU_DEP_2)
	v_dual_sub_f32 v6, v4, v6 :: v_dual_fmac_f32 v7, 0x3f317218, v1
	v_fmac_f32_e32 v2, v4, v5
	s_delay_alu instid0(VALU_DEP_2) | instskip(NEXT) | instid1(VALU_DEP_2)
	v_sub_f32_e32 v6, v8, v6
	v_fmac_f32_e32 v2, v4, v3
	s_delay_alu instid0(VALU_DEP_1) | instskip(SKIP_3) | instid1(VALU_DEP_2)
	v_fmac_f32_e32 v2, v6, v5
	v_fmamk_f32 v4, v1, 0xb102e308, v7
	v_ldexp_f32 v5, s26, 1
	v_ldexp_f32 v1, s25, 1
	v_dual_add_f32 v13, v10, v2 :: v_dual_mov_b32 v11, v5
	s_delay_alu instid0(VALU_DEP_1) | instskip(SKIP_1) | instid1(VALU_DEP_2)
	v_pk_add_f32 v[6:7], v[12:13], v[4:5]
	v_dual_mov_b32 v8, v13 :: v_dual_mov_b32 v3, v13
	v_dual_mov_b32 v9, v7 :: v_dual_mov_b32 v5, v6
	v_mov_b32_e32 v14, v7
	s_delay_alu instid0(VALU_DEP_2) | instskip(NEXT) | instid1(VALU_DEP_1)
	v_pk_add_f32 v[8:9], v[8:9], v[10:11] neg_lo:[0,1] neg_hi:[0,1]
	v_pk_add_f32 v[2:3], v[2:3], v[8:9] neg_lo:[0,1] neg_hi:[0,1]
	s_delay_alu instid0(VALU_DEP_1) | instskip(NEXT) | instid1(VALU_DEP_1)
	v_add_f32_e32 v1, v1, v2
	v_add_f32_e32 v13, v1, v3
	s_delay_alu instid0(VALU_DEP_1) | instskip(SKIP_1) | instid1(VALU_DEP_2)
	v_pk_add_f32 v[2:3], v[6:7], v[12:13]
	v_pk_add_f32 v[8:9], v[6:7], v[12:13] neg_lo:[0,1] neg_hi:[0,1]
	v_mov_b32_e32 v9, v3
	s_delay_alu instid0(VALU_DEP_1) | instskip(SKIP_2) | instid1(VALU_DEP_3)
	v_pk_add_f32 v[10:11], v[4:5], v[8:9]
	v_pk_add_f32 v[4:5], v[4:5], v[8:9] neg_lo:[0,1] neg_hi:[0,1]
	v_dual_mov_b32 v16, v3 :: v_dual_mov_b32 v5, v6
	v_dual_mov_b32 v12, v11 :: v_dual_mov_b32 v17, v11
	s_delay_alu instid0(VALU_DEP_3) | instskip(NEXT) | instid1(VALU_DEP_2)
	v_readfirstlane_b32 s25, v4
	v_pk_add_f32 v[8:9], v[12:13], v[6:7] neg_lo:[0,1] neg_hi:[0,1]
	s_delay_alu instid0(VALU_DEP_2) | instskip(NEXT) | instid1(VALU_DEP_2)
	v_dual_mov_b32 v4, v13 :: v_dual_mov_b32 v10, s25
	v_dual_mov_b32 v15, v8 :: v_dual_mov_b32 v1, v8
	s_delay_alu instid0(VALU_DEP_1) | instskip(NEXT) | instid1(VALU_DEP_2)
	v_pk_add_f32 v[6:7], v[16:17], v[14:15] neg_lo:[0,1] neg_hi:[0,1]
	v_pk_add_f32 v[2:3], v[2:3], v[0:1] neg_lo:[0,1] neg_hi:[0,1]
	v_mov_b32_e32 v2, s25
	s_delay_alu instid0(VALU_DEP_3) | instskip(NEXT) | instid1(VALU_DEP_1)
	v_pk_add_f32 v[4:5], v[4:5], v[6:7] neg_lo:[0,1] neg_hi:[0,1]
	v_pk_add_f32 v[2:3], v[2:3], v[4:5]
	s_delay_alu instid0(VALU_DEP_1) | instskip(NEXT) | instid1(VALU_DEP_2)
	v_readfirstlane_b32 s26, v2
	v_mov_b32_e32 v6, v3
	s_delay_alu instid0(VALU_DEP_1) | instskip(NEXT) | instid1(VALU_DEP_3)
	v_pk_add_f32 v[6:7], v[2:3], v[6:7]
	v_mov_b32_e32 v2, s26
	s_delay_alu instid0(VALU_DEP_2) | instskip(SKIP_1) | instid1(VALU_DEP_2)
	v_pk_add_f32 v[8:9], v[12:13], v[6:7]
	v_mov_b32_e32 v5, v6
	v_readfirstlane_b32 s27, v8
	s_delay_alu instid0(VALU_DEP_1) | instskip(NEXT) | instid1(VALU_DEP_1)
	v_mov_b32_e32 v3, s27
	v_pk_add_f32 v[2:3], v[2:3], v[10:11] neg_lo:[0,1] neg_hi:[0,1]
	s_delay_alu instid0(VALU_DEP_1) | instskip(NEXT) | instid1(VALU_DEP_2)
	v_readfirstlane_b32 s29, v2
	v_pk_add_f32 v[2:3], v[4:5], v[2:3] neg_lo:[0,1] neg_hi:[0,1]
	s_sub_f32 s26, s26, s29
	s_delay_alu instid0(VALU_DEP_1) | instskip(NEXT) | instid1(SALU_CYCLE_2)
	v_readfirstlane_b32 s29, v2
	s_sub_f32 s25, s25, s26
	v_readfirstlane_b32 s26, v3
	s_delay_alu instid0(SALU_CYCLE_2) | instskip(NEXT) | instid1(SALU_CYCLE_3)
	s_add_f32 s25, s29, s25
	s_add_f32 s25, s25, s26
	s_delay_alu instid0(SALU_CYCLE_3) | instskip(NEXT) | instid1(SALU_CYCLE_3)
	s_add_f32 s26, s27, s25
	s_mul_f32 s29, s11, s26
	s_sub_f32 s27, s26, s27
	s_delay_alu instid0(SALU_CYCLE_2) | instskip(NEXT) | instid1(SALU_CYCLE_2)
	s_xor_b32 s30, s29, 0x80000000
	s_sub_f32 s25, s25, s27
	s_fmac_f32 s30, s11, s26
	s_delay_alu instid0(SALU_CYCLE_3) | instskip(SKIP_1) | instid1(SALU_CYCLE_2)
	s_fmac_f32 s30, s11, s25
	v_cmp_class_f32_e64 s25, s29, 0x204
	s_add_f32 s26, s29, s30
	s_and_b32 s25, s25, exec_lo
	s_delay_alu instid0(SALU_CYCLE_2) | instskip(SKIP_1) | instid1(SALU_CYCLE_1)
	s_sub_f32 s25, s26, s29
	s_cselect_b32 s26, s29, s26
	s_and_b32 s27, s26, 0x7fffffff
	s_delay_alu instid0(SALU_CYCLE_1) | instskip(SKIP_1) | instid1(SALU_CYCLE_2)
	s_sub_f32 s25, s30, s25
	s_cmp_neq_f32 s27, 0x7f800000
	s_cselect_b32 s25, s25, 0
	s_cmp_eq_f32 s26, 0x42b17218
	s_cselect_b32 s27, 0x37000000, 0
	s_delay_alu instid0(SALU_CYCLE_1) | instskip(SKIP_1) | instid1(SALU_CYCLE_2)
	s_sub_f32 s26, s26, s27
	s_add_f32 s25, s27, s25
	s_mul_f32 s29, s26, 0x3fb8aa3b
	s_delay_alu instid0(SALU_CYCLE_3) | instskip(SKIP_3) | instid1(SALU_CYCLE_1)
	s_xor_b32 s30, s29, 0x80000000
	s_rndne_f32 s35, s29
	s_fmamk_f32 s30, s26, 0x3fb8aa3b, s30
	s_cmp_nlt_f32 s26, 0xc2ce8ed0
	s_sub_f32 s29, s29, s35
	s_delay_alu instid0(SALU_CYCLE_1)
	s_fmamk_f32 s30, s26, 0x32a5705f, s30
	s_cselect_b32 vcc_lo, -1, 0
	s_cmp_ngt_f32 s26, 0x42b17218
	s_trunc_f32 s26, s11
	s_add_f32 s29, s29, s30
	s_cvt_i32_f32 s30, s35
	s_delay_alu instid0(SALU_CYCLE_2)
	v_s_exp_f32 s29, s29
	v_nop
	s_delay_alu instid0(TRANS32_DEP_1) | instid1(SALU_CYCLE_1)
	v_ldexp_f32 v1, s29, s30
	s_mul_f32 s29, s11, 0.5
	s_delay_alu instid0(VALU_DEP_1) | instskip(SKIP_3) | instid1(VALU_DEP_1)
	v_cndmask_b32_e32 v1, 0, v1, vcc_lo
	s_cselect_b32 vcc_lo, -1, 0
	s_cmp_eq_f32 s26, s11
	s_trunc_f32 s30, s29
	v_cndmask_b32_e32 v1, 0x7f800000, v1, vcc_lo
	s_cselect_b32 s35, -1, 0
	s_delay_alu instid0(SALU_CYCLE_1) | instskip(NEXT) | instid1(VALU_DEP_1)
	s_cmp_neq_f32 s30, s29
	v_fma_f32 v2, s25, v1, v1
	v_cmp_class_f32_e64 vcc_lo, v1, 0x204
	s_cselect_b32 s27, -1, 0
	s_delay_alu instid0(SALU_CYCLE_1)
	s_and_b32 s25, s35, s27
	v_cndmask_b32_e32 v1, v2, v1, vcc_lo
	s_and_b32 s27, s25, exec_lo
	s_cselect_b32 s27, s10, 1.0
	s_cmp_eq_f32 s26, s11
	v_cmp_class_f32_e64 s26, s10, 0x204
	v_bfi_b32 v1, 0x7fffffff, v1, s27
	s_cselect_b32 vcc_lo, -1, 0
	s_cmp_lt_f32 s10, 0
	s_delay_alu instid0(VALU_DEP_1) | instskip(SKIP_2) | instid1(VALU_DEP_1)
	v_cndmask_b32_e32 v2, 0x7fc00000, v1, vcc_lo
	s_cselect_b32 vcc_lo, -1, 0
	s_cmp_eq_f32 s10, 0
	v_cndmask_b32_e32 v1, v1, v2, vcc_lo
	s_cselect_b32 s27, -1, 0
	s_delay_alu instid0(SALU_CYCLE_1) | instskip(SKIP_2) | instid1(SALU_CYCLE_1)
	s_or_b32 vcc_lo, s27, s26
	s_cmp_lt_f32 s11, 0
	s_cselect_b32 s11, -1, 0
	s_xor_b32 s11, s11, s27
	s_delay_alu instid0(SALU_CYCLE_1)
	s_and_b32 s11, s11, exec_lo
	s_cselect_b32 s11, 0, 0x7f800000
	s_and_b32 s25, s25, exec_lo
	s_cselect_b32 s25, s10, 0
	s_cmp_o_f32 s10, s10
	v_mov_b32_e32 v2, s25
	s_delay_alu instid0(VALU_DEP_1) | instskip(NEXT) | instid1(VALU_DEP_1)
	v_bfi_b32 v2, 0x7fffffff, s11, v2
	v_cndmask_b32_e32 v1, v1, v2, vcc_lo
	s_cselect_b32 vcc_lo, -1, 0
	s_delay_alu instid0(VALU_DEP_1)
	v_cndmask_b32_e32 v86, 0x7fc00000, v1, vcc_lo
.LBB52_4:
	s_bfe_u32 s10, ttmp6, 0x4000c
	s_and_b32 s11, ttmp6, 15
	s_add_co_i32 s10, s10, 1
	s_ashr_i32 s44, s33, 31
	s_mul_i32 s10, ttmp9, s10
	v_bfe_u32 v84, v0, 10, 10
	s_ashr_i32 s45, s28, 31
	s_add_co_i32 s11, s11, s10
	s_cmp_eq_u32 s43, 0
	s_load_b96 s[28:30], s[0:1], 0x70
	s_cselect_b32 s25, ttmp9, s11
	v_and_b32_e32 v40, 0x3ff, v0
	s_lshl_b32 s42, s25, 6
	v_dual_mov_b32 v23, 0 :: v_dual_lshlrev_b32 v78, 3, v84
	s_delay_alu instid0(VALU_DEP_1) | instskip(NEXT) | instid1(VALU_DEP_1)
	v_dual_lshlrev_b32 v22, 4, v40 :: v_dual_bitop2_b32 v74, 2, v78 bitop3:0x54
	v_dual_mov_b32 v3, v23 :: v_dual_add_nc_u32 v79, s42, v74
	v_dual_add_nc_u32 v81, s42, v78 :: v_dual_bitop2_b32 v76, 1, v78 bitop3:0x54
	v_or_b32_e32 v72, 3, v78
	v_or_b32_e32 v70, 4, v78
	s_delay_alu instid0(VALU_DEP_4) | instskip(NEXT) | instid1(VALU_DEP_4)
	v_mul_hi_u32 v4, v79, s20
	v_add_nc_u32_e32 v80, s42, v76
	v_mul_hi_u32 v1, v81, s20
	v_dual_add_nc_u32 v75, s42, v72 :: v_dual_bitop2_b32 v67, 5, v78 bitop3:0x54
	s_wait_kmcnt 0x0
	s_mul_i32 s10, s33, s29
	v_mul_hi_u32 v2, v80, s20
	v_mov_b32_e32 v37, v23
	s_ashr_i32 s29, s28, 31
	v_mul_hi_u32 v5, v75, s20
	s_lshr_b64 s[26:27], s[28:29], 2
	s_mul_i32 s28, s34, s30
	s_ashr_i32 s11, s10, 31
	v_dual_add_nc_u32 v1, v81, v1 :: v_dual_add_nc_u32 v73, s42, v70
	v_add_nc_u32_e32 v69, s42, v67
	s_ashr_i32 s29, s28, 31
	s_delay_alu instid0(VALU_DEP_2) | instskip(NEXT) | instid1(VALU_DEP_3)
	v_dual_add_nc_u32 v2, v80, v2 :: v_dual_lshrrev_b32 v1, s21, v1
	v_mul_hi_u32 v6, v73, s20
	s_delay_alu instid0(VALU_DEP_3) | instskip(NEXT) | instid1(VALU_DEP_3)
	v_mul_hi_u32 v7, v69, s20
	v_dual_add_nc_u32 v4, v79, v4 :: v_dual_lshrrev_b32 v2, s21, v2
	s_delay_alu instid0(VALU_DEP_4) | instskip(SKIP_1) | instid1(VALU_DEP_3)
	v_mul_lo_u32 v1, v1, s22
	v_dual_add_nc_u32 v5, v75, v5 :: v_dual_bitop2_b32 v43, 7, v78 bitop3:0x54
	v_lshrrev_b32_e32 v4, s21, v4
	s_delay_alu instid0(VALU_DEP_4)
	v_mul_lo_u32 v2, v2, s22
	s_add_nc_u64 s[4:5], s[4:5], s[28:29]
	s_cmp_eq_u64 s[14:15], 0
	v_add_nc_u32_e32 v6, v73, v6
	v_dual_lshrrev_b32 v5, s21, v5 :: v_dual_bitop2_b32 v68, 6, v78 bitop3:0x54
	v_add_nc_u32_e32 v7, v69, v7
	v_mul_lo_u32 v8, v4, s22
	s_delay_alu instid0(VALU_DEP_3) | instskip(SKIP_2) | instid1(VALU_DEP_3)
	v_dual_lshrrev_b32 v4, s21, v6 :: v_dual_add_nc_u32 v71, s42, v68
	v_dual_sub_nc_u32 v36, v81, v1 :: v_dual_add_nc_u32 v66, s42, v43
	v_sub_nc_u32_e32 v2, v80, v2
	v_mul_lo_u32 v11, v4, s22
	s_delay_alu instid0(VALU_DEP_4)
	v_mul_hi_u32 v10, v71, s20
	v_mul_lo_u32 v1, v5, s22
	v_mul_hi_u32 v12, v66, s20
	v_dual_mov_b32 v7, v23 :: v_dual_lshrrev_b32 v6, s21, v7
	v_mov_b32_e32 v9, v23
	v_mul_u64_e32 v[4:5], s[26:27], v[36:37]
	v_mul_u64_e32 v[2:3], s[26:27], v[2:3]
	s_delay_alu instid0(VALU_DEP_4)
	v_mul_lo_u32 v13, v6, s22
	s_add_nc_u64 s[4:5], s[4:5], s[10:11]
	v_dual_sub_nc_u32 v0, v73, v11 :: v_dual_add_nc_u32 v10, v71, v10
	v_sub_nc_u32_e32 v6, v79, v8
	v_dual_add_nc_u32 v12, v66, v12 :: v_dual_sub_nc_u32 v8, v75, v1
	v_dual_mov_b32 v1, v23 :: v_dual_mov_b32 v11, v23
	s_delay_alu instid0(VALU_DEP_2) | instskip(NEXT) | instid1(VALU_DEP_4)
	v_dual_lshrrev_b32 v10, s21, v10 :: v_dual_lshrrev_b32 v12, s21, v12
	v_mul_u64_e32 v[6:7], s[26:27], v[6:7]
	s_delay_alu instid0(VALU_DEP_4) | instskip(SKIP_1) | instid1(VALU_DEP_4)
	v_mul_u64_e32 v[8:9], s[26:27], v[8:9]
	v_add_nc_u64_e32 v[28:29], s[4:5], v[22:23]
	v_mul_lo_u32 v14, v10, s22
	v_mul_lo_u32 v15, v12, s22
	v_sub_nc_u32_e32 v10, v69, v13
	v_mul_u64_e32 v[12:13], s[26:27], v[0:1]
	s_mul_u64 s[10:11], s[38:39], s[40:41]
	s_mov_b32 s5, 0
	s_delay_alu instid0(VALU_DEP_2) | instskip(NEXT) | instid1(VALU_DEP_4)
	v_mul_u64_e32 v[16:17], s[26:27], v[10:11]
	v_dual_sub_nc_u32 v0, v71, v14 :: v_dual_sub_nc_u32 v10, v66, v15
	s_delay_alu instid0(VALU_DEP_1) | instskip(NEXT) | instid1(VALU_DEP_2)
	v_mul_u64_e32 v[20:21], s[26:27], v[0:1]
	v_mul_u64_e32 v[30:31], s[26:27], v[10:11]
	v_lshl_add_u64 v[0:1], v[4:5], 2, v[28:29]
	v_lshl_add_u64 v[4:5], v[2:3], 2, v[28:29]
	global_load_b128 v[0:3], v[0:1], off
	v_lshl_add_u64 v[10:11], v[6:7], 2, v[28:29]
	v_lshl_add_u64 v[14:15], v[8:9], 2, v[28:29]
	s_clause 0x1
	global_load_b128 v[4:7], v[4:5], off
	global_load_b128 v[8:11], v[10:11], off
	v_lshl_add_u64 v[18:19], v[12:13], 2, v[28:29]
	global_load_b128 v[12:15], v[14:15], off
	v_lshl_add_u64 v[24:25], v[16:17], 2, v[28:29]
	s_clause 0x1
	global_load_b128 v[16:19], v[18:19], off
	global_load_b128 v[24:27], v[24:25], off
	v_lshl_add_u64 v[20:21], v[20:21], 2, v[28:29]
	v_lshl_add_u64 v[38:39], v[30:31], 2, v[28:29]
	s_clause 0x1
	global_load_b128 v[28:31], v[20:21], off
	global_load_b128 v[32:35], v[38:39], off
	s_wait_loadcnt 0x7
	s_wait_xcnt 0x7
	v_fma_mixlo_f16 v0, s24, v0, 0
	v_fma_mixlo_f16 v1, s24, v1, 0
	;; [unrolled: 1-line block ×4, first 2 shown]
	v_lshlrev_b32_e32 v83, 3, v40
	v_and_b32_e32 v0, 0xffff, v0
	v_dual_lshlrev_b32 v1, 16, v1 :: v_dual_lshlrev_b32 v37, 11, v84
	s_delay_alu instid0(VALU_DEP_4)
	v_lshlrev_b32_e32 v3, 16, v3
	s_wait_loadcnt 0x6
	s_wait_xcnt 0x6
	v_fma_mixlo_f16 v4, s24, v4, 0
	v_fma_mixlo_f16 v5, s24, v5, 0
	s_wait_loadcnt 0x5
	v_fma_mixlo_f16 v8, s24, v8, 0
	v_fma_mixlo_f16 v9, s24, v9, 0
	s_wait_loadcnt 0x4
	v_fma_mixlo_f16 v12, s24, v12, 0
	v_fma_mixlo_f16 v13, s24, v13, 0
	;; [unrolled: 1-line block ×4, first 2 shown]
	s_wait_loadcnt 0x3
	v_fma_mixlo_f16 v16, s24, v16, 0
	v_fma_mixlo_f16 v17, s24, v17, 0
	;; [unrolled: 1-line block ×3, first 2 shown]
	v_and_b32_e32 v2, 0xffff, v2
	s_wait_loadcnt 0x2
	s_wait_xcnt 0x2
	v_fma_mixlo_f16 v24, s24, v24, 0
	v_fma_mixlo_f16 v25, s24, v25, 0
	v_dual_lshlrev_b32 v5, 16, v5 :: v_dual_lshlrev_b32 v11, 16, v11
	v_and_b32_e32 v4, 0xffff, v4
	v_fma_mixlo_f16 v10, s24, v10, 0
	v_fma_mixlo_f16 v15, s24, v15, 0
	v_lshlrev_b32_e32 v9, 16, v9
	s_wait_loadcnt 0x1
	v_fma_mixlo_f16 v28, s24, v28, 0
	v_fma_mixlo_f16 v29, s24, v29, 0
	s_wait_loadcnt 0x0
	v_fma_mixlo_f16 v32, s24, v32, 0
	v_fma_mixlo_f16 v33, s24, v33, 0
	v_and_b32_e32 v8, 0xffff, v8
	v_fma_mixlo_f16 v14, s24, v14, 0
	v_fma_mixlo_f16 v19, s24, v19, 0
	v_lshlrev_b32_e32 v13, 16, v13
	v_and_b32_e32 v12, 0xffff, v12
	v_fma_mixlo_f16 v18, s24, v18, 0
	v_fma_mixlo_f16 v27, s24, v27, 0
	v_lshlrev_b32_e32 v17, 16, v17
	v_and_b32_e32 v16, 0xffff, v16
	v_fma_mixlo_f16 v26, s24, v26, 0
	v_fma_mixlo_f16 v30, s24, v30, 0
	;; [unrolled: 1-line block ×5, first 2 shown]
	v_lshlrev_b32_e32 v25, 16, v25
	v_and_b32_e32 v24, 0xffff, v24
	v_lshlrev_b32_e32 v29, 16, v29
	v_and_b32_e32 v28, 0xffff, v28
	v_dual_lshlrev_b32 v33, 16, v33 :: v_dual_bitop2_b32 v0, v1, v0 bitop3:0x54
	v_and_b32_e32 v32, 0xffff, v32
	v_dual_add_nc_u32 v20, v83, v37 :: v_dual_lshlrev_b32 v7, 16, v7
	v_and_b32_e32 v6, 0xffff, v6
	v_or3_b32 v1, v3, v2, 0
	v_or_b32_e32 v2, v5, v4
	v_and_b32_e32 v10, 0xffff, v10
	v_dual_lshlrev_b32 v15, 16, v15 :: v_dual_bitop2_b32 v4, v9, v8 bitop3:0x54
	v_and_b32_e32 v14, 0xffff, v14
	v_dual_lshlrev_b32 v19, 16, v19 :: v_dual_bitop2_b32 v8, v13, v12 bitop3:0x54
	;; [unrolled: 2-line block ×3, first 2 shown]
	v_and_b32_e32 v26, 0xffff, v26
	v_lshlrev_b32_e32 v31, 16, v31
	v_and_b32_e32 v30, 0xffff, v30
	v_lshlrev_b32_e32 v35, 16, v35
	v_and_b32_e32 v34, 0xffff, v34
	v_or_b32_e32 v16, v25, v24
	v_or_b32_e32 v17, v29, v28
	;; [unrolled: 1-line block ×3, first 2 shown]
	v_or3_b32 v0, 0, 0, v0
	v_lshl_add_u32 v21, v76, 8, v83
	v_or3_b32 v3, v7, v6, 0
	v_or3_b32 v2, 0, 0, v2
	v_lshl_add_u32 v38, v74, 8, v83
	v_or3_b32 v5, v11, v10, 0
	;; [unrolled: 3-line block ×4, first 2 shown]
	v_or3_b32 v8, 0, 0, v12
	v_lshl_add_u32 v42, v67, 8, v83
	v_lshl_add_u32 v44, v68, 8, v83
	;; [unrolled: 1-line block ×3, first 2 shown]
	v_or3_b32 v11, v27, v26, 0
	v_or3_b32 v13, v31, v30, 0
	;; [unrolled: 1-line block ×6, first 2 shown]
	ds_store_b64 v20, v[0:1]
	ds_store_b64 v21, v[2:3]
	;; [unrolled: 1-line block ×8, first 2 shown]
	s_wait_dscnt 0x0
	s_barrier_signal -1
	s_barrier_wait -1
	s_cbranch_scc1 .LBB52_6
; %bb.5:
	s_load_b32 s2, s[0:1], 0xd0
	s_wait_kmcnt 0x0
	s_mul_i32 s2, s2, s34
	s_delay_alu instid0(SALU_CYCLE_1)
	s_add_co_i32 s2, s2, s25
	s_load_b32 s2, s[14:15], s2 offset:0x0 scale_offset
.LBB52_6:
	s_wait_xcnt 0x0
	s_clause 0x2
	s_load_b64 s[14:15], s[0:1], 0x8c
	s_load_b128 s[24:27], s[0:1], 0x98
	s_load_b64 s[40:41], s[0:1], 0xa8
	s_mul_i32 s10, s11, s3
	s_ashr_i32 s30, s31, 1
	s_sub_co_i32 s31, s38, s10
	s_mov_b32 s4, s20
	s_ashr_i32 s35, s34, 31
	s_xor_b32 s20, s44, s45
	s_add_co_i32 s29, s11, 1
	s_sub_co_i32 s44, s31, s3
	v_dual_lshlrev_b32 v77, 2, v40 :: v_dual_lshrrev_b32 v33, 3, v40
	v_or_b32_e32 v56, 1, v81
	v_or_b32_e32 v54, 2, v81
	;; [unrolled: 1-line block ×3, first 2 shown]
	s_delay_alu instid0(VALU_DEP_4)
	v_dual_lshrrev_b32 v85, 4, v40 :: v_dual_bitop2_b32 v32, 28, v77 bitop3:0x40
	v_or_b32_e32 v50, 4, v81
	v_or_b32_e32 v48, 5, v81
	s_wait_kmcnt 0x0
	s_ashr_i32 s28, s14, 2
	s_ashr_i32 s10, s26, 2
	s_cmp_ge_u32 s31, s3
	s_mul_u64 s[24:25], s[24:25], s[34:35]
	s_cselect_b32 s11, s29, s11
	s_cselect_b32 s14, s44, s31
	s_add_co_i32 s26, s11, 1
	s_cmp_ge_u32 s14, s3
	s_add_nc_u64 s[6:7], s[6:7], s[24:25]
	s_cselect_b32 s3, s26, s11
	s_bfe_u32 s14, ttmp6, 0x40010
	s_xor_b32 s3, s3, s20
	s_and_b32 s11, ttmp7, 0xffff
	s_add_co_i32 s14, s14, 1
	s_sub_co_i32 s3, s3, s20
	s_bfe_u32 s25, ttmp6, 0x40004
	s_mul_i32 s20, s11, s14
	s_mul_i32 s14, s3, s15
	;; [unrolled: 1-line block ×3, first 2 shown]
	s_add_co_i32 s3, s25, s20
	s_ashr_i32 s15, s14, 31
	s_ashr_i32 s25, s24, 31
	s_cmp_eq_u32 s43, 0
	s_mul_u64 s[38:39], s[40:41], s[34:35]
	s_cselect_b32 s20, s11, s3
	v_or_b32_e32 v46, 6, v81
	v_or_b32_e32 v44, 7, v81
	v_and_b32_e32 v42, 60, v77
	v_mbcnt_lo_u32_b32 v82, -1, 0
	s_add_nc_u64 s[6:7], s[6:7], s[14:15]
	s_sub_co_i32 s3, s2, 64
	s_lshl_b32 s14, s20, 6
	s_add_nc_u64 s[8:9], s[8:9], s[38:39]
	s_cmp_ge_i32 s14, s3
	s_add_nc_u64 s[8:9], s[8:9], s[24:25]
	s_cbranch_scc1 .LBB52_43
; %bb.7:
	v_mov_b32_e32 v35, 0
	v_mul_lo_u32 v41, v36, s30
	v_lshl_add_u32 v102, v84, 10, 0x6400
	s_movk_i32 s11, 0x4000
	s_ashr_i32 s29, s28, 31
	v_mov_b32_e32 v55, v35
	v_or_b32_e32 v105, 0x4000, v83
	v_dual_lshlrev_b32 v60, 2, v32 :: v_dual_add_nc_u32 v106, v102, v22
	v_mbcnt_lo_u32_b32 v107, -1, 0
	s_delay_alu instid0(VALU_DEP_4) | instskip(SKIP_4) | instid1(VALU_DEP_4)
	v_mul_u64_e32 v[2:3], s[4:5], v[54:55]
	v_dual_mov_b32 v57, v35 :: v_dual_lshlrev_b32 v2, 2, v32
	v_dual_mov_b32 v53, v35 :: v_dual_mov_b32 v51, v35
	v_dual_mov_b32 v49, v35 :: v_dual_mov_b32 v47, v35
	v_mov_b32_e32 v45, v35
	v_mul_u64_e32 v[0:1], s[4:5], v[56:57]
	s_delay_alu instid0(VALU_DEP_4)
	v_mul_u64_e32 v[6:7], s[4:5], v[50:51]
	v_mul_u64_e32 v[4:5], s[4:5], v[52:53]
	;; [unrolled: 1-line block ×4, first 2 shown]
	v_lshlrev_b32_e32 v6, 2, v42
	v_mul_u64_e32 v[12:13], s[4:5], v[44:45]
	v_lshl_add_u32 v0, v84, 2, v33
	v_lshl_add_u32 v4, v84, 1, v85
	v_mad_u32_u24 v45, 0x90, v40, s11
	v_dual_mov_b32 v61, v35 :: v_dual_lshlrev_b32 v34, 2, v42
	v_mov_b32_e32 v87, v35
	v_mul_lo_u32 v38, s28, v0
	v_mad_u32_u24 v2, 0x90, v0, v2
	v_lshl_or_b32 v6, v4, 8, v6
	v_mul_lo_u32 v0, s10, v4
	v_dual_mov_b32 v88, v35 :: v_dual_mov_b32 v90, v35
	s_delay_alu instid0(VALU_DEP_4)
	v_add_nc_u32_e32 v49, 0x5200, v2
	v_add_nc_u32_e32 v47, 0x4000, v2
	v_dual_mov_b32 v92, v35 :: v_dual_add_nc_u32 v103, 0x4000, v6
	v_add_nc_u32_e32 v104, 0x5000, v6
	v_lshl_add_u32 v58, s28, 5, v38
	v_dual_mov_b32 v89, v35 :: v_dual_mov_b32 v91, v35
	v_lshl_add_u32 v2, s10, 4, v0
	v_dual_mov_b32 v94, v35 :: v_dual_mov_b32 v93, v35
	v_dual_mov_b32 v96, v35 :: v_dual_add_nc_u32 v3, v54, v3
	v_dual_mov_b32 v95, v35 :: v_dual_add_nc_u32 v1, v56, v1
	v_dual_add_nc_u32 v4, v52, v5 :: v_dual_add_nc_u32 v5, v50, v7
	v_dual_add_nc_u32 v7, v48, v9 :: v_dual_add_nc_u32 v8, v46, v11
	s_delay_alu instid0(VALU_DEP_4) | instskip(NEXT) | instid1(VALU_DEP_3)
	v_dual_add_nc_u32 v9, v44, v13 :: v_dual_lshrrev_b32 v3, s21, v3
	v_dual_lshrrev_b32 v1, s21, v1 :: v_dual_lshrrev_b32 v4, s21, v4
	s_delay_alu instid0(VALU_DEP_3) | instskip(NEXT) | instid1(VALU_DEP_3)
	v_dual_lshrrev_b32 v5, s21, v5 :: v_dual_lshrrev_b32 v7, s21, v7
	v_dual_lshrrev_b32 v8, s21, v8 :: v_dual_lshrrev_b32 v9, s21, v9
	s_delay_alu instid0(VALU_DEP_3)
	v_mul_lo_u32 v1, v1, s22
	v_mul_lo_u32 v3, v3, s22
	;; [unrolled: 1-line block ×7, first 2 shown]
	v_ashrrev_i32_e32 v39, 31, v38
	v_dual_ashrrev_i32 v59, 31, v58 :: v_dual_mov_b32 v97, v35
	v_dual_mov_b32 v16, v35 :: v_dual_sub_nc_u32 v1, v56, v1
	v_dual_sub_nc_u32 v3, v54, v3 :: v_dual_sub_nc_u32 v4, v52, v4
	v_dual_sub_nc_u32 v5, v50, v5 :: v_dual_sub_nc_u32 v7, v48, v7
	;; [unrolled: 1-line block ×3, first 2 shown]
	s_delay_alu instid0(VALU_DEP_4) | instskip(NEXT) | instid1(VALU_DEP_4)
	v_mul_lo_u32 v51, v1, s30
	v_mul_lo_u32 v53, v3, s30
	v_dual_ashrrev_i32 v1, 31, v0 :: v_dual_ashrrev_i32 v3, 31, v2
	v_mov_b32_e32 v118, 0xfeffffff
	v_mul_lo_u32 v55, v4, s30
	v_mul_lo_u32 v57, v5, s30
	;; [unrolled: 1-line block ×5, first 2 shown]
	v_lshlrev_b64_e32 v[62:63], 2, v[0:1]
	v_lshlrev_b64_e32 v[64:65], 2, v[2:3]
	v_dual_mov_b32 v17, v35 :: v_dual_mov_b32 v18, v35
	v_dual_mov_b32 v19, v35 :: v_dual_mov_b32 v20, v35
	;; [unrolled: 1-line block ×9, first 2 shown]
	v_mov_b32_e32 v113, 0xfeffffff
	s_cmp_lg_u64 s[36:37], 0
	s_add_nc_u64 s[24:25], s[0:1], 0xd0
	s_cselect_b32 s26, -1, 0
	s_ashr_i32 s11, s10, 31
.LBB52_8:                               ; =>This Inner Loop Header: Depth=1
	s_ashr_i32 s15, s14, 31
	v_dual_mov_b32 v31, 0 :: v_dual_mov_b32 v28, 0
	s_mul_u64 s[38:39], s[14:15], s[28:29]
	v_dual_mov_b32 v26, 0 :: v_dual_mov_b32 v27, 0
	s_lshl_b64 s[38:39], s[38:39], 2
	v_dual_mov_b32 v30, 0 :: v_dual_mov_b32 v122, 0
	s_add_nc_u64 s[38:39], s[6:7], s[38:39]
	v_dual_mov_b32 v123, 0 :: v_dual_mov_b32 v132, 0
	v_lshl_add_u64 v[0:1], v[38:39], 2, s[38:39]
	v_lshl_add_u64 v[2:3], v[58:59], 2, s[38:39]
	v_dual_mov_b32 v125, 0 :: v_dual_mov_b32 v124, 0
	v_dual_mov_b32 v121, 0 :: v_dual_mov_b32 v29, 0
	s_delay_alu instid0(VALU_DEP_4) | instskip(NEXT) | instid1(VALU_DEP_4)
	v_add_nc_u64_e32 v[0:1], v[0:1], v[60:61]
	v_add_nc_u64_e32 v[2:3], v[2:3], v[60:61]
	s_clause 0x1
	global_load_b128 v[4:7], v[0:1], off
	global_load_b128 v[8:11], v[2:3], off
	v_dual_mov_b32 v120, 0 :: v_dual_mov_b32 v128, 0
	v_dual_mov_b32 v131, 0 :: v_dual_mov_b32 v133, 0
	v_dual_add_nc_u32 v24, s14, v40 :: v_dual_mov_b32 v126, 0
	s_and_not1_b32 vcc_lo, exec_lo, s26
	s_wait_loadcnt 0x1
	ds_store_b128 v47, v[4:7]
	s_wait_loadcnt 0x0
	ds_store_b128 v49, v[8:11]
	s_wait_dscnt 0x0
	s_barrier_signal -1
	s_barrier_wait -1
	ds_load_b128 v[4:7], v45
	ds_load_b128 v[8:11], v37
	ds_load_b128 v[12:15], v37 offset:256
	ds_load_b128 v[134:137], v37 offset:512
	;; [unrolled: 1-line block ×8, first 2 shown]
	v_add_nc_u32_e32 v25, v24, v41
	s_wait_dscnt 0x8
	;;#ASMSTART
	v_dot2_f32_f16 v31, v4, v8, v31
	;;#ASMEND
	;;#ASMSTART
	v_dot2_f32_f16 v31, v5, v9, v31
	;;#ASMEND
	;;#ASMSTART
	v_dot2_f32_f16 v31, v6, v10, v31
	;;#ASMEND
	;;#ASMSTART
	v_dot2_f32_f16 v31, v7, v11, v31
	;;#ASMEND
	s_wait_dscnt 0x7
	;;#ASMSTART
	v_dot2_f32_f16 v28, v4, v12, v28
	;;#ASMEND
	;;#ASMSTART
	v_dot2_f32_f16 v28, v5, v13, v28
	;;#ASMEND
	;;#ASMSTART
	v_dot2_f32_f16 v28, v6, v14, v28
	;;#ASMEND
	;;#ASMSTART
	v_dot2_f32_f16 v28, v7, v15, v28
	;;#ASMEND
	;; [unrolled: 13-line block ×8, first 2 shown]
	;;#ASMSTART
	v_dot2_f32_f16 v125, v142, v8, v125
	;;#ASMEND
	;;#ASMSTART
	v_dot2_f32_f16 v125, v143, v9, v125
	;;#ASMEND
	;;#ASMSTART
	v_dot2_f32_f16 v125, v144, v10, v125
	;;#ASMEND
	;;#ASMSTART
	v_dot2_f32_f16 v125, v145, v11, v125
	;;#ASMEND
	;;#ASMSTART
	v_dot2_f32_f16 v124, v142, v12, v124
	;;#ASMEND
	;;#ASMSTART
	v_dot2_f32_f16 v124, v143, v13, v124
	;;#ASMEND
	;;#ASMSTART
	v_dot2_f32_f16 v124, v144, v14, v124
	;;#ASMEND
	;;#ASMSTART
	v_dot2_f32_f16 v124, v145, v15, v124
	;;#ASMEND
	;;#ASMSTART
	v_dot2_f32_f16 v121, v142, v134, v121
	;;#ASMEND
	;;#ASMSTART
	v_dot2_f32_f16 v121, v143, v135, v121
	;;#ASMEND
	;;#ASMSTART
	v_dot2_f32_f16 v121, v144, v136, v121
	;;#ASMEND
	;;#ASMSTART
	v_dot2_f32_f16 v121, v145, v137, v121
	;;#ASMEND
	;;#ASMSTART
	v_dot2_f32_f16 v29, v142, v138, v29
	;;#ASMEND
	;;#ASMSTART
	v_dot2_f32_f16 v29, v143, v139, v29
	;;#ASMEND
	;;#ASMSTART
	v_dot2_f32_f16 v29, v144, v140, v29
	;;#ASMEND
	;;#ASMSTART
	v_dot2_f32_f16 v29, v145, v141, v29
	;;#ASMEND
	;;#ASMSTART
	v_dot2_f32_f16 v120, v142, v146, v120
	;;#ASMEND
	;;#ASMSTART
	v_dot2_f32_f16 v120, v143, v147, v120
	;;#ASMEND
	;;#ASMSTART
	v_dot2_f32_f16 v120, v144, v148, v120
	;;#ASMEND
	;;#ASMSTART
	v_dot2_f32_f16 v120, v145, v149, v120
	;;#ASMEND
	;;#ASMSTART
	v_dot2_f32_f16 v128, v142, v150, v128
	;;#ASMEND
	;;#ASMSTART
	v_dot2_f32_f16 v128, v143, v151, v128
	;;#ASMEND
	;;#ASMSTART
	v_dot2_f32_f16 v128, v144, v152, v128
	;;#ASMEND
	;;#ASMSTART
	v_dot2_f32_f16 v128, v145, v153, v128
	;;#ASMEND
	;;#ASMSTART
	v_dot2_f32_f16 v131, v142, v154, v131
	;;#ASMEND
	;;#ASMSTART
	v_dot2_f32_f16 v131, v143, v155, v131
	;;#ASMEND
	;;#ASMSTART
	v_dot2_f32_f16 v131, v144, v156, v131
	;;#ASMEND
	;;#ASMSTART
	v_dot2_f32_f16 v131, v145, v157, v131
	;;#ASMEND
	;;#ASMSTART
	v_dot2_f32_f16 v133, v142, v158, v133
	;;#ASMEND
	;;#ASMSTART
	v_dot2_f32_f16 v133, v143, v159, v133
	;;#ASMEND
	;;#ASMSTART
	v_dot2_f32_f16 v133, v144, v160, v133
	;;#ASMEND
	;;#ASMSTART
	v_dot2_f32_f16 v133, v145, v161, v133
	;;#ASMEND
	ds_load_b128 v[4:7], v45 offset:16
	ds_load_b128 v[8:11], v37 offset:16
	;; [unrolled: 1-line block ×10, first 2 shown]
	s_wait_dscnt 0x8
	;;#ASMSTART
	v_dot2_f32_f16 v31, v4, v8, v31
	;;#ASMEND
	;;#ASMSTART
	v_dot2_f32_f16 v31, v5, v9, v31
	;;#ASMEND
	;;#ASMSTART
	v_dot2_f32_f16 v31, v6, v10, v31
	;;#ASMEND
	;;#ASMSTART
	v_dot2_f32_f16 v31, v7, v11, v31
	;;#ASMEND
	s_wait_dscnt 0x7
	;;#ASMSTART
	v_dot2_f32_f16 v28, v4, v12, v28
	;;#ASMEND
	;;#ASMSTART
	v_dot2_f32_f16 v28, v5, v13, v28
	;;#ASMEND
	;;#ASMSTART
	v_dot2_f32_f16 v28, v6, v14, v28
	;;#ASMEND
	;;#ASMSTART
	v_dot2_f32_f16 v28, v7, v15, v28
	;;#ASMEND
	;; [unrolled: 13-line block ×8, first 2 shown]
	;;#ASMSTART
	v_dot2_f32_f16 v125, v142, v8, v125
	;;#ASMEND
	;;#ASMSTART
	v_dot2_f32_f16 v125, v143, v9, v125
	;;#ASMEND
	;; [unrolled: 3-line block ×32, first 2 shown]
	ds_load_b128 v[4:7], v45 offset:32
	ds_load_b128 v[8:11], v37 offset:32
	;; [unrolled: 1-line block ×10, first 2 shown]
	s_wait_dscnt 0x8
	;;#ASMSTART
	v_dot2_f32_f16 v31, v4, v8, v31
	;;#ASMEND
	;;#ASMSTART
	v_dot2_f32_f16 v31, v5, v9, v31
	;;#ASMEND
	;;#ASMSTART
	v_dot2_f32_f16 v31, v6, v10, v31
	;;#ASMEND
	;;#ASMSTART
	v_dot2_f32_f16 v31, v7, v11, v31
	;;#ASMEND
	s_wait_dscnt 0x7
	;;#ASMSTART
	v_dot2_f32_f16 v28, v4, v12, v28
	;;#ASMEND
	;;#ASMSTART
	v_dot2_f32_f16 v28, v5, v13, v28
	;;#ASMEND
	;;#ASMSTART
	v_dot2_f32_f16 v28, v6, v14, v28
	;;#ASMEND
	;;#ASMSTART
	v_dot2_f32_f16 v28, v7, v15, v28
	;;#ASMEND
	;; [unrolled: 13-line block ×8, first 2 shown]
	;;#ASMSTART
	v_dot2_f32_f16 v125, v142, v8, v125
	;;#ASMEND
	;;#ASMSTART
	v_dot2_f32_f16 v125, v143, v9, v125
	;;#ASMEND
	;; [unrolled: 3-line block ×32, first 2 shown]
	ds_load_b128 v[4:7], v45 offset:48
	ds_load_b128 v[8:11], v37 offset:48
	;; [unrolled: 1-line block ×10, first 2 shown]
	s_wait_dscnt 0x8
	;;#ASMSTART
	v_dot2_f32_f16 v31, v4, v8, v31
	;;#ASMEND
	;;#ASMSTART
	v_dot2_f32_f16 v31, v5, v9, v31
	;;#ASMEND
	;;#ASMSTART
	v_dot2_f32_f16 v31, v6, v10, v31
	;;#ASMEND
	;;#ASMSTART
	v_dot2_f32_f16 v31, v7, v11, v31
	;;#ASMEND
	s_wait_dscnt 0x7
	;;#ASMSTART
	v_dot2_f32_f16 v28, v4, v12, v28
	;;#ASMEND
	;;#ASMSTART
	v_dot2_f32_f16 v28, v5, v13, v28
	;;#ASMEND
	;;#ASMSTART
	v_dot2_f32_f16 v28, v6, v14, v28
	;;#ASMEND
	;;#ASMSTART
	v_dot2_f32_f16 v28, v7, v15, v28
	;;#ASMEND
	;; [unrolled: 13-line block ×8, first 2 shown]
	;;#ASMSTART
	v_dot2_f32_f16 v125, v142, v8, v125
	;;#ASMEND
	;;#ASMSTART
	v_dot2_f32_f16 v125, v143, v9, v125
	;;#ASMEND
	;; [unrolled: 3-line block ×32, first 2 shown]
	ds_load_b128 v[4:7], v45 offset:64
	ds_load_b128 v[8:11], v37 offset:64
	;; [unrolled: 1-line block ×10, first 2 shown]
	s_wait_dscnt 0x8
	;;#ASMSTART
	v_dot2_f32_f16 v31, v4, v8, v31
	;;#ASMEND
	;;#ASMSTART
	v_dot2_f32_f16 v31, v5, v9, v31
	;;#ASMEND
	;;#ASMSTART
	v_dot2_f32_f16 v31, v6, v10, v31
	;;#ASMEND
	;;#ASMSTART
	v_dot2_f32_f16 v31, v7, v11, v31
	;;#ASMEND
	s_wait_dscnt 0x7
	;;#ASMSTART
	v_dot2_f32_f16 v28, v4, v12, v28
	;;#ASMEND
	;;#ASMSTART
	v_dot2_f32_f16 v28, v5, v13, v28
	;;#ASMEND
	;;#ASMSTART
	v_dot2_f32_f16 v28, v6, v14, v28
	;;#ASMEND
	;;#ASMSTART
	v_dot2_f32_f16 v28, v7, v15, v28
	;;#ASMEND
	;; [unrolled: 13-line block ×8, first 2 shown]
	;;#ASMSTART
	v_dot2_f32_f16 v125, v142, v8, v125
	;;#ASMEND
	;;#ASMSTART
	v_dot2_f32_f16 v125, v143, v9, v125
	;;#ASMEND
	;; [unrolled: 3-line block ×32, first 2 shown]
	ds_load_b128 v[4:7], v45 offset:80
	ds_load_b128 v[8:11], v37 offset:80
	;; [unrolled: 1-line block ×10, first 2 shown]
	s_wait_dscnt 0x8
	;;#ASMSTART
	v_dot2_f32_f16 v31, v4, v8, v31
	;;#ASMEND
	;;#ASMSTART
	v_dot2_f32_f16 v31, v5, v9, v31
	;;#ASMEND
	;;#ASMSTART
	v_dot2_f32_f16 v31, v6, v10, v31
	;;#ASMEND
	;;#ASMSTART
	v_dot2_f32_f16 v31, v7, v11, v31
	;;#ASMEND
	s_wait_dscnt 0x7
	;;#ASMSTART
	v_dot2_f32_f16 v28, v4, v12, v28
	;;#ASMEND
	;;#ASMSTART
	v_dot2_f32_f16 v28, v5, v13, v28
	;;#ASMEND
	;;#ASMSTART
	v_dot2_f32_f16 v28, v6, v14, v28
	;;#ASMEND
	;;#ASMSTART
	v_dot2_f32_f16 v28, v7, v15, v28
	;;#ASMEND
	;; [unrolled: 13-line block ×8, first 2 shown]
	;;#ASMSTART
	v_dot2_f32_f16 v125, v142, v8, v125
	;;#ASMEND
	;;#ASMSTART
	v_dot2_f32_f16 v125, v143, v9, v125
	;;#ASMEND
	;; [unrolled: 3-line block ×32, first 2 shown]
	ds_load_b128 v[4:7], v45 offset:96
	ds_load_b128 v[8:11], v37 offset:96
	;; [unrolled: 1-line block ×10, first 2 shown]
	s_wait_dscnt 0x8
	;;#ASMSTART
	v_dot2_f32_f16 v31, v4, v8, v31
	;;#ASMEND
	;;#ASMSTART
	v_dot2_f32_f16 v31, v5, v9, v31
	;;#ASMEND
	;;#ASMSTART
	v_dot2_f32_f16 v31, v6, v10, v31
	;;#ASMEND
	;;#ASMSTART
	v_dot2_f32_f16 v31, v7, v11, v31
	;;#ASMEND
	s_wait_dscnt 0x7
	;;#ASMSTART
	v_dot2_f32_f16 v28, v4, v12, v28
	;;#ASMEND
	;;#ASMSTART
	v_dot2_f32_f16 v28, v5, v13, v28
	;;#ASMEND
	;;#ASMSTART
	v_dot2_f32_f16 v28, v6, v14, v28
	;;#ASMEND
	;;#ASMSTART
	v_dot2_f32_f16 v28, v7, v15, v28
	;;#ASMEND
	;; [unrolled: 13-line block ×8, first 2 shown]
	;;#ASMSTART
	v_dot2_f32_f16 v125, v142, v8, v125
	;;#ASMEND
	;;#ASMSTART
	v_dot2_f32_f16 v125, v143, v9, v125
	;;#ASMEND
	;; [unrolled: 3-line block ×32, first 2 shown]
	ds_load_b128 v[4:7], v45 offset:112
	ds_load_b128 v[8:11], v37 offset:112
	;; [unrolled: 1-line block ×10, first 2 shown]
	s_wait_dscnt 0x8
	;;#ASMSTART
	v_dot2_f32_f16 v31, v4, v8, v31
	;;#ASMEND
	;;#ASMSTART
	v_dot2_f32_f16 v31, v5, v9, v31
	;;#ASMEND
	;;#ASMSTART
	v_dot2_f32_f16 v31, v6, v10, v31
	;;#ASMEND
	;;#ASMSTART
	v_dot2_f32_f16 v31, v7, v11, v31
	;;#ASMEND
	s_wait_dscnt 0x7
	;;#ASMSTART
	v_dot2_f32_f16 v28, v4, v12, v28
	;;#ASMEND
	;;#ASMSTART
	v_dot2_f32_f16 v28, v5, v13, v28
	;;#ASMEND
	;;#ASMSTART
	v_dot2_f32_f16 v28, v6, v14, v28
	;;#ASMEND
	;;#ASMSTART
	v_dot2_f32_f16 v28, v7, v15, v28
	;;#ASMEND
	;; [unrolled: 13-line block ×8, first 2 shown]
	;;#ASMSTART
	v_dot2_f32_f16 v125, v142, v8, v125
	;;#ASMEND
	;;#ASMSTART
	v_dot2_f32_f16 v125, v143, v9, v125
	;;#ASMEND
	;; [unrolled: 3-line block ×32, first 2 shown]
	s_barrier_signal -1
	s_barrier_wait -1
	s_clause 0x1
	global_load_b128 v[4:7], v[0:1], off offset:128
	global_load_b128 v[8:11], v[2:3], off offset:128
	s_wait_loadcnt 0x1
	ds_store_b128 v47, v[4:7]
	s_wait_loadcnt 0x0
	ds_store_b128 v49, v[8:11]
	s_wait_dscnt 0x0
	s_barrier_signal -1
	s_barrier_wait -1
	ds_load_b128 v[0:3], v45
	ds_load_b128 v[4:7], v37 offset:128
	ds_load_b128 v[8:11], v37 offset:384
	;; [unrolled: 1-line block ×9, first 2 shown]
	s_wait_dscnt 0x8
	;;#ASMSTART
	v_dot2_f32_f16 v31, v0, v4, v31
	;;#ASMEND
	;;#ASMSTART
	v_dot2_f32_f16 v31, v1, v5, v31
	;;#ASMEND
	;;#ASMSTART
	v_dot2_f32_f16 v31, v2, v6, v31
	;;#ASMEND
	;;#ASMSTART
	v_dot2_f32_f16 v31, v3, v7, v31
	;;#ASMEND
	s_wait_dscnt 0x7
	;;#ASMSTART
	v_dot2_f32_f16 v28, v0, v8, v28
	;;#ASMEND
	;;#ASMSTART
	v_dot2_f32_f16 v28, v1, v9, v28
	;;#ASMEND
	;;#ASMSTART
	v_dot2_f32_f16 v28, v2, v10, v28
	;;#ASMEND
	;;#ASMSTART
	v_dot2_f32_f16 v28, v3, v11, v28
	;;#ASMEND
	s_wait_dscnt 0x6
	;;#ASMSTART
	v_dot2_f32_f16 v26, v0, v12, v26
	;;#ASMEND
	;;#ASMSTART
	v_dot2_f32_f16 v26, v1, v13, v26
	;;#ASMEND
	;;#ASMSTART
	v_dot2_f32_f16 v26, v2, v14, v26
	;;#ASMEND
	;;#ASMSTART
	v_dot2_f32_f16 v26, v3, v15, v26
	;;#ASMEND
	s_wait_dscnt 0x5
	;;#ASMSTART
	v_dot2_f32_f16 v27, v0, v134, v27
	;;#ASMEND
	;;#ASMSTART
	v_dot2_f32_f16 v27, v1, v135, v27
	;;#ASMEND
	;;#ASMSTART
	v_dot2_f32_f16 v27, v2, v136, v27
	;;#ASMEND
	;;#ASMSTART
	v_dot2_f32_f16 v27, v3, v137, v27
	;;#ASMEND
	s_wait_dscnt 0x3
	;;#ASMSTART
	v_dot2_f32_f16 v30, v0, v142, v30
	;;#ASMEND
	;;#ASMSTART
	v_dot2_f32_f16 v30, v1, v143, v30
	;;#ASMEND
	;;#ASMSTART
	v_dot2_f32_f16 v30, v2, v144, v30
	;;#ASMEND
	;;#ASMSTART
	v_dot2_f32_f16 v30, v3, v145, v30
	;;#ASMEND
	s_wait_dscnt 0x2
	;;#ASMSTART
	v_dot2_f32_f16 v122, v0, v146, v122
	;;#ASMEND
	;;#ASMSTART
	v_dot2_f32_f16 v122, v1, v147, v122
	;;#ASMEND
	;;#ASMSTART
	v_dot2_f32_f16 v122, v2, v148, v122
	;;#ASMEND
	;;#ASMSTART
	v_dot2_f32_f16 v122, v3, v149, v122
	;;#ASMEND
	s_wait_dscnt 0x1
	;;#ASMSTART
	v_dot2_f32_f16 v123, v0, v150, v123
	;;#ASMEND
	;;#ASMSTART
	v_dot2_f32_f16 v123, v1, v151, v123
	;;#ASMEND
	;;#ASMSTART
	v_dot2_f32_f16 v123, v2, v152, v123
	;;#ASMEND
	;;#ASMSTART
	v_dot2_f32_f16 v123, v3, v153, v123
	;;#ASMEND
	s_wait_dscnt 0x0
	;;#ASMSTART
	v_dot2_f32_f16 v132, v0, v154, v132
	;;#ASMEND
	;;#ASMSTART
	v_dot2_f32_f16 v132, v1, v155, v132
	;;#ASMEND
	;;#ASMSTART
	v_dot2_f32_f16 v132, v2, v156, v132
	;;#ASMEND
	;;#ASMSTART
	v_dot2_f32_f16 v132, v3, v157, v132
	;;#ASMEND
	;;#ASMSTART
	v_dot2_f32_f16 v125, v138, v4, v125
	;;#ASMEND
	;;#ASMSTART
	v_dot2_f32_f16 v125, v139, v5, v125
	;;#ASMEND
	;;#ASMSTART
	v_dot2_f32_f16 v125, v140, v6, v125
	;;#ASMEND
	;;#ASMSTART
	v_dot2_f32_f16 v125, v141, v7, v125
	;;#ASMEND
	;;#ASMSTART
	v_dot2_f32_f16 v124, v138, v8, v124
	;;#ASMEND
	;;#ASMSTART
	v_dot2_f32_f16 v124, v139, v9, v124
	;;#ASMEND
	;;#ASMSTART
	v_dot2_f32_f16 v124, v140, v10, v124
	;;#ASMEND
	;;#ASMSTART
	v_dot2_f32_f16 v124, v141, v11, v124
	;;#ASMEND
	;;#ASMSTART
	v_dot2_f32_f16 v121, v138, v12, v121
	;;#ASMEND
	;;#ASMSTART
	v_dot2_f32_f16 v121, v139, v13, v121
	;;#ASMEND
	;;#ASMSTART
	v_dot2_f32_f16 v121, v140, v14, v121
	;;#ASMEND
	;;#ASMSTART
	v_dot2_f32_f16 v121, v141, v15, v121
	;;#ASMEND
	;;#ASMSTART
	v_dot2_f32_f16 v29, v138, v134, v29
	;;#ASMEND
	;;#ASMSTART
	v_dot2_f32_f16 v29, v139, v135, v29
	;;#ASMEND
	;;#ASMSTART
	v_dot2_f32_f16 v29, v140, v136, v29
	;;#ASMEND
	;;#ASMSTART
	v_dot2_f32_f16 v29, v141, v137, v29
	;;#ASMEND
	;;#ASMSTART
	v_dot2_f32_f16 v120, v138, v142, v120
	;;#ASMEND
	;;#ASMSTART
	v_dot2_f32_f16 v120, v139, v143, v120
	;;#ASMEND
	;;#ASMSTART
	v_dot2_f32_f16 v120, v140, v144, v120
	;;#ASMEND
	;;#ASMSTART
	v_dot2_f32_f16 v120, v141, v145, v120
	;;#ASMEND
	;;#ASMSTART
	v_dot2_f32_f16 v128, v138, v146, v128
	;;#ASMEND
	;;#ASMSTART
	v_dot2_f32_f16 v128, v139, v147, v128
	;;#ASMEND
	;;#ASMSTART
	v_dot2_f32_f16 v128, v140, v148, v128
	;;#ASMEND
	;;#ASMSTART
	v_dot2_f32_f16 v128, v141, v149, v128
	;;#ASMEND
	;;#ASMSTART
	v_dot2_f32_f16 v131, v138, v150, v131
	;;#ASMEND
	;;#ASMSTART
	v_dot2_f32_f16 v131, v139, v151, v131
	;;#ASMEND
	;;#ASMSTART
	v_dot2_f32_f16 v131, v140, v152, v131
	;;#ASMEND
	;;#ASMSTART
	v_dot2_f32_f16 v131, v141, v153, v131
	;;#ASMEND
	;;#ASMSTART
	v_dot2_f32_f16 v133, v138, v154, v133
	;;#ASMEND
	;;#ASMSTART
	v_dot2_f32_f16 v133, v139, v155, v133
	;;#ASMEND
	;;#ASMSTART
	v_dot2_f32_f16 v133, v140, v156, v133
	;;#ASMEND
	;;#ASMSTART
	v_dot2_f32_f16 v133, v141, v157, v133
	;;#ASMEND
	ds_load_b128 v[0:3], v45 offset:16
	ds_load_b128 v[4:7], v37 offset:144
	;; [unrolled: 1-line block ×10, first 2 shown]
	s_wait_dscnt 0x8
	;;#ASMSTART
	v_dot2_f32_f16 v31, v0, v4, v31
	;;#ASMEND
	;;#ASMSTART
	v_dot2_f32_f16 v31, v1, v5, v31
	;;#ASMEND
	;;#ASMSTART
	v_dot2_f32_f16 v31, v2, v6, v31
	;;#ASMEND
	;;#ASMSTART
	v_dot2_f32_f16 v31, v3, v7, v31
	;;#ASMEND
	s_wait_dscnt 0x7
	;;#ASMSTART
	v_dot2_f32_f16 v28, v0, v8, v28
	;;#ASMEND
	;;#ASMSTART
	v_dot2_f32_f16 v28, v1, v9, v28
	;;#ASMEND
	;;#ASMSTART
	v_dot2_f32_f16 v28, v2, v10, v28
	;;#ASMEND
	;;#ASMSTART
	v_dot2_f32_f16 v28, v3, v11, v28
	;;#ASMEND
	;; [unrolled: 13-line block ×8, first 2 shown]
	;;#ASMSTART
	v_dot2_f32_f16 v125, v138, v4, v125
	;;#ASMEND
	;;#ASMSTART
	v_dot2_f32_f16 v125, v139, v5, v125
	;;#ASMEND
	;; [unrolled: 3-line block ×32, first 2 shown]
	ds_load_b128 v[0:3], v45 offset:32
	ds_load_b128 v[4:7], v37 offset:160
	;; [unrolled: 1-line block ×10, first 2 shown]
	s_wait_dscnt 0x8
	;;#ASMSTART
	v_dot2_f32_f16 v31, v0, v4, v31
	;;#ASMEND
	;;#ASMSTART
	v_dot2_f32_f16 v31, v1, v5, v31
	;;#ASMEND
	;;#ASMSTART
	v_dot2_f32_f16 v31, v2, v6, v31
	;;#ASMEND
	;;#ASMSTART
	v_dot2_f32_f16 v31, v3, v7, v31
	;;#ASMEND
	s_wait_dscnt 0x7
	;;#ASMSTART
	v_dot2_f32_f16 v28, v0, v8, v28
	;;#ASMEND
	;;#ASMSTART
	v_dot2_f32_f16 v28, v1, v9, v28
	;;#ASMEND
	;;#ASMSTART
	v_dot2_f32_f16 v28, v2, v10, v28
	;;#ASMEND
	;;#ASMSTART
	v_dot2_f32_f16 v28, v3, v11, v28
	;;#ASMEND
	;; [unrolled: 13-line block ×8, first 2 shown]
	;;#ASMSTART
	v_dot2_f32_f16 v125, v138, v4, v125
	;;#ASMEND
	;;#ASMSTART
	v_dot2_f32_f16 v125, v139, v5, v125
	;;#ASMEND
	;; [unrolled: 3-line block ×32, first 2 shown]
	ds_load_b128 v[0:3], v45 offset:48
	ds_load_b128 v[4:7], v37 offset:176
	;; [unrolled: 1-line block ×10, first 2 shown]
	s_wait_dscnt 0x8
	;;#ASMSTART
	v_dot2_f32_f16 v31, v0, v4, v31
	;;#ASMEND
	;;#ASMSTART
	v_dot2_f32_f16 v31, v1, v5, v31
	;;#ASMEND
	;;#ASMSTART
	v_dot2_f32_f16 v31, v2, v6, v31
	;;#ASMEND
	;;#ASMSTART
	v_dot2_f32_f16 v31, v3, v7, v31
	;;#ASMEND
	s_wait_dscnt 0x7
	;;#ASMSTART
	v_dot2_f32_f16 v28, v0, v8, v28
	;;#ASMEND
	;;#ASMSTART
	v_dot2_f32_f16 v28, v1, v9, v28
	;;#ASMEND
	;;#ASMSTART
	v_dot2_f32_f16 v28, v2, v10, v28
	;;#ASMEND
	;;#ASMSTART
	v_dot2_f32_f16 v28, v3, v11, v28
	;;#ASMEND
	;; [unrolled: 13-line block ×8, first 2 shown]
	;;#ASMSTART
	v_dot2_f32_f16 v125, v138, v4, v125
	;;#ASMEND
	;;#ASMSTART
	v_dot2_f32_f16 v125, v139, v5, v125
	;;#ASMEND
	;; [unrolled: 3-line block ×32, first 2 shown]
	ds_load_b128 v[0:3], v45 offset:64
	ds_load_b128 v[4:7], v37 offset:192
	;; [unrolled: 1-line block ×10, first 2 shown]
	s_wait_dscnt 0x8
	;;#ASMSTART
	v_dot2_f32_f16 v31, v0, v4, v31
	;;#ASMEND
	;;#ASMSTART
	v_dot2_f32_f16 v31, v1, v5, v31
	;;#ASMEND
	;;#ASMSTART
	v_dot2_f32_f16 v31, v2, v6, v31
	;;#ASMEND
	;;#ASMSTART
	v_dot2_f32_f16 v31, v3, v7, v31
	;;#ASMEND
	s_wait_dscnt 0x7
	;;#ASMSTART
	v_dot2_f32_f16 v28, v0, v8, v28
	;;#ASMEND
	;;#ASMSTART
	v_dot2_f32_f16 v28, v1, v9, v28
	;;#ASMEND
	;;#ASMSTART
	v_dot2_f32_f16 v28, v2, v10, v28
	;;#ASMEND
	;;#ASMSTART
	v_dot2_f32_f16 v28, v3, v11, v28
	;;#ASMEND
	;; [unrolled: 13-line block ×8, first 2 shown]
	;;#ASMSTART
	v_dot2_f32_f16 v125, v138, v4, v125
	;;#ASMEND
	;;#ASMSTART
	v_dot2_f32_f16 v125, v139, v5, v125
	;;#ASMEND
	;; [unrolled: 3-line block ×32, first 2 shown]
	ds_load_b128 v[0:3], v45 offset:80
	ds_load_b128 v[4:7], v37 offset:208
	;; [unrolled: 1-line block ×10, first 2 shown]
	s_wait_dscnt 0x8
	;;#ASMSTART
	v_dot2_f32_f16 v31, v0, v4, v31
	;;#ASMEND
	;;#ASMSTART
	v_dot2_f32_f16 v31, v1, v5, v31
	;;#ASMEND
	;;#ASMSTART
	v_dot2_f32_f16 v31, v2, v6, v31
	;;#ASMEND
	;;#ASMSTART
	v_dot2_f32_f16 v31, v3, v7, v31
	;;#ASMEND
	s_wait_dscnt 0x7
	;;#ASMSTART
	v_dot2_f32_f16 v28, v0, v8, v28
	;;#ASMEND
	;;#ASMSTART
	v_dot2_f32_f16 v28, v1, v9, v28
	;;#ASMEND
	;;#ASMSTART
	v_dot2_f32_f16 v28, v2, v10, v28
	;;#ASMEND
	;;#ASMSTART
	v_dot2_f32_f16 v28, v3, v11, v28
	;;#ASMEND
	;; [unrolled: 13-line block ×8, first 2 shown]
	;;#ASMSTART
	v_dot2_f32_f16 v125, v138, v4, v125
	;;#ASMEND
	;;#ASMSTART
	v_dot2_f32_f16 v125, v139, v5, v125
	;;#ASMEND
	;; [unrolled: 3-line block ×32, first 2 shown]
	ds_load_b128 v[0:3], v45 offset:96
	ds_load_b128 v[4:7], v37 offset:224
	;; [unrolled: 1-line block ×10, first 2 shown]
	s_wait_dscnt 0x8
	;;#ASMSTART
	v_dot2_f32_f16 v31, v0, v4, v31
	;;#ASMEND
	;;#ASMSTART
	v_dot2_f32_f16 v31, v1, v5, v31
	;;#ASMEND
	;;#ASMSTART
	v_dot2_f32_f16 v31, v2, v6, v31
	;;#ASMEND
	;;#ASMSTART
	v_dot2_f32_f16 v31, v3, v7, v31
	;;#ASMEND
	s_wait_dscnt 0x7
	;;#ASMSTART
	v_dot2_f32_f16 v28, v0, v8, v28
	;;#ASMEND
	;;#ASMSTART
	v_dot2_f32_f16 v28, v1, v9, v28
	;;#ASMEND
	;;#ASMSTART
	v_dot2_f32_f16 v28, v2, v10, v28
	;;#ASMEND
	;;#ASMSTART
	v_dot2_f32_f16 v28, v3, v11, v28
	;;#ASMEND
	s_wait_dscnt 0x6
	;;#ASMSTART
	v_dot2_f32_f16 v26, v0, v12, v26
	;;#ASMEND
	;;#ASMSTART
	v_dot2_f32_f16 v26, v1, v13, v26
	;;#ASMEND
	;;#ASMSTART
	v_dot2_f32_f16 v26, v2, v14, v26
	;;#ASMEND
	;;#ASMSTART
	v_dot2_f32_f16 v26, v3, v15, v26
	;;#ASMEND
	s_wait_dscnt 0x5
	;;#ASMSTART
	v_dot2_f32_f16 v27, v0, v134, v27
	;;#ASMEND
	;;#ASMSTART
	v_dot2_f32_f16 v27, v1, v135, v27
	;;#ASMEND
	;;#ASMSTART
	v_dot2_f32_f16 v27, v2, v136, v27
	;;#ASMEND
	;;#ASMSTART
	v_dot2_f32_f16 v27, v3, v137, v27
	;;#ASMEND
	s_wait_dscnt 0x3
	;;#ASMSTART
	v_dot2_f32_f16 v30, v0, v142, v30
	;;#ASMEND
	;;#ASMSTART
	v_dot2_f32_f16 v30, v1, v143, v30
	;;#ASMEND
	;;#ASMSTART
	v_dot2_f32_f16 v30, v2, v144, v30
	;;#ASMEND
	;;#ASMSTART
	v_dot2_f32_f16 v30, v3, v145, v30
	;;#ASMEND
	s_wait_dscnt 0x2
	;;#ASMSTART
	v_dot2_f32_f16 v122, v0, v146, v122
	;;#ASMEND
	;;#ASMSTART
	v_dot2_f32_f16 v122, v1, v147, v122
	;;#ASMEND
	;;#ASMSTART
	v_dot2_f32_f16 v122, v2, v148, v122
	;;#ASMEND
	;;#ASMSTART
	v_dot2_f32_f16 v122, v3, v149, v122
	;;#ASMEND
	s_wait_dscnt 0x1
	;;#ASMSTART
	v_dot2_f32_f16 v123, v0, v150, v123
	;;#ASMEND
	;;#ASMSTART
	v_dot2_f32_f16 v123, v1, v151, v123
	;;#ASMEND
	;;#ASMSTART
	v_dot2_f32_f16 v123, v2, v152, v123
	;;#ASMEND
	;;#ASMSTART
	v_dot2_f32_f16 v123, v3, v153, v123
	;;#ASMEND
	s_wait_dscnt 0x0
	;;#ASMSTART
	v_dot2_f32_f16 v132, v0, v154, v132
	;;#ASMEND
	;;#ASMSTART
	v_dot2_f32_f16 v132, v1, v155, v132
	;;#ASMEND
	;;#ASMSTART
	v_dot2_f32_f16 v132, v2, v156, v132
	;;#ASMEND
	;;#ASMSTART
	v_dot2_f32_f16 v132, v3, v157, v132
	;;#ASMEND
	;;#ASMSTART
	v_dot2_f32_f16 v125, v138, v4, v125
	;;#ASMEND
	;;#ASMSTART
	v_dot2_f32_f16 v125, v139, v5, v125
	;;#ASMEND
	;; [unrolled: 3-line block ×32, first 2 shown]
	ds_load_b128 v[0:3], v45 offset:112
	ds_load_b128 v[4:7], v37 offset:240
	;; [unrolled: 1-line block ×10, first 2 shown]
	s_wait_dscnt 0x8
	;;#ASMSTART
	v_dot2_f32_f16 v31, v0, v4, v31
	;;#ASMEND
	;;#ASMSTART
	v_dot2_f32_f16 v31, v1, v5, v31
	;;#ASMEND
	;;#ASMSTART
	v_dot2_f32_f16 v31, v2, v6, v31
	;;#ASMEND
	;;#ASMSTART
	v_dot2_f32_f16 v31, v3, v7, v31
	;;#ASMEND
	s_wait_dscnt 0x7
	;;#ASMSTART
	v_dot2_f32_f16 v28, v0, v8, v28
	;;#ASMEND
	;;#ASMSTART
	v_dot2_f32_f16 v28, v1, v9, v28
	;;#ASMEND
	;;#ASMSTART
	v_dot2_f32_f16 v28, v2, v10, v28
	;;#ASMEND
	;;#ASMSTART
	v_dot2_f32_f16 v28, v3, v11, v28
	;;#ASMEND
	;; [unrolled: 13-line block ×8, first 2 shown]
	;;#ASMSTART
	v_dot2_f32_f16 v125, v138, v4, v125
	;;#ASMEND
	;;#ASMSTART
	v_dot2_f32_f16 v125, v139, v5, v125
	;;#ASMEND
	;; [unrolled: 3-line block ×32, first 2 shown]
	s_cbranch_vccnz .LBB52_10
; %bb.9:                                ;   in Loop: Header=BB52_8 Depth=1
	global_load_u16 v0, v25, s[36:37] scale_offset
	s_wait_loadcnt 0x0
	v_cvt_f32_f16_e32 v0, v0
	s_delay_alu instid0(VALU_DEP_1)
	v_mul_f32_e32 v126, v86, v0
.LBB52_10:                              ;   in Loop: Header=BB52_8 Depth=1
	v_dual_mov_b32 v3, 0 :: v_dual_mov_b32 v1, 0
	s_and_not1_b32 vcc_lo, exec_lo, s26
	s_cbranch_vccnz .LBB52_12
; %bb.11:                               ;   in Loop: Header=BB52_8 Depth=1
	global_load_u16 v0, v25, s[36:37] offset:64 scale_offset
	s_wait_loadcnt 0x0
	v_cvt_f32_f16_e32 v0, v0
	s_delay_alu instid0(VALU_DEP_1)
	v_mul_f32_e32 v1, v86, v0
.LBB52_12:                              ;   in Loop: Header=BB52_8 Depth=1
	s_delay_alu instid0(VALU_DEP_2) | instskip(NEXT) | instid1(VALU_DEP_2)
	v_dual_add_f32 v0, v31, v126 :: v_dual_bitop2_b32 v2, 16, v107 bitop3:0x14
	v_dual_add_f32 v1, v125, v1 :: v_dual_bitop2_b32 v6, 8, v107 bitop3:0x14
	s_delay_alu instid0(VALU_DEP_2) | instskip(NEXT) | instid1(VALU_DEP_3)
	v_add_f32_e32 v4, 0x40051340, v0
	v_cmp_gt_i32_e32 vcc_lo, 32, v2
	s_delay_alu instid0(VALU_DEP_3) | instskip(NEXT) | instid1(VALU_DEP_1)
	v_dual_add_f32 v5, 0x40051340, v1 :: v_dual_cndmask_b32 v2, v107, v2
	v_max3_num_f32 v5, v118, v4, v5
	v_cmp_gt_i32_e32 vcc_lo, 32, v6
	s_delay_alu instid0(VALU_DEP_3) | instskip(SKIP_3) | instid1(VALU_DEP_1)
	v_lshlrev_b32_e32 v2, 2, v2
	ds_bpermute_b32 v4, v2, v5
	s_wait_dscnt 0x0
	v_dual_cndmask_b32 v6, v107, v6 :: v_dual_max_num_f32 v7, v4, v4
	v_dual_max_num_f32 v5, v5, v7 :: v_dual_lshlrev_b32 v4, 2, v6
	ds_bpermute_b32 v6, v4, v5
	s_wait_dscnt 0x0
	v_dual_max_num_f32 v8, v6, v6 :: v_dual_bitop2_b32 v7, 4, v107 bitop3:0x14
	s_delay_alu instid0(VALU_DEP_1) | instskip(NEXT) | instid1(VALU_DEP_2)
	v_cmp_gt_i32_e32 vcc_lo, 32, v7
	v_dual_max_num_f32 v5, v5, v8 :: v_dual_cndmask_b32 v7, v107, v7, vcc_lo
	v_xor_b32_e32 v8, 2, v107
	s_delay_alu instid0(VALU_DEP_1) | instskip(NEXT) | instid1(VALU_DEP_3)
	v_cmp_gt_i32_e32 vcc_lo, 32, v8
	v_dual_lshlrev_b32 v6, 2, v7 :: v_dual_cndmask_b32 v8, v107, v8, vcc_lo
	ds_bpermute_b32 v7, v6, v5
	s_wait_dscnt 0x0
	v_dual_max_num_f32 v9, v7, v7 :: v_dual_lshlrev_b32 v7, 2, v8
	s_delay_alu instid0(VALU_DEP_1) | instskip(SKIP_3) | instid1(VALU_DEP_1)
	v_max_num_f32_e32 v5, v5, v9
	ds_bpermute_b32 v8, v7, v5
	s_wait_dscnt 0x0
	v_dual_max_num_f32 v10, v8, v8 :: v_dual_bitop2_b32 v9, 1, v107 bitop3:0x14
	v_cmp_gt_i32_e32 vcc_lo, 32, v9
	v_cndmask_b32_e32 v9, v107, v9, vcc_lo
	s_and_not1_b32 vcc_lo, exec_lo, s26
	s_delay_alu instid0(VALU_DEP_1)
	v_dual_max_num_f32 v9, v5, v10 :: v_dual_lshlrev_b32 v8, 2, v9
	v_add_nc_u32_e32 v5, v24, v51
	ds_bpermute_b32 v31, v8, v9
	s_cbranch_vccnz .LBB52_14
; %bb.13:                               ;   in Loop: Header=BB52_8 Depth=1
	global_load_u16 v3, v5, s[36:37] scale_offset
	s_wait_loadcnt 0x0
	v_cvt_f32_f16_e32 v3, v3
	s_delay_alu instid0(VALU_DEP_1)
	v_mul_f32_e32 v3, v86, v3
.LBB52_14:                              ;   in Loop: Header=BB52_8 Depth=1
	v_dual_mov_b32 v10, 0 :: v_dual_mov_b32 v11, 0
	s_and_not1_b32 vcc_lo, exec_lo, s26
	s_cbranch_vccnz .LBB52_16
; %bb.15:                               ;   in Loop: Header=BB52_8 Depth=1
	global_load_u16 v5, v5, s[36:37] offset:64 scale_offset
	s_wait_loadcnt 0x0
	v_cvt_f32_f16_e32 v5, v5
	s_delay_alu instid0(VALU_DEP_1)
	v_mul_f32_e32 v11, v86, v5
.LBB52_16:                              ;   in Loop: Header=BB52_8 Depth=1
	s_delay_alu instid0(VALU_DEP_2) | instskip(NEXT) | instid1(VALU_DEP_2)
	v_add_f32_e32 v5, v28, v3
	v_add_f32_e32 v3, v124, v11
	s_and_not1_b32 vcc_lo, exec_lo, s26
	s_delay_alu instid0(VALU_DEP_1) | instskip(NEXT) | instid1(VALU_DEP_1)
	v_dual_add_f32 v12, 0x40051340, v3 :: v_dual_add_f32 v11, 0x40051340, v5
	v_max3_num_f32 v11, v119, v11, v12
	ds_bpermute_b32 v12, v2, v11
	s_wait_dscnt 0x0
	v_max_num_f32_e32 v12, v12, v12
	s_delay_alu instid0(VALU_DEP_1) | instskip(SKIP_3) | instid1(VALU_DEP_1)
	v_max_num_f32_e32 v11, v11, v12
	ds_bpermute_b32 v12, v4, v11
	s_wait_dscnt 0x0
	v_max_num_f32_e32 v12, v12, v12
	v_max_num_f32_e32 v11, v11, v12
	ds_bpermute_b32 v12, v6, v11
	s_wait_dscnt 0x0
	v_max_num_f32_e32 v12, v12, v12
	s_delay_alu instid0(VALU_DEP_1) | instskip(SKIP_3) | instid1(VALU_DEP_1)
	v_max_num_f32_e32 v11, v11, v12
	ds_bpermute_b32 v12, v7, v11
	s_wait_dscnt 0x0
	v_max_num_f32_e32 v12, v12, v12
	v_dual_max_num_f32 v25, v11, v12 :: v_dual_add_nc_u32 v11, v24, v53
	ds_bpermute_b32 v124, v8, v25
	s_cbranch_vccnz .LBB52_18
; %bb.17:                               ;   in Loop: Header=BB52_8 Depth=1
	global_load_u16 v10, v11, s[36:37] scale_offset
	s_wait_loadcnt 0x0
	v_cvt_f32_f16_e32 v10, v10
	s_delay_alu instid0(VALU_DEP_1)
	v_mul_f32_e32 v10, v86, v10
.LBB52_18:                              ;   in Loop: Header=BB52_8 Depth=1
	v_dual_mov_b32 v12, 0 :: v_dual_mov_b32 v13, 0
	s_and_not1_b32 vcc_lo, exec_lo, s26
	s_cbranch_vccnz .LBB52_20
; %bb.19:                               ;   in Loop: Header=BB52_8 Depth=1
	global_load_u16 v11, v11, s[36:37] offset:64 scale_offset
	s_wait_loadcnt 0x0
	v_cvt_f32_f16_e32 v11, v11
	s_delay_alu instid0(VALU_DEP_1)
	v_mul_f32_e32 v13, v86, v11
.LBB52_20:                              ;   in Loop: Header=BB52_8 Depth=1
	s_delay_alu instid0(VALU_DEP_1) | instskip(SKIP_1) | instid1(VALU_DEP_1)
	v_dual_add_f32 v11, v26, v10 :: v_dual_add_f32 v10, v121, v13
	s_and_not1_b32 vcc_lo, exec_lo, s26
	v_dual_add_f32 v13, 0x40051340, v11 :: v_dual_add_f32 v14, 0x40051340, v10
	s_delay_alu instid0(VALU_DEP_1) | instskip(SKIP_3) | instid1(VALU_DEP_1)
	v_max3_num_f32 v13, v117, v13, v14
	ds_bpermute_b32 v14, v2, v13
	s_wait_dscnt 0x0
	v_max_num_f32_e32 v14, v14, v14
	v_max_num_f32_e32 v13, v13, v14
	ds_bpermute_b32 v14, v4, v13
	s_wait_dscnt 0x0
	v_max_num_f32_e32 v14, v14, v14
	s_delay_alu instid0(VALU_DEP_1) | instskip(SKIP_3) | instid1(VALU_DEP_1)
	v_max_num_f32_e32 v13, v13, v14
	ds_bpermute_b32 v14, v6, v13
	s_wait_dscnt 0x0
	v_max_num_f32_e32 v14, v14, v14
	v_max_num_f32_e32 v13, v13, v14
	ds_bpermute_b32 v14, v7, v13
	s_wait_dscnt 0x0
	v_max_num_f32_e32 v14, v14, v14
	s_delay_alu instid0(VALU_DEP_1)
	v_dual_max_num_f32 v26, v13, v14 :: v_dual_add_nc_u32 v13, v24, v55
	ds_bpermute_b32 v125, v8, v26
	s_cbranch_vccnz .LBB52_22
; %bb.21:                               ;   in Loop: Header=BB52_8 Depth=1
	global_load_u16 v12, v13, s[36:37] scale_offset
	s_wait_loadcnt 0x0
	v_cvt_f32_f16_e32 v12, v12
	s_delay_alu instid0(VALU_DEP_1)
	v_mul_f32_e32 v12, v86, v12
.LBB52_22:                              ;   in Loop: Header=BB52_8 Depth=1
	v_dual_mov_b32 v14, 0 :: v_dual_mov_b32 v15, 0
	s_and_not1_b32 vcc_lo, exec_lo, s26
	s_cbranch_vccnz .LBB52_24
; %bb.23:                               ;   in Loop: Header=BB52_8 Depth=1
	global_load_u16 v13, v13, s[36:37] offset:64 scale_offset
	s_wait_loadcnt 0x0
	v_cvt_f32_f16_e32 v13, v13
	s_delay_alu instid0(VALU_DEP_1)
	v_mul_f32_e32 v15, v86, v13
.LBB52_24:                              ;   in Loop: Header=BB52_8 Depth=1
	s_delay_alu instid0(VALU_DEP_1) | instskip(SKIP_1) | instid1(VALU_DEP_1)
	v_dual_add_f32 v13, v27, v12 :: v_dual_add_f32 v12, v29, v15
	s_and_not1_b32 vcc_lo, exec_lo, s26
	v_add_f32_e32 v15, 0x40051340, v13
	s_delay_alu instid0(VALU_DEP_2) | instskip(NEXT) | instid1(VALU_DEP_1)
	v_add_f32_e32 v27, 0x40051340, v12
	v_max3_num_f32 v15, v116, v15, v27
	ds_bpermute_b32 v27, v2, v15
	s_wait_dscnt 0x0
	v_max_num_f32_e32 v27, v27, v27
	s_delay_alu instid0(VALU_DEP_1) | instskip(SKIP_3) | instid1(VALU_DEP_1)
	v_max_num_f32_e32 v15, v15, v27
	ds_bpermute_b32 v27, v4, v15
	s_wait_dscnt 0x0
	v_max_num_f32_e32 v27, v27, v27
	v_max_num_f32_e32 v15, v15, v27
	ds_bpermute_b32 v27, v6, v15
	s_wait_dscnt 0x0
	v_max_num_f32_e32 v27, v27, v27
	s_delay_alu instid0(VALU_DEP_1) | instskip(SKIP_3) | instid1(VALU_DEP_1)
	v_max_num_f32_e32 v15, v15, v27
	ds_bpermute_b32 v27, v7, v15
	s_wait_dscnt 0x0
	v_max_num_f32_e32 v27, v27, v27
	v_dual_max_num_f32 v27, v15, v27 :: v_dual_add_nc_u32 v15, v24, v57
	ds_bpermute_b32 v126, v8, v27
	s_cbranch_vccnz .LBB52_26
; %bb.25:                               ;   in Loop: Header=BB52_8 Depth=1
	global_load_u16 v14, v15, s[36:37] scale_offset
	s_wait_loadcnt 0x0
	v_cvt_f32_f16_e32 v14, v14
	s_delay_alu instid0(VALU_DEP_1)
	v_mul_f32_e32 v14, v86, v14
.LBB52_26:                              ;   in Loop: Header=BB52_8 Depth=1
	v_dual_mov_b32 v29, 0 :: v_dual_mov_b32 v28, 0
	s_and_not1_b32 vcc_lo, exec_lo, s26
	s_cbranch_vccnz .LBB52_28
; %bb.27:                               ;   in Loop: Header=BB52_8 Depth=1
	global_load_u16 v15, v15, s[36:37] offset:64 scale_offset
	s_wait_loadcnt 0x0
	v_cvt_f32_f16_e32 v15, v15
	s_delay_alu instid0(VALU_DEP_1)
	v_mul_f32_e32 v28, v86, v15
.LBB52_28:                              ;   in Loop: Header=BB52_8 Depth=1
	s_delay_alu instid0(VALU_DEP_1) | instskip(SKIP_2) | instid1(VALU_DEP_2)
	v_dual_add_f32 v15, v30, v14 :: v_dual_add_f32 v14, v120, v28
	s_and_not1_b32 vcc_lo, exec_lo, s26
	v_add_nc_u32_e32 v120, v24, v99
	v_add_f32_e32 v28, 0x40051340, v15
	s_delay_alu instid0(VALU_DEP_3) | instskip(NEXT) | instid1(VALU_DEP_1)
	v_add_f32_e32 v30, 0x40051340, v14
	v_max3_num_f32 v28, v115, v28, v30
	ds_bpermute_b32 v30, v2, v28
	s_wait_dscnt 0x0
	v_max_num_f32_e32 v30, v30, v30
	s_delay_alu instid0(VALU_DEP_1) | instskip(SKIP_3) | instid1(VALU_DEP_1)
	v_max_num_f32_e32 v28, v28, v30
	ds_bpermute_b32 v30, v4, v28
	s_wait_dscnt 0x0
	v_max_num_f32_e32 v30, v30, v30
	v_max_num_f32_e32 v28, v28, v30
	ds_bpermute_b32 v30, v6, v28
	s_wait_dscnt 0x0
	v_max_num_f32_e32 v30, v30, v30
	s_delay_alu instid0(VALU_DEP_1) | instskip(SKIP_3) | instid1(VALU_DEP_1)
	v_max_num_f32_e32 v28, v28, v30
	ds_bpermute_b32 v30, v7, v28
	s_wait_dscnt 0x0
	v_max_num_f32_e32 v30, v30, v30
	v_max_num_f32_e32 v28, v28, v30
	ds_bpermute_b32 v127, v8, v28
	s_cbranch_vccnz .LBB52_30
; %bb.29:                               ;   in Loop: Header=BB52_8 Depth=1
	global_load_u16 v29, v120, s[36:37] scale_offset
	s_wait_loadcnt 0x0
	v_cvt_f32_f16_e32 v29, v29
	s_delay_alu instid0(VALU_DEP_1)
	v_mul_f32_e32 v29, v86, v29
.LBB52_30:                              ;   in Loop: Header=BB52_8 Depth=1
	v_dual_mov_b32 v30, 0 :: v_dual_mov_b32 v121, 0
	s_and_not1_b32 vcc_lo, exec_lo, s26
	s_cbranch_vccnz .LBB52_32
; %bb.31:                               ;   in Loop: Header=BB52_8 Depth=1
	global_load_u16 v120, v120, s[36:37] offset:64 scale_offset
	s_wait_loadcnt 0x0
	v_cvt_f32_f16_e32 v120, v120
	s_delay_alu instid0(VALU_DEP_1)
	v_mul_f32_e32 v121, v86, v120
.LBB52_32:                              ;   in Loop: Header=BB52_8 Depth=1
	s_delay_alu instid0(VALU_DEP_1) | instskip(SKIP_2) | instid1(VALU_DEP_2)
	v_add_f32_e32 v120, v128, v121
	v_add_f32_e32 v122, v122, v29
	s_and_not1_b32 vcc_lo, exec_lo, s26
	v_add_f32_e32 v121, 0x40051340, v120
	s_delay_alu instid0(VALU_DEP_2) | instskip(NEXT) | instid1(VALU_DEP_1)
	v_add_f32_e32 v29, 0x40051340, v122
	v_max3_num_f32 v29, v114, v29, v121
	ds_bpermute_b32 v121, v2, v29
	s_wait_dscnt 0x0
	v_max_num_f32_e32 v121, v121, v121
	s_delay_alu instid0(VALU_DEP_1) | instskip(SKIP_3) | instid1(VALU_DEP_1)
	v_max_num_f32_e32 v29, v29, v121
	ds_bpermute_b32 v121, v4, v29
	s_wait_dscnt 0x0
	v_max_num_f32_e32 v121, v121, v121
	v_max_num_f32_e32 v29, v29, v121
	ds_bpermute_b32 v121, v6, v29
	s_wait_dscnt 0x0
	v_max_num_f32_e32 v121, v121, v121
	s_delay_alu instid0(VALU_DEP_1) | instskip(SKIP_3) | instid1(VALU_DEP_1)
	v_max_num_f32_e32 v29, v29, v121
	ds_bpermute_b32 v121, v7, v29
	s_wait_dscnt 0x0
	v_max_num_f32_e32 v121, v121, v121
	v_dual_max_num_f32 v29, v29, v121 :: v_dual_add_nc_u32 v121, v24, v100
	ds_bpermute_b32 v128, v8, v29
	s_cbranch_vccnz .LBB52_34
; %bb.33:                               ;   in Loop: Header=BB52_8 Depth=1
	global_load_u16 v30, v121, s[36:37] scale_offset
	s_wait_loadcnt 0x0
	v_cvt_f32_f16_e32 v30, v30
	s_delay_alu instid0(VALU_DEP_1)
	v_mul_f32_e32 v30, v86, v30
.LBB52_34:                              ;   in Loop: Header=BB52_8 Depth=1
	v_dual_mov_b32 v129, 0 :: v_dual_mov_b32 v130, 0
	s_and_not1_b32 vcc_lo, exec_lo, s26
	s_cbranch_vccnz .LBB52_36
; %bb.35:                               ;   in Loop: Header=BB52_8 Depth=1
	global_load_u16 v121, v121, s[36:37] offset:64 scale_offset
	s_wait_loadcnt 0x0
	v_cvt_f32_f16_e32 v121, v121
	s_delay_alu instid0(VALU_DEP_1)
	v_mul_f32_e32 v130, v86, v121
.LBB52_36:                              ;   in Loop: Header=BB52_8 Depth=1
	s_delay_alu instid0(VALU_DEP_1) | instskip(SKIP_3) | instid1(VALU_DEP_3)
	v_add_f32_e32 v121, v131, v130
	v_add_f32_e32 v123, v123, v30
	s_and_not1_b32 vcc_lo, exec_lo, s26
	v_add_nc_u32_e32 v24, v24, v101
	v_add_f32_e32 v130, 0x40051340, v121
	s_delay_alu instid0(VALU_DEP_3) | instskip(NEXT) | instid1(VALU_DEP_1)
	v_add_f32_e32 v30, 0x40051340, v123
	v_max3_num_f32 v30, v113, v30, v130
	ds_bpermute_b32 v130, v2, v30
	s_wait_dscnt 0x0
	v_max_num_f32_e32 v130, v130, v130
	s_delay_alu instid0(VALU_DEP_1) | instskip(SKIP_3) | instid1(VALU_DEP_1)
	v_max_num_f32_e32 v30, v30, v130
	ds_bpermute_b32 v130, v4, v30
	s_wait_dscnt 0x0
	v_max_num_f32_e32 v130, v130, v130
	v_max_num_f32_e32 v30, v30, v130
	ds_bpermute_b32 v130, v6, v30
	s_wait_dscnt 0x0
	v_max_num_f32_e32 v130, v130, v130
	s_delay_alu instid0(VALU_DEP_1) | instskip(SKIP_3) | instid1(VALU_DEP_1)
	v_max_num_f32_e32 v30, v30, v130
	ds_bpermute_b32 v130, v7, v30
	s_wait_dscnt 0x0
	v_max_num_f32_e32 v130, v130, v130
	v_max_num_f32_e32 v30, v30, v130
	ds_bpermute_b32 v131, v8, v30
	s_cbranch_vccnz .LBB52_38
; %bb.37:                               ;   in Loop: Header=BB52_8 Depth=1
	global_load_u16 v129, v24, s[36:37] scale_offset
	s_wait_loadcnt 0x0
	v_cvt_f32_f16_e64 v129, v129
	s_delay_alu instid0(VALU_DEP_1)
	v_mul_f32_e32 v129, v86, v129
.LBB52_38:                              ;   in Loop: Header=BB52_8 Depth=1
	s_and_not1_b32 vcc_lo, exec_lo, s26
	s_cbranch_vccnz .LBB52_40
; %bb.39:                               ;   in Loop: Header=BB52_8 Depth=1
	global_load_u16 v24, v24, s[36:37] offset:64 scale_offset
	s_wait_loadcnt 0x0
	v_cvt_f32_f16_e32 v24, v24
	s_delay_alu instid0(VALU_DEP_1)
	v_mul_f32_e32 v130, v86, v24
	s_branch .LBB52_41
.LBB52_40:                              ;   in Loop: Header=BB52_8 Depth=1
	v_mov_b32_e32 v130, 0
.LBB52_41:                              ;   in Loop: Header=BB52_8 Depth=1
	s_wait_dscnt 0x0
	v_dual_add_f32 v129, v132, v129 :: v_dual_max_num_f32 v24, v131, v131
	v_dual_max_num_f32 v30, v30, v30 :: v_dual_max_num_f32 v27, v27, v27
	s_mul_u64 s[38:39], s[14:15], s[10:11]
	v_max_num_f32_e32 v29, v29, v29
	s_lshl_b64 s[38:39], s[38:39], 2
	s_delay_alu instid0(VALU_DEP_2) | instskip(SKIP_4) | instid1(VALU_DEP_3)
	v_max_num_f32_e32 v30, v30, v24
	v_max_num_f32_e32 v24, v128, v128
	v_add_f32_e32 v132, 0x40051340, v129
	v_max_num_f32_e32 v28, v28, v28
	s_add_nc_u64 s[38:39], s[8:9], s[38:39]
	v_dual_max_num_f32 v29, v29, v24 :: v_dual_max_num_f32 v24, v127, v127
	s_barrier_signal -1
	s_barrier_wait -1
	s_delay_alu instid0(VALU_DEP_1) | instskip(SKIP_3) | instid1(VALU_DEP_4)
	v_dual_max_num_f32 v26, v26, v26 :: v_dual_max_num_f32 v28, v28, v24
	v_max_num_f32_e32 v24, v126, v126
	v_add_f32_e32 v126, v133, v130
	v_max_num_f32_e32 v25, v25, v25
	v_dual_max_num_f32 v9, v9, v9 :: v_dual_sub_f32 v15, v15, v28
	s_delay_alu instid0(VALU_DEP_4) | instskip(NEXT) | instid1(VALU_DEP_1)
	v_dual_max_num_f32 v27, v27, v24 :: v_dual_max_num_f32 v24, v125, v125
	v_dual_sub_f32 v14, v14, v28 :: v_dual_sub_f32 v13, v13, v27
	s_delay_alu instid0(VALU_DEP_2) | instskip(SKIP_1) | instid1(VALU_DEP_2)
	v_max_num_f32_e32 v26, v26, v24
	v_max_num_f32_e32 v24, v124, v124
	v_dual_sub_f32 v12, v12, v27 :: v_dual_sub_f32 v11, v11, v26
	s_delay_alu instid0(VALU_DEP_2) | instskip(NEXT) | instid1(VALU_DEP_1)
	v_dual_max_num_f32 v25, v25, v24 :: v_dual_max_num_f32 v24, v31, v31
	v_dual_sub_f32 v10, v10, v26 :: v_dual_sub_f32 v3, v3, v25
	s_delay_alu instid0(VALU_DEP_2) | instskip(NEXT) | instid1(VALU_DEP_1)
	v_dual_max_num_f32 v24, v9, v24 :: v_dual_add_f32 v9, 0x40051340, v126
	v_sub_f32_e32 v0, v0, v24
	s_delay_alu instid0(VALU_DEP_2) | instskip(SKIP_1) | instid1(VALU_DEP_3)
	v_max3_num_f32 v9, v112, v132, v9
	v_sub_f32_e32 v1, v1, v24
	v_cmp_ngt_f32_e32 vcc_lo, 0xc2ce8ed0, v0
	ds_bpermute_b32 v2, v2, v9
	s_wait_dscnt 0x0
	v_max_num_f32_e32 v2, v2, v2
	s_delay_alu instid0(VALU_DEP_1) | instskip(SKIP_3) | instid1(VALU_DEP_1)
	v_max_num_f32_e32 v2, v9, v2
	ds_bpermute_b32 v4, v4, v2
	s_wait_dscnt 0x0
	v_max_num_f32_e32 v4, v4, v4
	v_max_num_f32_e32 v2, v2, v4
	ds_bpermute_b32 v4, v6, v2
	s_wait_dscnt 0x0
	v_max_num_f32_e32 v4, v4, v4
	s_delay_alu instid0(VALU_DEP_1) | instskip(SKIP_3) | instid1(VALU_DEP_1)
	v_max_num_f32_e32 v2, v2, v4
	ds_bpermute_b32 v4, v7, v2
	s_wait_dscnt 0x0
	v_max_num_f32_e32 v4, v4, v4
	v_max_num_f32_e32 v2, v2, v4
	ds_bpermute_b32 v4, v8, v2
	s_wait_dscnt 0x0
	v_dual_sub_f32 v8, v119, v25 :: v_dual_max_num_f32 v4, v4, v4
	s_delay_alu instid0(VALU_DEP_1) | instskip(SKIP_2) | instid1(VALU_DEP_1)
	v_max_num_f32_e32 v31, v2, v4
	v_sub_f32_e32 v4, v118, v24
	v_mul_f32_e32 v2, 0x3fb8aa3b, v0
	v_fma_f32 v6, 0x3fb8aa3b, v0, -v2
	v_rndne_f32_e32 v7, v2
	s_delay_alu instid0(VALU_DEP_2) | instskip(NEXT) | instid1(VALU_DEP_2)
	v_fmac_f32_e32 v6, 0x32a5705f, v0
	v_sub_f32_e32 v2, v2, v7
	s_delay_alu instid0(VALU_DEP_1) | instskip(SKIP_1) | instid1(VALU_DEP_2)
	v_add_f32_e32 v2, v2, v6
	v_cvt_i32_f32_e32 v6, v7
	v_exp_f32_e32 v2, v2
	v_nop
	s_delay_alu instid0(TRANS32_DEP_1) | instskip(NEXT) | instid1(VALU_DEP_1)
	v_ldexp_f32 v2, v2, v6
	v_cndmask_b32_e32 v2, 0, v2, vcc_lo
	v_cmp_nlt_f32_e32 vcc_lo, 0x42b17218, v0
	s_delay_alu instid0(VALU_DEP_2) | instskip(SKIP_2) | instid1(VALU_DEP_2)
	v_cndmask_b32_e32 v0, 0x7f800000, v2, vcc_lo
	v_mul_f32_e32 v2, 0x3fb8aa3b, v1
	v_cmp_ngt_f32_e32 vcc_lo, 0xc2ce8ed0, v1
	v_fma_f32 v6, 0x3fb8aa3b, v1, -v2
	v_rndne_f32_e32 v7, v2
	s_delay_alu instid0(VALU_DEP_2) | instskip(NEXT) | instid1(VALU_DEP_2)
	v_fmac_f32_e32 v6, 0x32a5705f, v1
	v_sub_f32_e32 v2, v2, v7
	s_delay_alu instid0(VALU_DEP_1) | instskip(SKIP_1) | instid1(VALU_DEP_2)
	v_add_f32_e32 v2, v2, v6
	v_cvt_i32_f32_e32 v6, v7
	v_exp_f32_e32 v2, v2
	v_nop
	s_delay_alu instid0(TRANS32_DEP_1) | instskip(NEXT) | instid1(VALU_DEP_1)
	v_ldexp_f32 v2, v2, v6
	v_cndmask_b32_e32 v2, 0, v2, vcc_lo
	v_cmp_nlt_f32_e32 vcc_lo, 0x42b17218, v1
	v_mul_f32_e32 v1, 0x3fb8aa3b, v4
	s_delay_alu instid0(VALU_DEP_3) | instskip(NEXT) | instid1(VALU_DEP_2)
	v_cndmask_b32_e32 v2, 0x7f800000, v2, vcc_lo
	v_fma_f32 v6, 0x3fb8aa3b, v4, -v1
	v_rndne_f32_e32 v7, v1
	v_cmp_ngt_f32_e32 vcc_lo, 0xc2ce8ed0, v4
	s_delay_alu instid0(VALU_DEP_2) | instskip(NEXT) | instid1(VALU_DEP_1)
	v_dual_fmac_f32 v6, 0x32a5705f, v4 :: v_dual_sub_f32 v1, v1, v7
	v_add_f32_e32 v1, v1, v6
	v_cvt_i32_f32_e32 v6, v7
	s_delay_alu instid0(VALU_DEP_2) | instskip(SKIP_1) | instid1(TRANS32_DEP_1)
	v_exp_f32_e32 v1, v1
	v_nop
	v_ldexp_f32 v1, v1, v6
	s_delay_alu instid0(VALU_DEP_1) | instskip(SKIP_1) | instid1(VALU_DEP_2)
	v_cndmask_b32_e32 v1, 0, v1, vcc_lo
	v_cmp_nlt_f32_e32 vcc_lo, 0x42b17218, v4
	v_cndmask_b32_e32 v4, 0x7f800000, v1, vcc_lo
	s_delay_alu instid0(VALU_DEP_1) | instskip(NEXT) | instid1(VALU_DEP_1)
	v_cvt_f16_f32_e32 v1, v4
	v_and_b32_e32 v1, 0xffff, v1
	s_delay_alu instid0(VALU_DEP_1) | instskip(NEXT) | instid1(VALU_DEP_1)
	v_mul_u32_u24_e32 v1, 0x10001, v1
	v_pk_mul_f16 v7, v110, v1
	v_pk_mul_f16 v6, v111, v1
	v_sub_f32_e32 v1, v5, v25
	s_delay_alu instid0(VALU_DEP_1) | instskip(SKIP_1) | instid1(VALU_DEP_2)
	v_mul_f32_e32 v5, 0x3fb8aa3b, v1
	v_cmp_ngt_f32_e32 vcc_lo, 0xc2ce8ed0, v1
	v_fma_f32 v9, 0x3fb8aa3b, v1, -v5
	v_rndne_f32_e32 v110, v5
	s_delay_alu instid0(VALU_DEP_2) | instskip(NEXT) | instid1(VALU_DEP_2)
	v_fmac_f32_e32 v9, 0x32a5705f, v1
	v_sub_f32_e32 v5, v5, v110
	s_delay_alu instid0(VALU_DEP_1) | instskip(SKIP_1) | instid1(VALU_DEP_2)
	v_add_f32_e32 v5, v5, v9
	v_cvt_i32_f32_e32 v9, v110
	v_exp_f32_e32 v5, v5
	v_nop
	s_delay_alu instid0(TRANS32_DEP_1) | instskip(NEXT) | instid1(VALU_DEP_1)
	v_ldexp_f32 v5, v5, v9
	v_cndmask_b32_e32 v5, 0, v5, vcc_lo
	v_cmp_nlt_f32_e32 vcc_lo, 0x42b17218, v1
	s_delay_alu instid0(VALU_DEP_2) | instskip(SKIP_2) | instid1(VALU_DEP_2)
	v_cndmask_b32_e32 v1, 0x7f800000, v5, vcc_lo
	v_mul_f32_e32 v5, 0x3fb8aa3b, v3
	v_cmp_ngt_f32_e32 vcc_lo, 0xc2ce8ed0, v3
	v_fma_f32 v9, 0x3fb8aa3b, v3, -v5
	v_rndne_f32_e32 v110, v5
	s_delay_alu instid0(VALU_DEP_2) | instskip(NEXT) | instid1(VALU_DEP_2)
	v_fmac_f32_e32 v9, 0x32a5705f, v3
	v_sub_f32_e32 v5, v5, v110
	s_delay_alu instid0(VALU_DEP_1) | instskip(SKIP_1) | instid1(VALU_DEP_2)
	v_add_f32_e32 v5, v5, v9
	v_cvt_i32_f32_e32 v9, v110
	v_exp_f32_e32 v5, v5
	v_nop
	s_delay_alu instid0(TRANS32_DEP_1) | instskip(NEXT) | instid1(VALU_DEP_1)
	v_ldexp_f32 v5, v5, v9
	v_cndmask_b32_e32 v5, 0, v5, vcc_lo
	v_cmp_nlt_f32_e32 vcc_lo, 0x42b17218, v3
	s_delay_alu instid0(VALU_DEP_2) | instskip(SKIP_2) | instid1(VALU_DEP_2)
	v_cndmask_b32_e32 v3, 0x7f800000, v5, vcc_lo
	v_mul_f32_e32 v5, 0x3fb8aa3b, v8
	v_cmp_ngt_f32_e32 vcc_lo, 0xc2ce8ed0, v8
	v_fma_f32 v9, 0x3fb8aa3b, v8, -v5
	v_rndne_f32_e32 v110, v5
	s_delay_alu instid0(VALU_DEP_2) | instskip(NEXT) | instid1(VALU_DEP_2)
	v_fmac_f32_e32 v9, 0x32a5705f, v8
	v_sub_f32_e32 v5, v5, v110
	s_delay_alu instid0(VALU_DEP_1) | instskip(SKIP_1) | instid1(VALU_DEP_2)
	v_add_f32_e32 v5, v5, v9
	v_cvt_i32_f32_e32 v9, v110
	v_exp_f32_e32 v5, v5
	v_nop
	s_delay_alu instid0(TRANS32_DEP_1) | instskip(NEXT) | instid1(VALU_DEP_1)
	v_ldexp_f32 v5, v5, v9
	v_cndmask_b32_e32 v5, 0, v5, vcc_lo
	v_cmp_nlt_f32_e32 vcc_lo, 0x42b17218, v8
	s_delay_alu instid0(VALU_DEP_2) | instskip(SKIP_1) | instid1(VALU_DEP_2)
	v_cndmask_b32_e32 v5, 0x7f800000, v5, vcc_lo
	v_cmp_ngt_f32_e32 vcc_lo, 0xc2ce8ed0, v11
	v_cvt_f16_f32_e32 v8, v5
	s_delay_alu instid0(VALU_DEP_1) | instskip(NEXT) | instid1(VALU_DEP_1)
	v_and_b32_e32 v8, 0xffff, v8
	v_mul_u32_u24_e32 v8, 0x10001, v8
	s_delay_alu instid0(VALU_DEP_1) | instskip(SKIP_3) | instid1(VALU_DEP_3)
	v_pk_mul_f16 v9, v108, v8
	v_mul_f32_e32 v108, 0x3fb8aa3b, v11
	v_pk_mul_f16 v8, v109, v8
	v_sub_f32_e32 v109, v117, v26
	v_fma_f32 v110, 0x3fb8aa3b, v11, -v108
	v_rndne_f32_e32 v111, v108
	s_delay_alu instid0(VALU_DEP_2) | instskip(NEXT) | instid1(VALU_DEP_2)
	v_fmac_f32_e32 v110, 0x32a5705f, v11
	v_sub_f32_e32 v108, v108, v111
	s_delay_alu instid0(VALU_DEP_1) | instskip(SKIP_1) | instid1(VALU_DEP_2)
	v_add_f32_e32 v108, v108, v110
	v_cvt_i32_f32_e32 v110, v111
	v_exp_f32_e32 v108, v108
	v_nop
	s_delay_alu instid0(TRANS32_DEP_1) | instskip(NEXT) | instid1(VALU_DEP_1)
	v_ldexp_f32 v108, v108, v110
	v_cndmask_b32_e32 v108, 0, v108, vcc_lo
	v_cmp_nlt_f32_e32 vcc_lo, 0x42b17218, v11
	v_mul_f32_e32 v11, 0x3fb8aa3b, v10
	s_delay_alu instid0(VALU_DEP_3) | instskip(NEXT) | instid1(VALU_DEP_2)
	v_cndmask_b32_e32 v108, 0x7f800000, v108, vcc_lo
	v_fma_f32 v110, 0x3fb8aa3b, v10, -v11
	v_rndne_f32_e32 v111, v11
	v_cmp_ngt_f32_e32 vcc_lo, 0xc2ce8ed0, v10
	s_delay_alu instid0(VALU_DEP_2) | instskip(NEXT) | instid1(VALU_DEP_1)
	v_dual_fmac_f32 v110, 0x32a5705f, v10 :: v_dual_sub_f32 v11, v11, v111
	v_add_f32_e32 v11, v11, v110
	v_cvt_i32_f32_e32 v110, v111
	s_delay_alu instid0(VALU_DEP_2) | instskip(SKIP_1) | instid1(TRANS32_DEP_1)
	v_exp_f32_e32 v11, v11
	v_nop
	v_ldexp_f32 v11, v11, v110
	s_delay_alu instid0(VALU_DEP_1) | instskip(SKIP_2) | instid1(VALU_DEP_3)
	v_cndmask_b32_e32 v11, 0, v11, vcc_lo
	v_cmp_nlt_f32_e32 vcc_lo, 0x42b17218, v10
	v_mul_f32_e32 v10, 0x3fb8aa3b, v109
	v_cndmask_b32_e32 v110, 0x7f800000, v11, vcc_lo
	s_delay_alu instid0(VALU_DEP_2) | instskip(SKIP_2) | instid1(VALU_DEP_2)
	v_fma_f32 v11, 0x3fb8aa3b, v109, -v10
	v_rndne_f32_e32 v111, v10
	v_cmp_ngt_f32_e32 vcc_lo, 0xc2ce8ed0, v109
	v_dual_fmac_f32 v11, 0x32a5705f, v109 :: v_dual_sub_f32 v10, v10, v111
	s_delay_alu instid0(VALU_DEP_1) | instskip(SKIP_1) | instid1(VALU_DEP_2)
	v_add_f32_e32 v10, v10, v11
	v_cvt_i32_f32_e32 v11, v111
	v_exp_f32_e32 v10, v10
	v_nop
	s_delay_alu instid0(TRANS32_DEP_1) | instskip(NEXT) | instid1(VALU_DEP_1)
	v_ldexp_f32 v10, v10, v11
	v_cndmask_b32_e32 v10, 0, v10, vcc_lo
	v_cmp_nlt_f32_e32 vcc_lo, 0x42b17218, v109
	s_delay_alu instid0(VALU_DEP_2) | instskip(NEXT) | instid1(VALU_DEP_1)
	v_cndmask_b32_e32 v118, 0x7f800000, v10, vcc_lo
	v_cvt_f16_f32_e32 v10, v118
	s_delay_alu instid0(VALU_DEP_1) | instskip(NEXT) | instid1(VALU_DEP_1)
	v_and_b32_e32 v10, 0xffff, v10
	v_mul_u32_u24_e32 v10, 0x10001, v10
	s_delay_alu instid0(VALU_DEP_1) | instskip(SKIP_3) | instid1(VALU_DEP_3)
	v_pk_mul_f16 v11, v98, v10
	v_mul_f32_e32 v98, 0x3fb8aa3b, v13
	v_pk_mul_f16 v10, v97, v10
	v_sub_f32_e32 v97, v116, v27
	v_fma_f32 v109, 0x3fb8aa3b, v13, -v98
	v_rndne_f32_e32 v111, v98
	s_delay_alu instid0(VALU_DEP_1) | instskip(NEXT) | instid1(VALU_DEP_1)
	v_dual_fmac_f32 v109, 0x32a5705f, v13 :: v_dual_sub_f32 v98, v98, v111
	v_add_f32_e32 v98, v98, v109
	v_cvt_i32_f32_e32 v109, v111
	v_cmp_ngt_f32_e32 vcc_lo, 0xc2ce8ed0, v13
	s_delay_alu instid0(VALU_DEP_3) | instskip(SKIP_1) | instid1(TRANS32_DEP_1)
	v_exp_f32_e32 v98, v98
	v_nop
	v_ldexp_f32 v98, v98, v109
	s_delay_alu instid0(VALU_DEP_1) | instskip(SKIP_2) | instid1(VALU_DEP_3)
	v_cndmask_b32_e32 v98, 0, v98, vcc_lo
	v_cmp_nlt_f32_e32 vcc_lo, 0x42b17218, v13
	v_mul_f32_e32 v13, 0x3fb8aa3b, v12
	v_cndmask_b32_e32 v109, 0x7f800000, v98, vcc_lo
	s_delay_alu instid0(VALU_DEP_2) | instskip(SKIP_2) | instid1(VALU_DEP_2)
	v_fma_f32 v98, 0x3fb8aa3b, v12, -v13
	v_rndne_f32_e32 v111, v13
	v_cmp_ngt_f32_e32 vcc_lo, 0xc2ce8ed0, v12
	v_dual_fmac_f32 v98, 0x32a5705f, v12 :: v_dual_sub_f32 v13, v13, v111
	s_delay_alu instid0(VALU_DEP_1) | instskip(SKIP_1) | instid1(VALU_DEP_2)
	v_add_f32_e32 v13, v13, v98
	v_cvt_i32_f32_e32 v98, v111
	v_exp_f32_e32 v13, v13
	v_nop
	s_delay_alu instid0(TRANS32_DEP_1) | instskip(NEXT) | instid1(VALU_DEP_1)
	v_ldexp_f32 v13, v13, v98
	v_cndmask_b32_e32 v13, 0, v13, vcc_lo
	v_cmp_nlt_f32_e32 vcc_lo, 0x42b17218, v12
	v_mul_f32_e32 v12, 0x3fb8aa3b, v97
	s_delay_alu instid0(VALU_DEP_3) | instskip(NEXT) | instid1(VALU_DEP_2)
	v_cndmask_b32_e32 v111, 0x7f800000, v13, vcc_lo
	v_fma_f32 v13, 0x3fb8aa3b, v97, -v12
	v_rndne_f32_e32 v98, v12
	v_cmp_ngt_f32_e32 vcc_lo, 0xc2ce8ed0, v97
	s_delay_alu instid0(VALU_DEP_2) | instskip(NEXT) | instid1(VALU_DEP_1)
	v_dual_fmac_f32 v13, 0x32a5705f, v97 :: v_dual_sub_f32 v12, v12, v98
	v_add_f32_e32 v12, v12, v13
	v_cvt_i32_f32_e32 v13, v98
	s_delay_alu instid0(VALU_DEP_2) | instskip(SKIP_1) | instid1(TRANS32_DEP_1)
	v_exp_f32_e32 v12, v12
	v_nop
	v_ldexp_f32 v12, v12, v13
	s_delay_alu instid0(VALU_DEP_1) | instskip(SKIP_1) | instid1(VALU_DEP_2)
	v_cndmask_b32_e32 v12, 0, v12, vcc_lo
	v_cmp_nlt_f32_e32 vcc_lo, 0x42b17218, v97
	v_cndmask_b32_e32 v119, 0x7f800000, v12, vcc_lo
	s_delay_alu instid0(VALU_DEP_1) | instskip(NEXT) | instid1(VALU_DEP_1)
	v_cvt_f16_f32_e32 v12, v119
	v_and_b32_e32 v12, 0xffff, v12
	s_delay_alu instid0(VALU_DEP_1) | instskip(NEXT) | instid1(VALU_DEP_1)
	v_mul_u32_u24_e32 v12, 0x10001, v12
	v_pk_mul_f16 v13, v95, v12
	v_pk_mul_f16 v12, v96, v12
	v_dual_sub_f32 v95, v115, v28 :: v_dual_mul_f32 v96, 0x3fb8aa3b, v15
	s_delay_alu instid0(VALU_DEP_1) | instskip(SKIP_1) | instid1(VALU_DEP_1)
	v_fma_f32 v97, 0x3fb8aa3b, v15, -v96
	v_rndne_f32_e32 v98, v96
	v_dual_fmac_f32 v97, 0x32a5705f, v15 :: v_dual_sub_f32 v96, v96, v98
	s_delay_alu instid0(VALU_DEP_1) | instskip(SKIP_2) | instid1(VALU_DEP_3)
	v_add_f32_e32 v96, v96, v97
	v_cvt_i32_f32_e32 v97, v98
	v_cmp_ngt_f32_e32 vcc_lo, 0xc2ce8ed0, v15
	v_exp_f32_e32 v96, v96
	v_nop
	s_delay_alu instid0(TRANS32_DEP_1) | instskip(NEXT) | instid1(VALU_DEP_1)
	v_ldexp_f32 v96, v96, v97
	v_cndmask_b32_e32 v96, 0, v96, vcc_lo
	v_cmp_nlt_f32_e32 vcc_lo, 0x42b17218, v15
	v_mul_f32_e32 v15, 0x3fb8aa3b, v14
	s_delay_alu instid0(VALU_DEP_1) | instskip(NEXT) | instid1(VALU_DEP_4)
	v_rndne_f32_e32 v97, v15
	v_cndmask_b32_e32 v116, 0x7f800000, v96, vcc_lo
	v_fma_f32 v96, 0x3fb8aa3b, v14, -v15
	v_cmp_ngt_f32_e32 vcc_lo, 0xc2ce8ed0, v14
	s_delay_alu instid0(VALU_DEP_2) | instskip(NEXT) | instid1(VALU_DEP_1)
	v_dual_sub_f32 v15, v15, v97 :: v_dual_fmac_f32 v96, 0x32a5705f, v14
	v_add_f32_e32 v15, v15, v96
	v_cvt_i32_f32_e32 v96, v97
	s_delay_alu instid0(VALU_DEP_2) | instskip(SKIP_1) | instid1(TRANS32_DEP_1)
	v_exp_f32_e32 v15, v15
	v_nop
	v_ldexp_f32 v15, v15, v96
	s_delay_alu instid0(VALU_DEP_1) | instskip(SKIP_2) | instid1(VALU_DEP_3)
	v_cndmask_b32_e32 v15, 0, v15, vcc_lo
	v_cmp_nlt_f32_e32 vcc_lo, 0x42b17218, v14
	v_mul_f32_e32 v14, 0x3fb8aa3b, v95
	v_cndmask_b32_e32 v124, 0x7f800000, v15, vcc_lo
	s_delay_alu instid0(VALU_DEP_2) | instskip(SKIP_2) | instid1(VALU_DEP_2)
	v_fma_f32 v15, 0x3fb8aa3b, v95, -v14
	v_rndne_f32_e32 v96, v14
	v_cmp_ngt_f32_e32 vcc_lo, 0xc2ce8ed0, v95
	v_dual_fmac_f32 v15, 0x32a5705f, v95 :: v_dual_sub_f32 v14, v14, v96
	s_delay_alu instid0(VALU_DEP_1) | instskip(SKIP_1) | instid1(VALU_DEP_2)
	v_add_f32_e32 v14, v14, v15
	v_cvt_i32_f32_e32 v15, v96
	v_exp_f32_e32 v14, v14
	v_nop
	s_delay_alu instid0(TRANS32_DEP_1) | instskip(NEXT) | instid1(VALU_DEP_1)
	v_ldexp_f32 v14, v14, v15
	v_cndmask_b32_e32 v14, 0, v14, vcc_lo
	v_cmp_nlt_f32_e32 vcc_lo, 0x42b17218, v95
	s_delay_alu instid0(VALU_DEP_2) | instskip(NEXT) | instid1(VALU_DEP_1)
	v_cndmask_b32_e32 v96, 0x7f800000, v14, vcc_lo
	v_cvt_f16_f32_e32 v14, v96
	s_delay_alu instid0(VALU_DEP_1) | instskip(NEXT) | instid1(VALU_DEP_1)
	v_and_b32_e32 v14, 0xffff, v14
	v_mul_u32_u24_e32 v14, 0x10001, v14
	s_delay_alu instid0(VALU_DEP_1) | instskip(SKIP_3) | instid1(VALU_DEP_2)
	v_pk_mul_f16 v15, v93, v14
	v_pk_mul_f16 v14, v94, v14
	v_sub_f32_e32 v94, v122, v29
	v_sub_f32_e32 v93, v114, v29
	v_mul_f32_e32 v95, 0x3fb8aa3b, v94
	v_cmp_ngt_f32_e32 vcc_lo, 0xc2ce8ed0, v94
	s_delay_alu instid0(VALU_DEP_2) | instskip(SKIP_1) | instid1(VALU_DEP_2)
	v_fma_f32 v97, 0x3fb8aa3b, v94, -v95
	v_rndne_f32_e32 v98, v95
	v_fmac_f32_e32 v97, 0x32a5705f, v94
	s_delay_alu instid0(VALU_DEP_2) | instskip(NEXT) | instid1(VALU_DEP_1)
	v_sub_f32_e32 v95, v95, v98
	v_add_f32_e32 v95, v95, v97
	v_cvt_i32_f32_e32 v97, v98
	s_delay_alu instid0(VALU_DEP_2) | instskip(SKIP_1) | instid1(TRANS32_DEP_1)
	v_exp_f32_e32 v95, v95
	v_nop
	v_ldexp_f32 v95, v95, v97
	s_delay_alu instid0(VALU_DEP_1) | instskip(SKIP_1) | instid1(VALU_DEP_2)
	v_cndmask_b32_e32 v95, 0, v95, vcc_lo
	v_cmp_nlt_f32_e32 vcc_lo, 0x42b17218, v94
	v_dual_sub_f32 v94, v120, v29 :: v_dual_cndmask_b32 v117, 0x7f800000, v95
	s_delay_alu instid0(VALU_DEP_1) | instskip(SKIP_1) | instid1(VALU_DEP_2)
	v_mul_f32_e32 v95, 0x3fb8aa3b, v94
	v_cmp_ngt_f32_e32 vcc_lo, 0xc2ce8ed0, v94
	v_fma_f32 v97, 0x3fb8aa3b, v94, -v95
	v_rndne_f32_e32 v98, v95
	s_delay_alu instid0(VALU_DEP_2) | instskip(NEXT) | instid1(VALU_DEP_2)
	v_fmac_f32_e32 v97, 0x32a5705f, v94
	v_sub_f32_e32 v95, v95, v98
	s_delay_alu instid0(VALU_DEP_1) | instskip(SKIP_1) | instid1(VALU_DEP_2)
	v_add_f32_e32 v95, v95, v97
	v_cvt_i32_f32_e32 v97, v98
	v_exp_f32_e32 v95, v95
	v_nop
	s_delay_alu instid0(TRANS32_DEP_1) | instskip(NEXT) | instid1(VALU_DEP_1)
	v_ldexp_f32 v95, v95, v97
	v_cndmask_b32_e32 v95, 0, v95, vcc_lo
	v_cmp_nlt_f32_e32 vcc_lo, 0x42b17218, v94
	v_mul_f32_e32 v94, 0x3fb8aa3b, v93
	s_delay_alu instid0(VALU_DEP_3) | instskip(NEXT) | instid1(VALU_DEP_2)
	v_cndmask_b32_e32 v125, 0x7f800000, v95, vcc_lo
	v_fma_f32 v95, 0x3fb8aa3b, v93, -v94
	v_rndne_f32_e32 v97, v94
	v_cmp_ngt_f32_e32 vcc_lo, 0xc2ce8ed0, v93
	s_delay_alu instid0(VALU_DEP_3) | instskip(NEXT) | instid1(VALU_DEP_3)
	v_fmac_f32_e32 v95, 0x32a5705f, v93
	v_sub_f32_e32 v94, v94, v97
	s_delay_alu instid0(VALU_DEP_1) | instskip(SKIP_1) | instid1(VALU_DEP_2)
	v_add_f32_e32 v94, v94, v95
	v_cvt_i32_f32_e32 v95, v97
	v_exp_f32_e32 v94, v94
	v_nop
	s_delay_alu instid0(TRANS32_DEP_1) | instskip(NEXT) | instid1(VALU_DEP_1)
	v_ldexp_f32 v94, v94, v95
	v_cndmask_b32_e32 v94, 0, v94, vcc_lo
	v_cmp_nlt_f32_e32 vcc_lo, 0x42b17218, v93
	s_delay_alu instid0(VALU_DEP_2) | instskip(NEXT) | instid1(VALU_DEP_1)
	v_cndmask_b32_e32 v97, 0x7f800000, v94, vcc_lo
	v_cvt_f16_f32_e32 v93, v97
	s_delay_alu instid0(VALU_DEP_1) | instskip(NEXT) | instid1(VALU_DEP_1)
	v_and_b32_e32 v93, 0xffff, v93
	v_mul_u32_u24_e32 v94, 0x10001, v93
	s_delay_alu instid0(VALU_DEP_1) | instskip(SKIP_3) | instid1(VALU_DEP_2)
	v_pk_mul_f16 v93, v91, v94
	v_pk_mul_f16 v91, v92, v94
	v_dual_sub_f32 v94, v123, v30 :: v_dual_sub_f32 v92, v113, v30
	v_pk_add_f32 v[122:123], v[108:109], v[110:111]
	v_mul_f32_e32 v95, 0x3fb8aa3b, v94
	v_cmp_ngt_f32_e32 vcc_lo, 0xc2ce8ed0, v94
	s_delay_alu instid0(VALU_DEP_3) | instskip(NEXT) | instid1(VALU_DEP_3)
	v_pk_fma_f32 v[18:19], v[18:19], v[118:119], v[122:123]
	v_fma_f32 v98, 0x3fb8aa3b, v94, -v95
	v_rndne_f32_e32 v113, v95
	s_delay_alu instid0(VALU_DEP_1) | instskip(NEXT) | instid1(VALU_DEP_1)
	v_dual_fmac_f32 v98, 0x32a5705f, v94 :: v_dual_sub_f32 v95, v95, v113
	v_add_f32_e32 v95, v95, v98
	v_cvt_i32_f32_e32 v98, v113
	s_delay_alu instid0(VALU_DEP_2) | instskip(SKIP_1) | instid1(TRANS32_DEP_1)
	v_exp_f32_e32 v95, v95
	v_nop
	v_ldexp_f32 v95, v95, v98
	s_delay_alu instid0(VALU_DEP_1) | instskip(SKIP_1) | instid1(VALU_DEP_2)
	v_cndmask_b32_e32 v95, 0, v95, vcc_lo
	v_cmp_nlt_f32_e32 vcc_lo, 0x42b17218, v94
	v_dual_cndmask_b32 v94, 0x7f800000, v95 :: v_dual_sub_f32 v95, v121, v30
	s_delay_alu instid0(VALU_DEP_1) | instskip(SKIP_1) | instid1(VALU_DEP_2)
	v_mul_f32_e32 v98, 0x3fb8aa3b, v95
	v_cmp_ngt_f32_e32 vcc_lo, 0xc2ce8ed0, v95
	v_fma_f32 v113, 0x3fb8aa3b, v95, -v98
	v_rndne_f32_e32 v114, v98
	s_delay_alu instid0(VALU_DEP_1) | instskip(NEXT) | instid1(VALU_DEP_1)
	v_dual_fmac_f32 v113, 0x32a5705f, v95 :: v_dual_sub_f32 v98, v98, v114
	v_add_f32_e32 v98, v98, v113
	v_cvt_i32_f32_e32 v113, v114
	s_delay_alu instid0(VALU_DEP_2) | instskip(SKIP_1) | instid1(TRANS32_DEP_1)
	v_exp_f32_e32 v98, v98
	v_nop
	v_ldexp_f32 v98, v98, v113
	s_delay_alu instid0(VALU_DEP_1) | instskip(SKIP_2) | instid1(VALU_DEP_3)
	v_cndmask_b32_e32 v98, 0, v98, vcc_lo
	v_cmp_nlt_f32_e32 vcc_lo, 0x42b17218, v95
	v_mul_f32_e32 v95, 0x3fb8aa3b, v92
	v_cndmask_b32_e32 v114, 0x7f800000, v98, vcc_lo
	s_delay_alu instid0(VALU_DEP_2) | instskip(SKIP_2) | instid1(VALU_DEP_2)
	v_fma_f32 v98, 0x3fb8aa3b, v92, -v95
	v_rndne_f32_e32 v113, v95
	v_cmp_ngt_f32_e32 vcc_lo, 0xc2ce8ed0, v92
	v_dual_fmac_f32 v98, 0x32a5705f, v92 :: v_dual_sub_f32 v95, v95, v113
	s_delay_alu instid0(VALU_DEP_1) | instskip(SKIP_1) | instid1(VALU_DEP_2)
	v_add_f32_e32 v95, v95, v98
	v_cvt_i32_f32_e32 v98, v113
	v_exp_f32_e32 v95, v95
	v_nop
	s_delay_alu instid0(TRANS32_DEP_1) | instskip(NEXT) | instid1(VALU_DEP_1)
	v_ldexp_f32 v95, v95, v98
	v_cndmask_b32_e32 v95, 0, v95, vcc_lo
	v_cmp_nlt_f32_e32 vcc_lo, 0x42b17218, v92
	s_delay_alu instid0(VALU_DEP_2) | instskip(NEXT) | instid1(VALU_DEP_1)
	v_cndmask_b32_e32 v120, 0x7f800000, v95, vcc_lo
	v_cvt_f16_f32_e32 v92, v120
	s_delay_alu instid0(VALU_DEP_1) | instskip(NEXT) | instid1(VALU_DEP_1)
	v_and_b32_e32 v92, 0xffff, v92
	v_mul_u32_u24_e32 v95, 0x10001, v92
	s_delay_alu instid0(VALU_DEP_1) | instskip(SKIP_2) | instid1(VALU_DEP_1)
	v_pk_mul_f16 v92, v89, v95
	v_pk_mul_f16 v89, v90, v95
	v_dual_sub_f32 v95, v129, v31 :: v_dual_sub_f32 v90, v112, v31
	v_mul_f32_e32 v98, 0x3fb8aa3b, v95
	v_cmp_ngt_f32_e32 vcc_lo, 0xc2ce8ed0, v95
	s_delay_alu instid0(VALU_DEP_2) | instskip(SKIP_1) | instid1(VALU_DEP_2)
	v_fma_f32 v112, 0x3fb8aa3b, v95, -v98
	v_rndne_f32_e32 v113, v98
	v_fmac_f32_e32 v112, 0x32a5705f, v95
	s_delay_alu instid0(VALU_DEP_2) | instskip(NEXT) | instid1(VALU_DEP_1)
	v_sub_f32_e32 v98, v98, v113
	v_add_f32_e32 v98, v98, v112
	v_cvt_i32_f32_e32 v112, v113
	s_delay_alu instid0(VALU_DEP_2) | instskip(SKIP_1) | instid1(TRANS32_DEP_1)
	v_exp_f32_e32 v98, v98
	v_nop
	v_ldexp_f32 v98, v98, v112
	s_delay_alu instid0(VALU_DEP_1) | instskip(SKIP_1) | instid1(VALU_DEP_2)
	v_cndmask_b32_e32 v98, 0, v98, vcc_lo
	v_cmp_nlt_f32_e32 vcc_lo, 0x42b17218, v95
	v_dual_cndmask_b32 v95, 0x7f800000, v98 :: v_dual_sub_f32 v98, v126, v31
	v_pk_add_f32 v[126:127], v[116:117], v[124:125]
	s_delay_alu instid0(VALU_DEP_2) | instskip(SKIP_1) | instid1(VALU_DEP_3)
	v_mul_f32_e32 v112, 0x3fb8aa3b, v98
	v_cmp_ngt_f32_e32 vcc_lo, 0xc2ce8ed0, v98
	v_pk_fma_f32 v[20:21], v[20:21], v[96:97], v[126:127]
	v_cvt_pk_f16_f32 v96, v116, v117
	s_delay_alu instid0(VALU_DEP_4) | instskip(SKIP_1) | instid1(VALU_DEP_1)
	v_fma_f32 v113, 0x3fb8aa3b, v98, -v112
	v_rndne_f32_e32 v115, v112
	v_dual_fmac_f32 v113, 0x32a5705f, v98 :: v_dual_sub_f32 v112, v112, v115
	v_cvt_pk_f16_f32 v97, v94, v95
	s_delay_alu instid0(VALU_DEP_2) | instskip(SKIP_1) | instid1(VALU_DEP_2)
	v_add_f32_e32 v112, v112, v113
	v_cvt_i32_f32_e32 v113, v115
	v_exp_f32_e32 v112, v112
	v_nop
	s_delay_alu instid0(TRANS32_DEP_1) | instskip(NEXT) | instid1(VALU_DEP_1)
	v_ldexp_f32 v112, v112, v113
	v_cndmask_b32_e32 v112, 0, v112, vcc_lo
	v_cmp_nlt_f32_e32 vcc_lo, 0x42b17218, v98
	v_mul_f32_e32 v98, 0x3fb8aa3b, v90
	s_delay_alu instid0(VALU_DEP_1) | instskip(NEXT) | instid1(VALU_DEP_4)
	v_rndne_f32_e32 v113, v98
	v_cndmask_b32_e32 v115, 0x7f800000, v112, vcc_lo
	v_fma_f32 v112, 0x3fb8aa3b, v90, -v98
	v_cmp_ngt_f32_e32 vcc_lo, 0xc2ce8ed0, v90
	s_delay_alu instid0(VALU_DEP_4) | instskip(NEXT) | instid1(VALU_DEP_4)
	v_sub_f32_e32 v98, v98, v113
	v_pk_add_f32 v[128:129], v[94:95], v[114:115]
	s_delay_alu instid0(VALU_DEP_4) | instskip(SKIP_2) | instid1(VALU_DEP_3)
	v_fmac_f32_e32 v112, 0x32a5705f, v90
	v_cvt_pk_f16_f32 v94, v0, v1
	v_cvt_pk_f16_f32 v95, v108, v109
	v_add_f32_e32 v98, v98, v112
	v_cvt_i32_f32_e32 v112, v113
	ds_store_b128 v106, v[94:97]
	v_cvt_pk_f16_f32 v94, v2, v3
	v_cvt_pk_f16_f32 v97, v114, v115
	v_exp_f32_e32 v98, v98
	v_cvt_pk_f16_f32 v96, v124, v125
	v_cvt_pk_f16_f32 v95, v110, v111
	s_delay_alu instid0(TRANS32_DEP_1)
	v_ldexp_f32 v98, v98, v112
	v_pk_add_f32 v[112:113], v[0:1], v[2:3]
	v_add_nc_u64_e32 v[0:1], s[38:39], v[62:63]
	ds_store_b128 v106, v[94:97] offset:512
	v_pk_fma_f32 v[16:17], v[16:17], v[4:5], v[112:113]
	v_add_nc_u64_e32 v[0:1], v[0:1], v[34:35]
	global_load_b128 v[0:3], v[0:1], off
	s_wait_loadcnt 0x0
	ds_store_b128 v103, v[0:3]
	v_add_nc_u64_e32 v[0:1], s[38:39], v[64:65]
	s_or_b32 s38, s14, 32
	s_delay_alu instid0(SALU_CYCLE_1) | instskip(NEXT) | instid1(SALU_CYCLE_1)
	s_ashr_i32 s39, s38, 31
	s_mul_u64 s[38:39], s[38:39], s[10:11]
	s_delay_alu instid0(VALU_DEP_1) | instskip(SKIP_1) | instid1(SALU_CYCLE_1)
	v_add_nc_u64_e32 v[0:1], v[0:1], v[34:35]
	s_lshl_b64 s[38:39], s[38:39], 2
	s_add_nc_u64 s[38:39], s[8:9], s[38:39]
	global_load_b128 v[0:3], v[0:1], off
	s_wait_loadcnt 0x0
	ds_store_b128 v104, v[0:3]
	s_wait_dscnt 0x0
	s_barrier_signal -1
	s_barrier_wait -1
	ds_load_2addr_b64 v[0:3], v105 offset1:32
	ds_load_b128 v[94:97], v102
	ds_load_b128 v[108:111], v102 offset:16
	ds_load_b128 v[112:115], v102 offset:32
	;; [unrolled: 1-line block ×3, first 2 shown]
	v_cndmask_b32_e32 v98, 0, v98, vcc_lo
	v_cmp_nlt_f32_e32 vcc_lo, 0x42b17218, v90
	s_wait_dscnt 0x3
	s_delay_alu instid0(VALU_DEP_2) | instskip(SKIP_3) | instid1(VALU_DEP_4)
	v_dual_cndmask_b32 v121, 0x7f800000, v98 :: v_dual_lshrrev_b32 v90, 16, v96
	v_lshrrev_b32_e32 v98, 16, v97
	v_and_b32_e32 v96, 0xffff, v96
	v_and_b32_e32 v97, 0xffff, v97
	v_mul_u32_u24_e32 v90, 0x10001, v90
	v_cvt_f16_f32_e32 v4, v121
	v_mul_u32_u24_e32 v98, 0x10001, v98
	v_mul_u32_u24_e32 v96, 0x10001, v96
	v_mul_u32_u24_e32 v97, 0x10001, v97
	v_pk_fma_f16 v93, v0, v90, v93
	v_and_b32_e32 v4, 0xffff, v4
	s_delay_alu instid0(VALU_DEP_4) | instskip(NEXT) | instid1(VALU_DEP_4)
	v_pk_fma_f16 v15, v0, v96, v15
	v_pk_fma_f16 v92, v0, v97, v92
	s_delay_alu instid0(VALU_DEP_3) | instskip(NEXT) | instid1(VALU_DEP_1)
	v_mul_u32_u24_e32 v4, 0x10001, v4
	v_pk_mul_f16 v5, v87, v4
	v_pk_mul_f16 v4, v88, v4
	v_dual_lshrrev_b32 v87, 16, v94 :: v_dual_lshrrev_b32 v88, 16, v95
	v_and_b32_e32 v94, 0xffff, v94
	v_and_b32_e32 v95, 0xffff, v95
	v_pk_fma_f32 v[22:23], v[22:23], v[120:121], v[128:129]
	s_delay_alu instid0(VALU_DEP_4) | instskip(SKIP_3) | instid1(VALU_DEP_4)
	v_mul_u32_u24_e32 v87, 0x10001, v87
	v_mul_u32_u24_e32 v88, 0x10001, v88
	;; [unrolled: 1-line block ×4, first 2 shown]
	v_pk_fma_f16 v9, v0, v87, v9
	s_delay_alu instid0(VALU_DEP_4) | instskip(NEXT) | instid1(VALU_DEP_4)
	v_pk_fma_f16 v13, v0, v88, v13
	v_pk_fma_f16 v7, v0, v94, v7
	s_delay_alu instid0(VALU_DEP_4)
	v_pk_fma_f16 v11, v0, v95, v11
	v_pk_fma_f16 v0, v0, v98, v5
	;; [unrolled: 1-line block ×10, first 2 shown]
	s_wait_dscnt 0x2
	v_dual_lshrrev_b32 v4, 16, v108 :: v_dual_lshrrev_b32 v88, 16, v109
	v_and_b32_e32 v94, 0xffff, v109
	v_dual_lshrrev_b32 v89, 16, v110 :: v_dual_lshrrev_b32 v90, 16, v111
	v_and_b32_e32 v91, 0xffff, v108
	s_delay_alu instid0(VALU_DEP_4) | instskip(NEXT) | instid1(VALU_DEP_4)
	v_mul_u32_u24_e32 v4, 0x10001, v4
	v_mul_u32_u24_e32 v94, 0x10001, v94
	;; [unrolled: 1-line block ×3, first 2 shown]
	v_and_b32_e32 v95, 0xffff, v110
	v_and_b32_e32 v96, 0xffff, v111
	v_mul_u32_u24_e32 v91, 0x10001, v91
	v_mul_u32_u24_e32 v89, 0x10001, v89
	v_pk_fma_f16 v9, v2, v4, v9
	v_mul_u32_u24_e32 v95, 0x10001, v95
	v_mul_u32_u24_e32 v96, 0x10001, v96
	v_pk_fma_f16 v13, v2, v88, v13
	v_pk_fma_f16 v4, v3, v4, v6
	;; [unrolled: 1-line block ×4, first 2 shown]
	s_wait_dscnt 0x1
	v_lshrrev_b32_e32 v88, 16, v112
	v_mul_u32_u24_e32 v90, 0x10001, v90
	v_pk_fma_f16 v7, v2, v91, v7
	v_pk_fma_f16 v11, v2, v94, v11
	;; [unrolled: 1-line block ×11, first 2 shown]
	ds_load_2addr_b64 v[0:3], v105 offset0:64 offset1:96
	v_dual_lshrrev_b32 v89, 16, v113 :: v_dual_lshrrev_b32 v90, 16, v114
	v_lshrrev_b32_e32 v91, 16, v115
	v_and_b32_e32 v94, 0xffff, v112
	v_and_b32_e32 v95, 0xffff, v113
	;; [unrolled: 1-line block ×4, first 2 shown]
	v_mul_u32_u24_e32 v88, 0x10001, v88
	v_mul_u32_u24_e32 v94, 0x10001, v94
	;; [unrolled: 1-line block ×8, first 2 shown]
	s_wait_dscnt 0x0
	v_pk_fma_f16 v7, v0, v94, v7
	v_pk_fma_f16 v9, v0, v88, v9
	;; [unrolled: 1-line block ×16, first 2 shown]
	v_dual_lshrrev_b32 v87, 16, v116 :: v_dual_lshrrev_b32 v88, 16, v117
	v_dual_lshrrev_b32 v89, 16, v118 :: v_dual_lshrrev_b32 v90, 16, v119
	v_and_b32_e32 v91, 0xffff, v116
	v_and_b32_e32 v94, 0xffff, v117
	;; [unrolled: 1-line block ×4, first 2 shown]
	v_mul_u32_u24_e32 v87, 0x10001, v87
	v_mul_u32_u24_e32 v91, 0x10001, v91
	;; [unrolled: 1-line block ×8, first 2 shown]
	v_pk_fma_f16 v97, v2, v91, v7
	v_pk_fma_f16 v9, v2, v87, v9
	;; [unrolled: 1-line block ×16, first 2 shown]
	ds_load_2addr_b64 v[0:3], v105 offset0:128 offset1:160
	ds_load_b128 v[4:7], v102 offset:64
	s_wait_dscnt 0x0
	v_dual_lshrrev_b32 v89, 16, v4 :: v_dual_lshrrev_b32 v90, 16, v5
	v_dual_lshrrev_b32 v95, 16, v6 :: v_dual_lshrrev_b32 v96, 16, v7
	v_and_b32_e32 v4, 0xffff, v4
	v_and_b32_e32 v5, 0xffff, v5
	;; [unrolled: 1-line block ×4, first 2 shown]
	v_mul_u32_u24_e32 v89, 0x10001, v89
	v_mul_u32_u24_e32 v4, 0x10001, v4
	;; [unrolled: 1-line block ×5, first 2 shown]
	v_pk_fma_f16 v9, v0, v89, v9
	v_pk_fma_f16 v97, v0, v4, v97
	;; [unrolled: 1-line block ×10, first 2 shown]
	ds_load_b128 v[4:7], v102 offset:80
	v_mul_u32_u24_e32 v90, 0x10001, v90
	v_mul_u32_u24_e32 v95, 0x10001, v95
	v_mul_u32_u24_e32 v96, 0x10001, v96
	s_delay_alu instid0(VALU_DEP_3) | instskip(NEXT) | instid1(VALU_DEP_3)
	v_pk_fma_f16 v13, v0, v90, v13
	v_pk_fma_f16 v93, v0, v95, v93
	;; [unrolled: 1-line block ×6, first 2 shown]
	s_wait_dscnt 0x0
	v_dual_lshrrev_b32 v88, 16, v4 :: v_dual_lshrrev_b32 v90, 16, v5
	v_dual_lshrrev_b32 v94, 16, v6 :: v_dual_lshrrev_b32 v95, 16, v7
	v_and_b32_e32 v4, 0xffff, v4
	v_and_b32_e32 v5, 0xffff, v5
	;; [unrolled: 1-line block ×4, first 2 shown]
	v_mul_u32_u24_e32 v88, 0x10001, v88
	v_mul_u32_u24_e32 v4, 0x10001, v4
	;; [unrolled: 1-line block ×8, first 2 shown]
	v_pk_fma_f16 v96, v2, v4, v97
	v_pk_fma_f16 v9, v2, v88, v9
	;; [unrolled: 1-line block ×16, first 2 shown]
	ds_load_2addr_b64 v[0:3], v105 offset0:192 offset1:224
	ds_load_b128 v[4:7], v102 offset:96
	s_wait_dscnt 0x0
	v_dual_lshrrev_b32 v90, 16, v4 :: v_dual_lshrrev_b32 v94, 16, v5
	v_dual_lshrrev_b32 v95, 16, v6 :: v_dual_lshrrev_b32 v98, 16, v7
	v_and_b32_e32 v4, 0xffff, v4
	v_and_b32_e32 v5, 0xffff, v5
	;; [unrolled: 1-line block ×4, first 2 shown]
	v_mul_u32_u24_e32 v90, 0x10001, v90
	v_mul_u32_u24_e32 v4, 0x10001, v4
	;; [unrolled: 1-line block ×6, first 2 shown]
	v_pk_fma_f16 v96, v0, v4, v96
	v_pk_fma_f16 v11, v0, v5, v11
	v_pk_fma_f16 v15, v0, v6, v15
	v_pk_fma_f16 v92, v0, v7, v92
	v_pk_fma_f16 v91, v1, v4, v91
	v_pk_fma_f16 v88, v1, v5, v88
	v_pk_fma_f16 v10, v1, v6, v10
	v_pk_fma_f16 v14, v1, v7, v14
	ds_load_b128 v[4:7], v102 offset:112
	v_mul_u32_u24_e32 v95, 0x10001, v95
	v_mul_u32_u24_e32 v98, 0x10001, v98
	v_pk_fma_f16 v9, v0, v90, v9
	v_pk_fma_f16 v87, v1, v90, v87
	;; [unrolled: 1-line block ×8, first 2 shown]
	s_wait_dscnt 0x0
	v_dual_lshrrev_b32 v89, 16, v4 :: v_dual_lshrrev_b32 v90, 16, v5
	v_dual_lshrrev_b32 v94, 16, v6 :: v_dual_lshrrev_b32 v95, 16, v7
	v_and_b32_e32 v4, 0xffff, v4
	s_delay_alu instid0(VALU_DEP_3)
	v_mul_u32_u24_e32 v89, 0x10001, v89
	v_and_b32_e32 v5, 0xffff, v5
	v_mul_u32_u24_e32 v90, 0x10001, v90
	v_and_b32_e32 v6, 0xffff, v6
	v_and_b32_e32 v7, 0xffff, v7
	v_mul_u32_u24_e32 v95, 0x10001, v95
	v_mul_u32_u24_e32 v4, 0x10001, v4
	;; [unrolled: 1-line block ×6, first 2 shown]
	v_pk_fma_f16 v97, v2, v89, v9
	v_pk_fma_f16 v13, v2, v90, v13
	;; [unrolled: 1-line block ×5, first 2 shown]
	v_add_nc_u32_e32 v1, 0x800, v105
	v_pk_fma_f16 v96, v2, v4, v96
	v_pk_fma_f16 v11, v2, v5, v11
	;; [unrolled: 1-line block ×11, first 2 shown]
	ds_load_2addr_b64 v[2:5], v1 offset1:32
	ds_load_b128 v[6:9], v102 offset:128
	s_wait_dscnt 0x0
	v_dual_lshrrev_b32 v94, 16, v6 :: v_dual_lshrrev_b32 v95, 16, v7
	v_dual_lshrrev_b32 v98, 16, v8 :: v_dual_lshrrev_b32 v108, 16, v9
	v_and_b32_e32 v6, 0xffff, v6
	v_and_b32_e32 v7, 0xffff, v7
	;; [unrolled: 1-line block ×4, first 2 shown]
	v_mul_u32_u24_e32 v94, 0x10001, v94
	v_mul_u32_u24_e32 v6, 0x10001, v6
	;; [unrolled: 1-line block ×8, first 2 shown]
	v_pk_fma_f16 v96, v2, v6, v96
	v_pk_fma_f16 v97, v2, v94, v97
	;; [unrolled: 1-line block ×12, first 2 shown]
	ds_load_b128 v[6:9], v102 offset:144
	v_pk_fma_f16 v87, v3, v94, v87
	v_pk_fma_f16 v89, v3, v95, v89
	;; [unrolled: 1-line block ×4, first 2 shown]
	s_wait_dscnt 0x0
	v_dual_lshrrev_b32 v90, 16, v6 :: v_dual_lshrrev_b32 v91, 16, v7
	v_dual_lshrrev_b32 v94, 16, v8 :: v_dual_lshrrev_b32 v95, 16, v9
	v_and_b32_e32 v6, 0xffff, v6
	v_and_b32_e32 v7, 0xffff, v7
	;; [unrolled: 1-line block ×4, first 2 shown]
	v_mul_u32_u24_e32 v90, 0x10001, v90
	v_mul_u32_u24_e32 v6, 0x10001, v6
	;; [unrolled: 1-line block ×8, first 2 shown]
	v_pk_fma_f16 v96, v4, v6, v96
	v_pk_fma_f16 v97, v4, v90, v97
	;; [unrolled: 1-line block ×16, first 2 shown]
	ds_load_2addr_b64 v[2:5], v1 offset0:64 offset1:96
	ds_load_b128 v[6:9], v102 offset:160
	s_wait_dscnt 0x0
	v_dual_lshrrev_b32 v91, 16, v6 :: v_dual_lshrrev_b32 v94, 16, v7
	v_dual_lshrrev_b32 v95, 16, v8 :: v_dual_lshrrev_b32 v108, 16, v9
	v_and_b32_e32 v6, 0xffff, v6
	v_and_b32_e32 v7, 0xffff, v7
	;; [unrolled: 1-line block ×4, first 2 shown]
	v_mul_u32_u24_e32 v91, 0x10001, v91
	v_mul_u32_u24_e32 v6, 0x10001, v6
	;; [unrolled: 1-line block ×8, first 2 shown]
	v_pk_fma_f16 v96, v2, v6, v96
	v_pk_fma_f16 v97, v2, v91, v97
	;; [unrolled: 1-line block ×12, first 2 shown]
	ds_load_b128 v[6:9], v102 offset:176
	v_pk_fma_f16 v87, v3, v91, v87
	v_pk_fma_f16 v89, v3, v94, v89
	v_pk_fma_f16 v12, v3, v95, v12
	v_pk_fma_f16 v3, v3, v108, v90
	s_wait_dscnt 0x0
	v_dual_lshrrev_b32 v90, 16, v6 :: v_dual_lshrrev_b32 v91, 16, v7
	v_dual_lshrrev_b32 v94, 16, v8 :: v_dual_lshrrev_b32 v95, 16, v9
	v_and_b32_e32 v6, 0xffff, v6
	v_and_b32_e32 v7, 0xffff, v7
	;; [unrolled: 1-line block ×4, first 2 shown]
	v_mul_u32_u24_e32 v90, 0x10001, v90
	v_mul_u32_u24_e32 v6, 0x10001, v6
	;; [unrolled: 1-line block ×8, first 2 shown]
	v_pk_fma_f16 v96, v4, v6, v96
	v_pk_fma_f16 v97, v4, v90, v97
	;; [unrolled: 1-line block ×16, first 2 shown]
	ds_load_2addr_b64 v[2:5], v1 offset0:128 offset1:160
	ds_load_b128 v[6:9], v102 offset:192
	s_wait_dscnt 0x0
	v_dual_lshrrev_b32 v91, 16, v6 :: v_dual_lshrrev_b32 v94, 16, v7
	v_dual_lshrrev_b32 v95, 16, v8 :: v_dual_lshrrev_b32 v108, 16, v9
	v_and_b32_e32 v6, 0xffff, v6
	v_and_b32_e32 v7, 0xffff, v7
	;; [unrolled: 1-line block ×4, first 2 shown]
	v_mul_u32_u24_e32 v91, 0x10001, v91
	v_mul_u32_u24_e32 v6, 0x10001, v6
	;; [unrolled: 1-line block ×8, first 2 shown]
	v_pk_fma_f16 v96, v2, v6, v96
	v_pk_fma_f16 v97, v2, v91, v97
	v_pk_fma_f16 v11, v2, v7, v11
	v_pk_fma_f16 v13, v2, v94, v13
	v_pk_fma_f16 v15, v2, v8, v15
	v_pk_fma_f16 v93, v2, v95, v93
	v_pk_fma_f16 v92, v2, v9, v92
	v_pk_fma_f16 v0, v2, v108, v0
	v_pk_fma_f16 v2, v3, v6, v98
	v_pk_fma_f16 v88, v3, v7, v88
	v_pk_fma_f16 v10, v3, v8, v10
	v_pk_fma_f16 v14, v3, v9, v14
	ds_load_b128 v[6:9], v102 offset:208
	v_pk_fma_f16 v87, v3, v91, v87
	v_pk_fma_f16 v89, v3, v94, v89
	v_pk_fma_f16 v12, v3, v95, v12
	v_pk_fma_f16 v3, v3, v108, v90
	s_wait_dscnt 0x0
	v_dual_lshrrev_b32 v90, 16, v6 :: v_dual_lshrrev_b32 v91, 16, v7
	v_dual_lshrrev_b32 v94, 16, v8 :: v_dual_lshrrev_b32 v95, 16, v9
	v_and_b32_e32 v6, 0xffff, v6
	v_and_b32_e32 v7, 0xffff, v7
	;; [unrolled: 1-line block ×4, first 2 shown]
	v_mul_u32_u24_e32 v90, 0x10001, v90
	v_mul_u32_u24_e32 v6, 0x10001, v6
	;; [unrolled: 1-line block ×8, first 2 shown]
	v_pk_fma_f16 v96, v4, v6, v96
	v_pk_fma_f16 v97, v4, v90, v97
	;; [unrolled: 1-line block ×16, first 2 shown]
	ds_load_2addr_b64 v[2:5], v1 offset0:192 offset1:224
	ds_load_b128 v[6:9], v102 offset:224
	s_wait_dscnt 0x0
	v_dual_lshrrev_b32 v91, 16, v6 :: v_dual_lshrrev_b32 v94, 16, v7
	v_dual_lshrrev_b32 v95, 16, v8 :: v_dual_lshrrev_b32 v108, 16, v9
	v_and_b32_e32 v6, 0xffff, v6
	v_and_b32_e32 v7, 0xffff, v7
	;; [unrolled: 1-line block ×4, first 2 shown]
	v_mul_u32_u24_e32 v91, 0x10001, v91
	v_mul_u32_u24_e32 v6, 0x10001, v6
	;; [unrolled: 1-line block ×8, first 2 shown]
	v_pk_fma_f16 v96, v2, v6, v96
	v_pk_fma_f16 v97, v2, v91, v97
	;; [unrolled: 1-line block ×12, first 2 shown]
	ds_load_b128 v[6:9], v102 offset:240
	v_pk_fma_f16 v87, v3, v91, v87
	v_pk_fma_f16 v89, v3, v94, v89
	;; [unrolled: 1-line block ×4, first 2 shown]
	s_wait_dscnt 0x0
	v_lshrrev_b32_e32 v90, 16, v6
	v_and_b32_e32 v6, 0xffff, v6
	v_dual_lshrrev_b32 v91, 16, v7 :: v_dual_lshrrev_b32 v94, 16, v8
	v_lshrrev_b32_e32 v95, 16, v9
	v_and_b32_e32 v7, 0xffff, v7
	s_delay_alu instid0(VALU_DEP_4)
	v_mul_u32_u24_e32 v6, 0x10001, v6
	v_and_b32_e32 v8, 0xffff, v8
	v_and_b32_e32 v9, 0xffff, v9
	v_mul_u32_u24_e32 v90, 0x10001, v90
	v_mul_u32_u24_e32 v7, 0x10001, v7
	v_mul_u32_u24_e32 v91, 0x10001, v91
	v_mul_u32_u24_e32 v8, 0x10001, v8
	v_mul_u32_u24_e32 v94, 0x10001, v94
	v_mul_u32_u24_e32 v9, 0x10001, v9
	v_mul_u32_u24_e32 v95, 0x10001, v95
	v_pk_fma_f16 v108, v5, v6, v2
	v_add_nc_u32_e32 v2, 0x1000, v105
	v_pk_fma_f16 v96, v4, v6, v96
	v_pk_fma_f16 v97, v4, v90, v97
	;; [unrolled: 1-line block ×15, first 2 shown]
	ds_load_2addr_b64 v[4:7], v2 offset1:32
	ds_load_b128 v[8:11], v102 offset:256
	s_wait_dscnt 0x0
	v_dual_lshrrev_b32 v91, 16, v8 :: v_dual_lshrrev_b32 v94, 16, v9
	v_dual_lshrrev_b32 v95, 16, v10 :: v_dual_lshrrev_b32 v109, 16, v11
	v_and_b32_e32 v8, 0xffff, v8
	v_and_b32_e32 v9, 0xffff, v9
	;; [unrolled: 1-line block ×4, first 2 shown]
	v_mul_u32_u24_e32 v91, 0x10001, v91
	v_mul_u32_u24_e32 v8, 0x10001, v8
	;; [unrolled: 1-line block ×8, first 2 shown]
	v_pk_fma_f16 v96, v4, v8, v96
	v_pk_fma_f16 v97, v4, v91, v97
	;; [unrolled: 1-line block ×12, first 2 shown]
	ds_load_b128 v[8:11], v102 offset:272
	v_pk_fma_f16 v87, v5, v91, v87
	v_pk_fma_f16 v89, v5, v94, v89
	v_pk_fma_f16 v12, v5, v95, v12
	v_pk_fma_f16 v3, v5, v109, v3
	s_wait_dscnt 0x0
	v_dual_lshrrev_b32 v5, 16, v8 :: v_dual_lshrrev_b32 v91, 16, v9
	v_dual_lshrrev_b32 v94, 16, v10 :: v_dual_lshrrev_b32 v95, 16, v11
	v_and_b32_e32 v8, 0xffff, v8
	v_and_b32_e32 v9, 0xffff, v9
	;; [unrolled: 1-line block ×4, first 2 shown]
	v_mul_u32_u24_e32 v5, 0x10001, v5
	v_mul_u32_u24_e32 v8, 0x10001, v8
	;; [unrolled: 1-line block ×8, first 2 shown]
	v_pk_fma_f16 v96, v6, v8, v96
	v_pk_fma_f16 v97, v6, v5, v97
	;; [unrolled: 1-line block ×16, first 2 shown]
	ds_load_2addr_b64 v[4:7], v2 offset0:64 offset1:96
	ds_load_b128 v[8:11], v102 offset:288
	s_wait_dscnt 0x0
	v_dual_lshrrev_b32 v91, 16, v8 :: v_dual_lshrrev_b32 v94, 16, v9
	v_dual_lshrrev_b32 v95, 16, v10 :: v_dual_lshrrev_b32 v109, 16, v11
	v_and_b32_e32 v8, 0xffff, v8
	v_and_b32_e32 v9, 0xffff, v9
	;; [unrolled: 1-line block ×4, first 2 shown]
	v_mul_u32_u24_e32 v91, 0x10001, v91
	v_mul_u32_u24_e32 v8, 0x10001, v8
	;; [unrolled: 1-line block ×8, first 2 shown]
	v_pk_fma_f16 v96, v4, v8, v96
	v_pk_fma_f16 v97, v4, v91, v97
	;; [unrolled: 1-line block ×12, first 2 shown]
	ds_load_b128 v[8:11], v102 offset:304
	v_pk_fma_f16 v87, v5, v91, v87
	v_pk_fma_f16 v89, v5, v94, v89
	;; [unrolled: 1-line block ×4, first 2 shown]
	s_wait_dscnt 0x0
	v_dual_lshrrev_b32 v5, 16, v8 :: v_dual_lshrrev_b32 v91, 16, v9
	v_dual_lshrrev_b32 v94, 16, v10 :: v_dual_lshrrev_b32 v95, 16, v11
	v_and_b32_e32 v8, 0xffff, v8
	v_and_b32_e32 v9, 0xffff, v9
	;; [unrolled: 1-line block ×4, first 2 shown]
	v_mul_u32_u24_e32 v5, 0x10001, v5
	v_mul_u32_u24_e32 v8, 0x10001, v8
	;; [unrolled: 1-line block ×8, first 2 shown]
	v_pk_fma_f16 v96, v6, v8, v96
	v_pk_fma_f16 v97, v6, v5, v97
	;; [unrolled: 1-line block ×16, first 2 shown]
	ds_load_2addr_b64 v[4:7], v2 offset0:128 offset1:160
	ds_load_b128 v[8:11], v102 offset:320
	s_wait_dscnt 0x0
	v_dual_lshrrev_b32 v91, 16, v8 :: v_dual_lshrrev_b32 v94, 16, v9
	v_dual_lshrrev_b32 v95, 16, v10 :: v_dual_lshrrev_b32 v109, 16, v11
	v_and_b32_e32 v8, 0xffff, v8
	v_and_b32_e32 v9, 0xffff, v9
	;; [unrolled: 1-line block ×4, first 2 shown]
	v_mul_u32_u24_e32 v91, 0x10001, v91
	v_mul_u32_u24_e32 v8, 0x10001, v8
	;; [unrolled: 1-line block ×8, first 2 shown]
	v_pk_fma_f16 v96, v4, v8, v96
	v_pk_fma_f16 v97, v4, v91, v97
	;; [unrolled: 1-line block ×12, first 2 shown]
	ds_load_b128 v[8:11], v102 offset:336
	v_pk_fma_f16 v87, v5, v91, v87
	v_pk_fma_f16 v89, v5, v94, v89
	;; [unrolled: 1-line block ×4, first 2 shown]
	s_wait_dscnt 0x0
	v_dual_lshrrev_b32 v5, 16, v8 :: v_dual_lshrrev_b32 v91, 16, v9
	v_dual_lshrrev_b32 v94, 16, v10 :: v_dual_lshrrev_b32 v95, 16, v11
	v_and_b32_e32 v8, 0xffff, v8
	v_and_b32_e32 v9, 0xffff, v9
	;; [unrolled: 1-line block ×4, first 2 shown]
	v_mul_u32_u24_e32 v5, 0x10001, v5
	v_mul_u32_u24_e32 v8, 0x10001, v8
	;; [unrolled: 1-line block ×8, first 2 shown]
	v_pk_fma_f16 v96, v6, v8, v96
	v_pk_fma_f16 v97, v6, v5, v97
	;; [unrolled: 1-line block ×16, first 2 shown]
	ds_load_2addr_b64 v[4:7], v2 offset0:192 offset1:224
	ds_load_b128 v[8:11], v102 offset:352
	s_wait_dscnt 0x0
	v_dual_lshrrev_b32 v91, 16, v8 :: v_dual_lshrrev_b32 v94, 16, v9
	v_dual_lshrrev_b32 v95, 16, v10 :: v_dual_lshrrev_b32 v109, 16, v11
	v_and_b32_e32 v8, 0xffff, v8
	v_and_b32_e32 v9, 0xffff, v9
	;; [unrolled: 1-line block ×4, first 2 shown]
	v_mul_u32_u24_e32 v91, 0x10001, v91
	v_mul_u32_u24_e32 v8, 0x10001, v8
	;; [unrolled: 1-line block ×8, first 2 shown]
	v_pk_fma_f16 v96, v4, v8, v96
	v_pk_fma_f16 v97, v4, v91, v97
	;; [unrolled: 1-line block ×12, first 2 shown]
	ds_load_b128 v[8:11], v102 offset:368
	v_pk_fma_f16 v12, v5, v95, v12
	v_pk_fma_f16 v87, v5, v91, v87
	;; [unrolled: 1-line block ×4, first 2 shown]
	s_wait_dscnt 0x0
	v_dual_lshrrev_b32 v95, 16, v11 :: v_dual_lshrrev_b32 v5, 16, v8
	v_dual_lshrrev_b32 v91, 16, v9 :: v_dual_lshrrev_b32 v94, 16, v10
	v_and_b32_e32 v8, 0xffff, v8
	v_and_b32_e32 v9, 0xffff, v9
	;; [unrolled: 1-line block ×4, first 2 shown]
	v_mul_u32_u24_e32 v95, 0x10001, v95
	v_mul_u32_u24_e32 v8, 0x10001, v8
	;; [unrolled: 1-line block ×8, first 2 shown]
	v_pk_fma_f16 v108, v6, v95, v0
	v_add_nc_u32_e32 v0, 0x1800, v105
	v_pk_fma_f16 v96, v6, v8, v96
	v_pk_fma_f16 v97, v6, v5, v97
	;; [unrolled: 1-line block ×15, first 2 shown]
	ds_load_2addr_b64 v[4:7], v0 offset1:32
	ds_load_b128 v[8:11], v102 offset:384
	s_wait_dscnt 0x0
	v_dual_lshrrev_b32 v91, 16, v8 :: v_dual_lshrrev_b32 v94, 16, v9
	v_dual_lshrrev_b32 v95, 16, v10 :: v_dual_lshrrev_b32 v110, 16, v11
	v_and_b32_e32 v8, 0xffff, v8
	v_and_b32_e32 v9, 0xffff, v9
	;; [unrolled: 1-line block ×4, first 2 shown]
	v_mul_u32_u24_e32 v91, 0x10001, v91
	v_mul_u32_u24_e32 v8, 0x10001, v8
	;; [unrolled: 1-line block ×8, first 2 shown]
	v_pk_fma_f16 v96, v4, v8, v96
	v_pk_fma_f16 v97, v4, v91, v97
	;; [unrolled: 1-line block ×12, first 2 shown]
	ds_load_b128 v[8:11], v102 offset:400
	v_pk_fma_f16 v87, v5, v91, v87
	v_pk_fma_f16 v89, v5, v94, v89
	;; [unrolled: 1-line block ×4, first 2 shown]
	s_wait_dscnt 0x0
	v_dual_lshrrev_b32 v5, 16, v8 :: v_dual_lshrrev_b32 v91, 16, v9
	v_dual_lshrrev_b32 v94, 16, v10 :: v_dual_lshrrev_b32 v95, 16, v11
	v_and_b32_e32 v8, 0xffff, v8
	v_and_b32_e32 v9, 0xffff, v9
	;; [unrolled: 1-line block ×4, first 2 shown]
	v_mul_u32_u24_e32 v5, 0x10001, v5
	v_mul_u32_u24_e32 v8, 0x10001, v8
	;; [unrolled: 1-line block ×8, first 2 shown]
	v_pk_fma_f16 v96, v6, v8, v96
	v_pk_fma_f16 v97, v6, v5, v97
	;; [unrolled: 1-line block ×16, first 2 shown]
	ds_load_2addr_b64 v[4:7], v0 offset0:64 offset1:96
	ds_load_b128 v[8:11], v102 offset:416
	s_wait_dscnt 0x0
	v_dual_lshrrev_b32 v91, 16, v8 :: v_dual_lshrrev_b32 v94, 16, v9
	v_dual_lshrrev_b32 v95, 16, v10 :: v_dual_lshrrev_b32 v110, 16, v11
	v_and_b32_e32 v8, 0xffff, v8
	v_and_b32_e32 v9, 0xffff, v9
	;; [unrolled: 1-line block ×4, first 2 shown]
	v_mul_u32_u24_e32 v91, 0x10001, v91
	v_mul_u32_u24_e32 v8, 0x10001, v8
	;; [unrolled: 1-line block ×6, first 2 shown]
	v_pk_fma_f16 v96, v4, v8, v96
	v_pk_fma_f16 v98, v4, v9, v98
	v_pk_fma_f16 v15, v4, v10, v15
	v_pk_fma_f16 v92, v4, v11, v92
	v_pk_fma_f16 v108, v5, v8, v108
	v_pk_fma_f16 v88, v5, v9, v88
	v_pk_fma_f16 v90, v5, v10, v90
	v_pk_fma_f16 v14, v5, v11, v14
	ds_load_b128 v[8:11], v102 offset:432
	v_mul_u32_u24_e32 v95, 0x10001, v95
	v_mul_u32_u24_e32 v110, 0x10001, v110
	v_pk_fma_f16 v97, v4, v91, v97
	v_pk_fma_f16 v13, v4, v94, v13
	;; [unrolled: 1-line block ×8, first 2 shown]
	s_wait_dscnt 0x0
	v_dual_lshrrev_b32 v5, 16, v8 :: v_dual_lshrrev_b32 v91, 16, v9
	v_dual_lshrrev_b32 v94, 16, v10 :: v_dual_lshrrev_b32 v95, 16, v11
	v_and_b32_e32 v8, 0xffff, v8
	v_and_b32_e32 v9, 0xffff, v9
	;; [unrolled: 1-line block ×4, first 2 shown]
	v_mul_u32_u24_e32 v5, 0x10001, v5
	v_mul_u32_u24_e32 v8, 0x10001, v8
	v_mul_u32_u24_e32 v9, 0x10001, v9
	v_mul_u32_u24_e32 v91, 0x10001, v91
	v_mul_u32_u24_e32 v10, 0x10001, v10
	v_mul_u32_u24_e32 v94, 0x10001, v94
	v_mul_u32_u24_e32 v11, 0x10001, v11
	v_mul_u32_u24_e32 v95, 0x10001, v95
	v_pk_fma_f16 v96, v6, v8, v96
	v_pk_fma_f16 v97, v6, v5, v97
	;; [unrolled: 1-line block ×16, first 2 shown]
	ds_load_2addr_b64 v[4:7], v0 offset0:128 offset1:160
	ds_load_b128 v[8:11], v102 offset:448
	s_wait_dscnt 0x0
	v_dual_lshrrev_b32 v91, 16, v8 :: v_dual_lshrrev_b32 v94, 16, v9
	v_dual_lshrrev_b32 v95, 16, v10 :: v_dual_lshrrev_b32 v110, 16, v11
	v_and_b32_e32 v8, 0xffff, v8
	v_and_b32_e32 v9, 0xffff, v9
	;; [unrolled: 1-line block ×4, first 2 shown]
	v_mul_u32_u24_e32 v91, 0x10001, v91
	v_mul_u32_u24_e32 v8, 0x10001, v8
	;; [unrolled: 1-line block ×6, first 2 shown]
	v_pk_fma_f16 v96, v4, v8, v96
	v_pk_fma_f16 v98, v4, v9, v98
	v_pk_fma_f16 v15, v4, v10, v15
	v_pk_fma_f16 v92, v4, v11, v92
	v_pk_fma_f16 v108, v5, v8, v108
	v_pk_fma_f16 v88, v5, v9, v88
	v_pk_fma_f16 v90, v5, v10, v90
	v_pk_fma_f16 v14, v5, v11, v14
	ds_load_b128 v[8:11], v102 offset:464
	v_mul_u32_u24_e32 v95, 0x10001, v95
	v_mul_u32_u24_e32 v110, 0x10001, v110
	v_pk_fma_f16 v97, v4, v91, v97
	v_pk_fma_f16 v13, v4, v94, v13
	;; [unrolled: 1-line block ×8, first 2 shown]
	s_wait_dscnt 0x0
	v_dual_lshrrev_b32 v5, 16, v8 :: v_dual_lshrrev_b32 v91, 16, v9
	v_dual_lshrrev_b32 v94, 16, v10 :: v_dual_lshrrev_b32 v95, 16, v11
	v_and_b32_e32 v8, 0xffff, v8
	v_and_b32_e32 v9, 0xffff, v9
	;; [unrolled: 1-line block ×4, first 2 shown]
	v_mul_u32_u24_e32 v5, 0x10001, v5
	v_mul_u32_u24_e32 v8, 0x10001, v8
	;; [unrolled: 1-line block ×8, first 2 shown]
	v_pk_fma_f16 v96, v6, v8, v96
	v_pk_fma_f16 v97, v6, v5, v97
	;; [unrolled: 1-line block ×16, first 2 shown]
	ds_load_2addr_b64 v[88:91], v0 offset0:192 offset1:224
	ds_load_b128 v[4:7], v102 offset:480
	s_wait_dscnt 0x0
	v_dual_lshrrev_b32 v14, 16, v4 :: v_dual_lshrrev_b32 v94, 16, v5
	v_dual_lshrrev_b32 v95, 16, v6 :: v_dual_lshrrev_b32 v110, 16, v7
	v_and_b32_e32 v4, 0xffff, v4
	v_and_b32_e32 v5, 0xffff, v5
	;; [unrolled: 1-line block ×4, first 2 shown]
	v_mul_u32_u24_e32 v14, 0x10001, v14
	v_mul_u32_u24_e32 v4, 0x10001, v4
	v_mul_u32_u24_e32 v5, 0x10001, v5
	v_mul_u32_u24_e32 v94, 0x10001, v94
	v_mul_u32_u24_e32 v6, 0x10001, v6
	v_mul_u32_u24_e32 v95, 0x10001, v95
	v_mul_u32_u24_e32 v7, 0x10001, v7
	v_mul_u32_u24_e32 v110, 0x10001, v110
	v_pk_fma_f16 v96, v88, v4, v96
	v_pk_fma_f16 v97, v88, v14, v97
	;; [unrolled: 1-line block ×14, first 2 shown]
	ds_load_b128 v[4:7], v102 offset:496
	v_pk_fma_f16 v95, v89, v95, v12
	v_pk_fma_f16 v89, v89, v110, v3
	s_wait_dscnt 0x0
	s_barrier_signal -1
	s_barrier_wait -1
	v_dual_lshrrev_b32 v3, 16, v4 :: v_dual_lshrrev_b32 v8, 16, v5
	v_dual_lshrrev_b32 v9, 16, v6 :: v_dual_lshrrev_b32 v10, 16, v7
	v_and_b32_e32 v4, 0xffff, v4
	s_delay_alu instid0(VALU_DEP_3)
	v_mul_u32_u24_e32 v12, 0x10001, v3
	v_and_b32_e32 v3, 0xffff, v5
	v_mul_u32_u24_e32 v112, 0x10001, v8
	v_mul_u32_u24_e32 v114, 0x10001, v9
	;; [unrolled: 1-line block ×5, first 2 shown]
	v_and_b32_e32 v3, 0xffff, v6
	v_pk_fma_f16 v4, v90, v12, v97
	v_pk_fma_f16 v6, v90, v112, v13
	;; [unrolled: 1-line block ×4, first 2 shown]
	v_mul_u32_u24_e32 v113, 0x10001, v3
	v_and_b32_e32 v3, 0xffff, v7
	v_pk_fma_f16 v10, v90, v116, v88
	v_pk_fma_f16 v12, v91, v12, v14
	;; [unrolled: 1-line block ×4, first 2 shown]
	v_mul_u32_u24_e32 v115, 0x10001, v3
	v_pk_fma_f16 v3, v90, v11, v96
	v_pk_fma_f16 v11, v91, v11, v109
	;; [unrolled: 1-line block ×8, first 2 shown]
	v_add_nc_u64_e32 v[90:91], s[38:39], v[62:63]
	s_delay_alu instid0(VALU_DEP_1) | instskip(SKIP_4) | instid1(VALU_DEP_1)
	v_add_nc_u64_e32 v[90:91], v[90:91], v[34:35]
	global_load_b128 v[90:93], v[90:91], off
	s_wait_loadcnt 0x0
	ds_store_b128 v103, v[90:93]
	v_add_nc_u64_e32 v[90:91], s[38:39], v[64:65]
	v_add_nc_u64_e32 v[90:91], v[90:91], v[34:35]
	global_load_b128 v[90:93], v[90:91], off
	s_wait_loadcnt 0x0
	ds_store_b128 v104, v[90:93]
	s_wait_dscnt 0x0
	s_barrier_signal -1
	s_barrier_wait -1
	ds_load_2addr_b64 v[90:93], v105 offset1:32
	ds_load_b128 v[94:97], v102 offset:512
	ds_load_b128 v[108:111], v102 offset:528
	;; [unrolled: 1-line block ×4, first 2 shown]
	s_wait_dscnt 0x3
	v_dual_lshrrev_b32 v98, 16, v94 :: v_dual_lshrrev_b32 v120, 16, v95
	v_dual_lshrrev_b32 v121, 16, v96 :: v_dual_lshrrev_b32 v122, 16, v97
	v_and_b32_e32 v94, 0xffff, v94
	v_and_b32_e32 v95, 0xffff, v95
	;; [unrolled: 1-line block ×4, first 2 shown]
	v_mul_u32_u24_e32 v98, 0x10001, v98
	v_mul_u32_u24_e32 v94, 0x10001, v94
	;; [unrolled: 1-line block ×8, first 2 shown]
	v_pk_fma_f16 v3, v90, v94, v3
	v_pk_fma_f16 v4, v90, v98, v4
	;; [unrolled: 1-line block ×16, first 2 shown]
	s_wait_dscnt 0x2
	v_dual_lshrrev_b32 v90, 16, v108 :: v_dual_lshrrev_b32 v91, 16, v109
	v_lshrrev_b32_e32 v94, 16, v110
	v_and_b32_e32 v97, 0xffff, v109
	v_and_b32_e32 v98, 0xffff, v110
	s_delay_alu instid0(VALU_DEP_4)
	v_mul_u32_u24_e32 v90, 0x10001, v90
	v_mul_u32_u24_e32 v91, 0x10001, v91
	v_lshrrev_b32_e32 v95, 16, v111
	v_mul_u32_u24_e32 v97, 0x10001, v97
	v_mul_u32_u24_e32 v98, 0x10001, v98
	v_and_b32_e32 v96, 0xffff, v108
	v_and_b32_e32 v108, 0xffff, v111
	v_pk_fma_f16 v109, v92, v90, v4
	v_pk_fma_f16 v110, v92, v97, v5
	v_pk_fma_f16 v111, v92, v91, v6
	v_pk_fma_f16 v120, v92, v98, v7
	ds_load_2addr_b64 v[4:7], v105 offset0:64 offset1:96
	v_mul_u32_u24_e32 v96, 0x10001, v96
	v_mul_u32_u24_e32 v94, 0x10001, v94
	;; [unrolled: 1-line block ×3, first 2 shown]
	v_pk_fma_f16 v12, v93, v90, v12
	s_wait_dscnt 0x2
	v_lshrrev_b32_e32 v90, 16, v112
	v_mul_u32_u24_e32 v95, 0x10001, v95
	v_pk_fma_f16 v3, v92, v96, v3
	v_pk_fma_f16 v8, v92, v94, v8
	;; [unrolled: 1-line block ×11, first 2 shown]
	v_dual_lshrrev_b32 v91, 16, v113 :: v_dual_lshrrev_b32 v92, 16, v114
	v_lshrrev_b32_e32 v93, 16, v115
	v_and_b32_e32 v94, 0xffff, v112
	v_and_b32_e32 v95, 0xffff, v113
	;; [unrolled: 1-line block ×4, first 2 shown]
	v_mul_u32_u24_e32 v90, 0x10001, v90
	v_mul_u32_u24_e32 v94, 0x10001, v94
	;; [unrolled: 1-line block ×8, first 2 shown]
	s_wait_dscnt 0x0
	v_pk_fma_f16 v3, v4, v94, v3
	v_pk_fma_f16 v98, v4, v90, v109
	;; [unrolled: 1-line block ×16, first 2 shown]
	v_dual_lshrrev_b32 v88, 16, v116 :: v_dual_lshrrev_b32 v89, 16, v117
	v_dual_lshrrev_b32 v90, 16, v118 :: v_dual_lshrrev_b32 v91, 16, v119
	v_and_b32_e32 v92, 0xffff, v116
	v_and_b32_e32 v93, 0xffff, v117
	;; [unrolled: 1-line block ×4, first 2 shown]
	v_mul_u32_u24_e32 v88, 0x10001, v88
	v_mul_u32_u24_e32 v92, 0x10001, v92
	;; [unrolled: 1-line block ×8, first 2 shown]
	v_pk_fma_f16 v3, v6, v92, v3
	v_pk_fma_f16 v96, v6, v88, v98
	;; [unrolled: 1-line block ×16, first 2 shown]
	ds_load_2addr_b64 v[4:7], v105 offset0:128 offset1:160
	ds_load_b128 v[8:11], v102 offset:576
	s_wait_dscnt 0x0
	v_dual_lshrrev_b32 v90, 16, v8 :: v_dual_lshrrev_b32 v91, 16, v9
	v_dual_lshrrev_b32 v93, 16, v10 :: v_dual_lshrrev_b32 v94, 16, v11
	v_and_b32_e32 v8, 0xffff, v8
	v_and_b32_e32 v9, 0xffff, v9
	;; [unrolled: 1-line block ×4, first 2 shown]
	v_mul_u32_u24_e32 v90, 0x10001, v90
	v_mul_u32_u24_e32 v8, 0x10001, v8
	;; [unrolled: 1-line block ×7, first 2 shown]
	v_pk_fma_f16 v3, v4, v8, v3
	v_pk_fma_f16 v95, v4, v90, v96
	;; [unrolled: 1-line block ×11, first 2 shown]
	ds_load_b128 v[8:11], v102 offset:592
	v_mul_u32_u24_e32 v94, 0x10001, v94
	v_pk_fma_f16 v88, v5, v90, v88
	v_pk_fma_f16 v13, v5, v91, v13
	;; [unrolled: 1-line block ×3, first 2 shown]
	s_delay_alu instid0(VALU_DEP_4)
	v_pk_fma_f16 v5, v5, v94, v89
	v_pk_fma_f16 v4, v4, v94, v111
	s_wait_dscnt 0x0
	v_dual_lshrrev_b32 v89, 16, v8 :: v_dual_lshrrev_b32 v90, 16, v9
	v_dual_lshrrev_b32 v91, 16, v10 :: v_dual_lshrrev_b32 v93, 16, v11
	v_and_b32_e32 v8, 0xffff, v8
	v_and_b32_e32 v9, 0xffff, v9
	;; [unrolled: 1-line block ×4, first 2 shown]
	v_mul_u32_u24_e32 v89, 0x10001, v89
	v_mul_u32_u24_e32 v8, 0x10001, v8
	;; [unrolled: 1-line block ×8, first 2 shown]
	v_pk_fma_f16 v3, v6, v8, v3
	v_pk_fma_f16 v94, v6, v89, v95
	;; [unrolled: 1-line block ×16, first 2 shown]
	ds_load_2addr_b64 v[4:7], v105 offset0:192 offset1:224
	ds_load_b128 v[8:11], v102 offset:608
	s_wait_dscnt 0x0
	v_dual_lshrrev_b32 v90, 16, v8 :: v_dual_lshrrev_b32 v91, 16, v9
	v_dual_lshrrev_b32 v93, 16, v10 :: v_dual_lshrrev_b32 v110, 16, v11
	v_and_b32_e32 v8, 0xffff, v8
	v_and_b32_e32 v9, 0xffff, v9
	;; [unrolled: 1-line block ×4, first 2 shown]
	v_mul_u32_u24_e32 v90, 0x10001, v90
	v_mul_u32_u24_e32 v8, 0x10001, v8
	;; [unrolled: 1-line block ×6, first 2 shown]
	v_pk_fma_f16 v3, v4, v8, v3
	v_pk_fma_f16 v95, v4, v9, v95
	;; [unrolled: 1-line block ×8, first 2 shown]
	ds_load_b128 v[8:11], v102 offset:624
	v_mul_u32_u24_e32 v93, 0x10001, v93
	v_mul_u32_u24_e32 v110, 0x10001, v110
	v_pk_fma_f16 v94, v4, v90, v94
	v_pk_fma_f16 v96, v4, v91, v96
	;; [unrolled: 1-line block ×8, first 2 shown]
	s_wait_dscnt 0x0
	v_dual_lshrrev_b32 v89, 16, v8 :: v_dual_lshrrev_b32 v90, 16, v9
	v_dual_lshrrev_b32 v91, 16, v10 :: v_dual_lshrrev_b32 v93, 16, v11
	v_and_b32_e32 v8, 0xffff, v8
	v_and_b32_e32 v9, 0xffff, v9
	;; [unrolled: 1-line block ×4, first 2 shown]
	v_mul_u32_u24_e32 v89, 0x10001, v89
	v_mul_u32_u24_e32 v8, 0x10001, v8
	;; [unrolled: 1-line block ×8, first 2 shown]
	v_pk_fma_f16 v3, v6, v8, v3
	v_pk_fma_f16 v94, v6, v89, v94
	;; [unrolled: 1-line block ×16, first 2 shown]
	ds_load_2addr_b64 v[4:7], v1 offset1:32
	ds_load_b128 v[8:11], v102 offset:640
	s_wait_dscnt 0x0
	v_dual_lshrrev_b32 v90, 16, v8 :: v_dual_lshrrev_b32 v91, 16, v9
	v_dual_lshrrev_b32 v93, 16, v10 :: v_dual_lshrrev_b32 v110, 16, v11
	v_and_b32_e32 v8, 0xffff, v8
	v_and_b32_e32 v9, 0xffff, v9
	;; [unrolled: 1-line block ×4, first 2 shown]
	v_mul_u32_u24_e32 v90, 0x10001, v90
	v_mul_u32_u24_e32 v8, 0x10001, v8
	;; [unrolled: 1-line block ×6, first 2 shown]
	v_pk_fma_f16 v3, v4, v8, v3
	v_pk_fma_f16 v95, v4, v9, v95
	;; [unrolled: 1-line block ×8, first 2 shown]
	ds_load_b128 v[8:11], v102 offset:656
	v_mul_u32_u24_e32 v93, 0x10001, v93
	v_mul_u32_u24_e32 v110, 0x10001, v110
	v_pk_fma_f16 v94, v4, v90, v94
	v_pk_fma_f16 v96, v4, v91, v96
	;; [unrolled: 1-line block ×8, first 2 shown]
	s_wait_dscnt 0x0
	v_dual_lshrrev_b32 v89, 16, v8 :: v_dual_lshrrev_b32 v90, 16, v9
	v_dual_lshrrev_b32 v91, 16, v10 :: v_dual_lshrrev_b32 v93, 16, v11
	v_and_b32_e32 v8, 0xffff, v8
	v_and_b32_e32 v9, 0xffff, v9
	;; [unrolled: 1-line block ×4, first 2 shown]
	v_mul_u32_u24_e32 v89, 0x10001, v89
	v_mul_u32_u24_e32 v8, 0x10001, v8
	;; [unrolled: 1-line block ×8, first 2 shown]
	v_pk_fma_f16 v3, v6, v8, v3
	v_pk_fma_f16 v94, v6, v89, v94
	;; [unrolled: 1-line block ×16, first 2 shown]
	ds_load_2addr_b64 v[4:7], v1 offset0:64 offset1:96
	ds_load_b128 v[8:11], v102 offset:672
	s_wait_dscnt 0x0
	v_dual_lshrrev_b32 v90, 16, v8 :: v_dual_lshrrev_b32 v91, 16, v9
	v_dual_lshrrev_b32 v93, 16, v10 :: v_dual_lshrrev_b32 v110, 16, v11
	v_and_b32_e32 v8, 0xffff, v8
	v_and_b32_e32 v9, 0xffff, v9
	;; [unrolled: 1-line block ×4, first 2 shown]
	v_mul_u32_u24_e32 v90, 0x10001, v90
	v_mul_u32_u24_e32 v8, 0x10001, v8
	;; [unrolled: 1-line block ×6, first 2 shown]
	v_pk_fma_f16 v3, v4, v8, v3
	v_pk_fma_f16 v95, v4, v9, v95
	;; [unrolled: 1-line block ×8, first 2 shown]
	ds_load_b128 v[8:11], v102 offset:688
	v_mul_u32_u24_e32 v93, 0x10001, v93
	v_mul_u32_u24_e32 v110, 0x10001, v110
	v_pk_fma_f16 v94, v4, v90, v94
	v_pk_fma_f16 v96, v4, v91, v96
	;; [unrolled: 1-line block ×8, first 2 shown]
	s_wait_dscnt 0x0
	v_dual_lshrrev_b32 v89, 16, v8 :: v_dual_lshrrev_b32 v90, 16, v9
	v_dual_lshrrev_b32 v91, 16, v10 :: v_dual_lshrrev_b32 v93, 16, v11
	v_and_b32_e32 v8, 0xffff, v8
	v_and_b32_e32 v9, 0xffff, v9
	;; [unrolled: 1-line block ×4, first 2 shown]
	v_mul_u32_u24_e32 v89, 0x10001, v89
	v_mul_u32_u24_e32 v8, 0x10001, v8
	;; [unrolled: 1-line block ×8, first 2 shown]
	v_pk_fma_f16 v3, v6, v8, v3
	v_pk_fma_f16 v94, v6, v89, v94
	;; [unrolled: 1-line block ×16, first 2 shown]
	ds_load_2addr_b64 v[4:7], v1 offset0:128 offset1:160
	ds_load_b128 v[8:11], v102 offset:704
	s_wait_dscnt 0x0
	v_dual_lshrrev_b32 v90, 16, v8 :: v_dual_lshrrev_b32 v91, 16, v9
	v_dual_lshrrev_b32 v93, 16, v10 :: v_dual_lshrrev_b32 v110, 16, v11
	v_and_b32_e32 v8, 0xffff, v8
	v_and_b32_e32 v9, 0xffff, v9
	;; [unrolled: 1-line block ×4, first 2 shown]
	v_mul_u32_u24_e32 v90, 0x10001, v90
	v_mul_u32_u24_e32 v8, 0x10001, v8
	v_mul_u32_u24_e32 v9, 0x10001, v9
	v_mul_u32_u24_e32 v10, 0x10001, v10
	v_mul_u32_u24_e32 v11, 0x10001, v11
	v_mul_u32_u24_e32 v91, 0x10001, v91
	v_pk_fma_f16 v3, v4, v8, v3
	v_pk_fma_f16 v95, v4, v9, v95
	;; [unrolled: 1-line block ×8, first 2 shown]
	ds_load_b128 v[8:11], v102 offset:720
	v_mul_u32_u24_e32 v93, 0x10001, v93
	v_mul_u32_u24_e32 v110, 0x10001, v110
	v_pk_fma_f16 v94, v4, v90, v94
	v_pk_fma_f16 v96, v4, v91, v96
	;; [unrolled: 1-line block ×8, first 2 shown]
	s_wait_dscnt 0x0
	v_dual_lshrrev_b32 v89, 16, v8 :: v_dual_lshrrev_b32 v90, 16, v9
	v_dual_lshrrev_b32 v91, 16, v10 :: v_dual_lshrrev_b32 v93, 16, v11
	v_and_b32_e32 v8, 0xffff, v8
	v_and_b32_e32 v9, 0xffff, v9
	;; [unrolled: 1-line block ×4, first 2 shown]
	v_mul_u32_u24_e32 v89, 0x10001, v89
	v_mul_u32_u24_e32 v8, 0x10001, v8
	;; [unrolled: 1-line block ×8, first 2 shown]
	v_pk_fma_f16 v3, v6, v8, v3
	v_pk_fma_f16 v94, v6, v89, v94
	;; [unrolled: 1-line block ×16, first 2 shown]
	ds_load_2addr_b64 v[4:7], v1 offset0:192 offset1:224
	ds_load_b128 v[8:11], v102 offset:736
	s_wait_dscnt 0x0
	v_dual_lshrrev_b32 v1, 16, v8 :: v_dual_lshrrev_b32 v90, 16, v9
	v_dual_lshrrev_b32 v91, 16, v10 :: v_dual_lshrrev_b32 v93, 16, v11
	v_and_b32_e32 v8, 0xffff, v8
	v_and_b32_e32 v9, 0xffff, v9
	;; [unrolled: 1-line block ×4, first 2 shown]
	v_mul_u32_u24_e32 v1, 0x10001, v1
	v_mul_u32_u24_e32 v8, 0x10001, v8
	;; [unrolled: 1-line block ×6, first 2 shown]
	v_pk_fma_f16 v3, v4, v8, v3
	v_pk_fma_f16 v95, v4, v9, v95
	;; [unrolled: 1-line block ×8, first 2 shown]
	ds_load_b128 v[8:11], v102 offset:752
	v_mul_u32_u24_e32 v91, 0x10001, v91
	v_pk_fma_f16 v94, v4, v1, v94
	v_pk_fma_f16 v1, v5, v1, v88
	;; [unrolled: 1-line block ×6, first 2 shown]
	s_wait_dscnt 0x0
	v_lshrrev_b32_e32 v88, 16, v8
	v_mul_u32_u24_e32 v93, 0x10001, v93
	v_dual_lshrrev_b32 v90, 16, v10 :: v_dual_lshrrev_b32 v91, 16, v11
	v_and_b32_e32 v8, 0xffff, v8
	v_and_b32_e32 v10, 0xffff, v10
	s_delay_alu instid0(VALU_DEP_4)
	v_pk_fma_f16 v5, v5, v93, v89
	v_lshrrev_b32_e32 v89, 16, v9
	v_and_b32_e32 v9, 0xffff, v9
	v_and_b32_e32 v11, 0xffff, v11
	v_pk_fma_f16 v4, v4, v93, v109
	v_mul_u32_u24_e32 v8, 0x10001, v8
	v_mul_u32_u24_e32 v88, 0x10001, v88
	;; [unrolled: 1-line block ×8, first 2 shown]
	v_pk_fma_f16 v3, v6, v8, v3
	v_pk_fma_f16 v93, v6, v88, v94
	;; [unrolled: 1-line block ×16, first 2 shown]
	ds_load_2addr_b64 v[4:7], v2 offset1:32
	ds_load_b128 v[8:11], v102 offset:768
	s_wait_dscnt 0x0
	v_dual_lshrrev_b32 v89, 16, v8 :: v_dual_lshrrev_b32 v90, 16, v9
	v_dual_lshrrev_b32 v91, 16, v10 :: v_dual_lshrrev_b32 v109, 16, v11
	v_and_b32_e32 v8, 0xffff, v8
	v_and_b32_e32 v9, 0xffff, v9
	;; [unrolled: 1-line block ×4, first 2 shown]
	v_mul_u32_u24_e32 v89, 0x10001, v89
	v_mul_u32_u24_e32 v8, 0x10001, v8
	;; [unrolled: 1-line block ×6, first 2 shown]
	v_pk_fma_f16 v3, v4, v8, v3
	v_pk_fma_f16 v94, v4, v9, v94
	v_pk_fma_f16 v96, v4, v10, v96
	v_pk_fma_f16 v98, v4, v11, v98
	v_pk_fma_f16 v92, v5, v8, v92
	v_pk_fma_f16 v12, v5, v9, v12
	v_pk_fma_f16 v14, v5, v10, v14
	v_pk_fma_f16 v87, v5, v11, v87
	ds_load_b128 v[8:11], v102 offset:784
	v_mul_u32_u24_e32 v91, 0x10001, v91
	v_mul_u32_u24_e32 v109, 0x10001, v109
	v_pk_fma_f16 v93, v4, v89, v93
	v_pk_fma_f16 v95, v4, v90, v95
	;; [unrolled: 1-line block ×8, first 2 shown]
	s_wait_dscnt 0x0
	v_dual_lshrrev_b32 v88, 16, v8 :: v_dual_lshrrev_b32 v89, 16, v9
	v_dual_lshrrev_b32 v90, 16, v10 :: v_dual_lshrrev_b32 v91, 16, v11
	v_and_b32_e32 v8, 0xffff, v8
	v_and_b32_e32 v9, 0xffff, v9
	;; [unrolled: 1-line block ×4, first 2 shown]
	v_mul_u32_u24_e32 v88, 0x10001, v88
	v_mul_u32_u24_e32 v8, 0x10001, v8
	v_mul_u32_u24_e32 v9, 0x10001, v9
	v_mul_u32_u24_e32 v89, 0x10001, v89
	v_mul_u32_u24_e32 v10, 0x10001, v10
	v_mul_u32_u24_e32 v90, 0x10001, v90
	v_mul_u32_u24_e32 v11, 0x10001, v11
	v_mul_u32_u24_e32 v91, 0x10001, v91
	v_pk_fma_f16 v3, v6, v8, v3
	v_pk_fma_f16 v93, v6, v88, v93
	;; [unrolled: 1-line block ×16, first 2 shown]
	ds_load_2addr_b64 v[4:7], v2 offset0:64 offset1:96
	ds_load_b128 v[8:11], v102 offset:800
	s_wait_dscnt 0x0
	v_dual_lshrrev_b32 v89, 16, v8 :: v_dual_lshrrev_b32 v90, 16, v9
	v_dual_lshrrev_b32 v91, 16, v10 :: v_dual_lshrrev_b32 v109, 16, v11
	v_and_b32_e32 v8, 0xffff, v8
	v_and_b32_e32 v9, 0xffff, v9
	v_and_b32_e32 v10, 0xffff, v10
	v_and_b32_e32 v11, 0xffff, v11
	v_mul_u32_u24_e32 v89, 0x10001, v89
	v_mul_u32_u24_e32 v8, 0x10001, v8
	;; [unrolled: 1-line block ×6, first 2 shown]
	v_pk_fma_f16 v3, v4, v8, v3
	v_pk_fma_f16 v94, v4, v9, v94
	;; [unrolled: 1-line block ×8, first 2 shown]
	ds_load_b128 v[8:11], v102 offset:816
	v_mul_u32_u24_e32 v91, 0x10001, v91
	v_mul_u32_u24_e32 v109, 0x10001, v109
	v_pk_fma_f16 v93, v4, v89, v93
	v_pk_fma_f16 v95, v4, v90, v95
	;; [unrolled: 1-line block ×8, first 2 shown]
	s_wait_dscnt 0x0
	v_dual_lshrrev_b32 v88, 16, v8 :: v_dual_lshrrev_b32 v89, 16, v9
	v_dual_lshrrev_b32 v90, 16, v10 :: v_dual_lshrrev_b32 v91, 16, v11
	v_and_b32_e32 v8, 0xffff, v8
	v_and_b32_e32 v9, 0xffff, v9
	;; [unrolled: 1-line block ×4, first 2 shown]
	v_mul_u32_u24_e32 v88, 0x10001, v88
	v_mul_u32_u24_e32 v8, 0x10001, v8
	;; [unrolled: 1-line block ×8, first 2 shown]
	v_pk_fma_f16 v3, v6, v8, v3
	v_pk_fma_f16 v93, v6, v88, v93
	;; [unrolled: 1-line block ×16, first 2 shown]
	ds_load_2addr_b64 v[4:7], v2 offset0:128 offset1:160
	ds_load_b128 v[8:11], v102 offset:832
	s_wait_dscnt 0x0
	v_dual_lshrrev_b32 v89, 16, v8 :: v_dual_lshrrev_b32 v90, 16, v9
	v_dual_lshrrev_b32 v91, 16, v10 :: v_dual_lshrrev_b32 v109, 16, v11
	v_and_b32_e32 v8, 0xffff, v8
	v_and_b32_e32 v9, 0xffff, v9
	;; [unrolled: 1-line block ×4, first 2 shown]
	v_mul_u32_u24_e32 v89, 0x10001, v89
	v_mul_u32_u24_e32 v8, 0x10001, v8
	;; [unrolled: 1-line block ×6, first 2 shown]
	v_pk_fma_f16 v3, v4, v8, v3
	v_pk_fma_f16 v94, v4, v9, v94
	;; [unrolled: 1-line block ×8, first 2 shown]
	ds_load_b128 v[8:11], v102 offset:848
	v_mul_u32_u24_e32 v91, 0x10001, v91
	v_mul_u32_u24_e32 v109, 0x10001, v109
	v_pk_fma_f16 v93, v4, v89, v93
	v_pk_fma_f16 v95, v4, v90, v95
	;; [unrolled: 1-line block ×8, first 2 shown]
	s_wait_dscnt 0x0
	v_dual_lshrrev_b32 v88, 16, v8 :: v_dual_lshrrev_b32 v89, 16, v9
	v_dual_lshrrev_b32 v90, 16, v10 :: v_dual_lshrrev_b32 v91, 16, v11
	v_and_b32_e32 v8, 0xffff, v8
	v_and_b32_e32 v9, 0xffff, v9
	;; [unrolled: 1-line block ×4, first 2 shown]
	v_mul_u32_u24_e32 v88, 0x10001, v88
	v_mul_u32_u24_e32 v8, 0x10001, v8
	;; [unrolled: 1-line block ×8, first 2 shown]
	v_pk_fma_f16 v108, v6, v8, v3
	v_pk_fma_f16 v93, v6, v88, v93
	;; [unrolled: 1-line block ×16, first 2 shown]
	ds_load_2addr_b64 v[2:5], v2 offset0:192 offset1:224
	ds_load_b128 v[6:9], v102 offset:864
	s_wait_dscnt 0x0
	v_dual_lshrrev_b32 v87, 16, v6 :: v_dual_lshrrev_b32 v88, 16, v7
	v_dual_lshrrev_b32 v89, 16, v8 :: v_dual_lshrrev_b32 v90, 16, v9
	v_and_b32_e32 v6, 0xffff, v6
	v_and_b32_e32 v7, 0xffff, v7
	;; [unrolled: 1-line block ×4, first 2 shown]
	v_mul_u32_u24_e32 v87, 0x10001, v87
	v_mul_u32_u24_e32 v6, 0x10001, v6
	;; [unrolled: 1-line block ×6, first 2 shown]
	v_pk_fma_f16 v91, v2, v6, v108
	v_pk_fma_f16 v94, v2, v7, v94
	;; [unrolled: 1-line block ×8, first 2 shown]
	ds_load_b128 v[6:9], v102 offset:880
	v_mul_u32_u24_e32 v89, 0x10001, v89
	v_mul_u32_u24_e32 v90, 0x10001, v90
	v_pk_fma_f16 v93, v2, v87, v93
	v_pk_fma_f16 v95, v2, v88, v95
	;; [unrolled: 1-line block ×8, first 2 shown]
	s_wait_dscnt 0x0
	v_dual_lshrrev_b32 v15, 16, v6 :: v_dual_lshrrev_b32 v87, 16, v7
	v_dual_lshrrev_b32 v88, 16, v8 :: v_dual_lshrrev_b32 v89, 16, v9
	v_and_b32_e32 v6, 0xffff, v6
	v_and_b32_e32 v7, 0xffff, v7
	v_and_b32_e32 v8, 0xffff, v8
	v_and_b32_e32 v9, 0xffff, v9
	v_mul_u32_u24_e32 v15, 0x10001, v15
	v_mul_u32_u24_e32 v6, 0x10001, v6
	;; [unrolled: 1-line block ×8, first 2 shown]
	v_pk_fma_f16 v90, v4, v6, v91
	v_pk_fma_f16 v91, v4, v15, v93
	v_pk_fma_f16 v93, v4, v7, v94
	v_pk_fma_f16 v94, v4, v87, v95
	v_pk_fma_f16 v95, v4, v8, v96
	v_pk_fma_f16 v96, v4, v88, v97
	v_pk_fma_f16 v97, v4, v9, v98
	v_pk_fma_f16 v98, v4, v89, v2
	v_pk_fma_f16 v92, v5, v6, v92
	v_pk_fma_f16 v1, v5, v15, v1
	v_pk_fma_f16 v12, v5, v7, v12
	v_pk_fma_f16 v13, v5, v87, v13
	v_pk_fma_f16 v10, v5, v8, v10
	v_pk_fma_f16 v14, v5, v88, v14
	v_pk_fma_f16 v11, v5, v9, v11
	v_pk_fma_f16 v15, v5, v89, v3
	ds_load_2addr_b64 v[2:5], v0 offset1:32
	ds_load_b128 v[6:9], v102 offset:896
	s_wait_dscnt 0x0
	v_dual_lshrrev_b32 v87, 16, v6 :: v_dual_lshrrev_b32 v88, 16, v7
	v_dual_lshrrev_b32 v89, 16, v8 :: v_dual_lshrrev_b32 v108, 16, v9
	v_and_b32_e32 v6, 0xffff, v6
	v_and_b32_e32 v7, 0xffff, v7
	;; [unrolled: 1-line block ×4, first 2 shown]
	v_mul_u32_u24_e32 v87, 0x10001, v87
	v_mul_u32_u24_e32 v6, 0x10001, v6
	;; [unrolled: 1-line block ×6, first 2 shown]
	v_pk_fma_f16 v90, v2, v6, v90
	v_pk_fma_f16 v93, v2, v7, v93
	;; [unrolled: 1-line block ×8, first 2 shown]
	ds_load_b128 v[6:9], v102 offset:912
	v_mul_u32_u24_e32 v89, 0x10001, v89
	v_mul_u32_u24_e32 v108, 0x10001, v108
	v_pk_fma_f16 v91, v2, v87, v91
	v_pk_fma_f16 v94, v2, v88, v94
	v_pk_fma_f16 v1, v3, v87, v1
	v_pk_fma_f16 v96, v2, v89, v96
	v_pk_fma_f16 v13, v3, v88, v13
	v_pk_fma_f16 v14, v3, v89, v14
	v_pk_fma_f16 v3, v3, v108, v15
	v_pk_fma_f16 v2, v2, v108, v98
	s_wait_dscnt 0x0
	v_dual_lshrrev_b32 v15, 16, v6 :: v_dual_lshrrev_b32 v87, 16, v7
	v_dual_lshrrev_b32 v88, 16, v8 :: v_dual_lshrrev_b32 v89, 16, v9
	v_and_b32_e32 v6, 0xffff, v6
	v_and_b32_e32 v7, 0xffff, v7
	;; [unrolled: 1-line block ×4, first 2 shown]
	v_mul_u32_u24_e32 v15, 0x10001, v15
	v_mul_u32_u24_e32 v6, 0x10001, v6
	;; [unrolled: 1-line block ×8, first 2 shown]
	v_pk_fma_f16 v90, v4, v6, v90
	v_pk_fma_f16 v91, v4, v15, v91
	;; [unrolled: 1-line block ×16, first 2 shown]
	ds_load_2addr_b64 v[2:5], v0 offset0:64 offset1:96
	ds_load_b128 v[6:9], v102 offset:928
	s_wait_dscnt 0x0
	v_dual_lshrrev_b32 v87, 16, v6 :: v_dual_lshrrev_b32 v88, 16, v7
	v_dual_lshrrev_b32 v89, 16, v8 :: v_dual_lshrrev_b32 v108, 16, v9
	v_and_b32_e32 v6, 0xffff, v6
	v_and_b32_e32 v7, 0xffff, v7
	;; [unrolled: 1-line block ×4, first 2 shown]
	v_mul_u32_u24_e32 v87, 0x10001, v87
	v_mul_u32_u24_e32 v6, 0x10001, v6
	;; [unrolled: 1-line block ×6, first 2 shown]
	v_pk_fma_f16 v90, v2, v6, v90
	v_pk_fma_f16 v93, v2, v7, v93
	;; [unrolled: 1-line block ×8, first 2 shown]
	ds_load_b128 v[6:9], v102 offset:944
	v_mul_u32_u24_e32 v89, 0x10001, v89
	v_mul_u32_u24_e32 v108, 0x10001, v108
	v_pk_fma_f16 v91, v2, v87, v91
	v_pk_fma_f16 v94, v2, v88, v94
	;; [unrolled: 1-line block ×8, first 2 shown]
	s_wait_dscnt 0x0
	v_dual_lshrrev_b32 v15, 16, v6 :: v_dual_lshrrev_b32 v87, 16, v7
	v_dual_lshrrev_b32 v88, 16, v8 :: v_dual_lshrrev_b32 v89, 16, v9
	v_and_b32_e32 v6, 0xffff, v6
	v_and_b32_e32 v7, 0xffff, v7
	;; [unrolled: 1-line block ×4, first 2 shown]
	v_mul_u32_u24_e32 v15, 0x10001, v15
	v_mul_u32_u24_e32 v6, 0x10001, v6
	;; [unrolled: 1-line block ×8, first 2 shown]
	v_pk_fma_f16 v90, v4, v6, v90
	v_pk_fma_f16 v91, v4, v15, v91
	;; [unrolled: 1-line block ×16, first 2 shown]
	ds_load_2addr_b64 v[2:5], v0 offset0:128 offset1:160
	ds_load_b128 v[6:9], v102 offset:960
	s_wait_dscnt 0x0
	v_dual_lshrrev_b32 v87, 16, v6 :: v_dual_lshrrev_b32 v88, 16, v7
	v_dual_lshrrev_b32 v89, 16, v8 :: v_dual_lshrrev_b32 v108, 16, v9
	v_and_b32_e32 v6, 0xffff, v6
	v_and_b32_e32 v7, 0xffff, v7
	;; [unrolled: 1-line block ×4, first 2 shown]
	v_mul_u32_u24_e32 v87, 0x10001, v87
	v_mul_u32_u24_e32 v6, 0x10001, v6
	;; [unrolled: 1-line block ×6, first 2 shown]
	v_pk_fma_f16 v90, v2, v6, v90
	v_pk_fma_f16 v93, v2, v7, v93
	;; [unrolled: 1-line block ×8, first 2 shown]
	ds_load_b128 v[6:9], v102 offset:976
	v_mul_u32_u24_e32 v89, 0x10001, v89
	v_mul_u32_u24_e32 v108, 0x10001, v108
	v_pk_fma_f16 v91, v2, v87, v91
	v_pk_fma_f16 v94, v2, v88, v94
	;; [unrolled: 1-line block ×8, first 2 shown]
	s_wait_dscnt 0x0
	v_dual_lshrrev_b32 v15, 16, v6 :: v_dual_lshrrev_b32 v87, 16, v7
	v_dual_lshrrev_b32 v88, 16, v8 :: v_dual_lshrrev_b32 v89, 16, v9
	v_and_b32_e32 v6, 0xffff, v6
	v_and_b32_e32 v7, 0xffff, v7
	;; [unrolled: 1-line block ×4, first 2 shown]
	v_mul_u32_u24_e32 v15, 0x10001, v15
	v_mul_u32_u24_e32 v6, 0x10001, v6
	;; [unrolled: 1-line block ×8, first 2 shown]
	v_pk_fma_f16 v90, v4, v6, v90
	v_pk_fma_f16 v91, v4, v15, v91
	;; [unrolled: 1-line block ×16, first 2 shown]
	ds_load_2addr_b64 v[0:3], v0 offset0:192 offset1:224
	ds_load_b128 v[4:7], v102 offset:992
	s_wait_dscnt 0x0
	v_dual_lshrrev_b32 v14, 16, v4 :: v_dual_lshrrev_b32 v87, 16, v5
	v_dual_lshrrev_b32 v88, 16, v6 :: v_dual_lshrrev_b32 v89, 16, v7
	v_and_b32_e32 v4, 0xffff, v4
	v_and_b32_e32 v5, 0xffff, v5
	;; [unrolled: 1-line block ×4, first 2 shown]
	v_mul_u32_u24_e32 v14, 0x10001, v14
	v_mul_u32_u24_e32 v4, 0x10001, v4
	;; [unrolled: 1-line block ×6, first 2 shown]
	v_pk_fma_f16 v90, v0, v4, v90
	v_pk_fma_f16 v93, v0, v5, v93
	;; [unrolled: 1-line block ×8, first 2 shown]
	ds_load_b128 v[4:7], v102 offset:1008
	s_wait_dscnt 0x0
	s_barrier_signal -1
	s_barrier_wait -1
	s_load_b32 s15, s[24:25], 0x4
	v_mul_u32_u24_e32 v88, 0x10001, v88
	v_mul_u32_u24_e32 v89, 0x10001, v89
	v_pk_fma_f16 v91, v0, v14, v91
	v_pk_fma_f16 v94, v0, v87, v94
	;; [unrolled: 1-line block ×8, first 2 shown]
	v_dual_lshrrev_b32 v11, 16, v4 :: v_dual_lshrrev_b32 v15, 16, v5
	v_dual_lshrrev_b32 v87, 16, v6 :: v_dual_lshrrev_b32 v88, 16, v7
	v_and_b32_e32 v4, 0xffff, v4
	v_and_b32_e32 v5, 0xffff, v5
	;; [unrolled: 1-line block ×4, first 2 shown]
	v_mul_u32_u24_e32 v11, 0x10001, v11
	v_mul_u32_u24_e32 v4, 0x10001, v4
	;; [unrolled: 1-line block ×8, first 2 shown]
	s_wait_kmcnt 0x0
	s_lshl_b32 s15, s15, 6
	v_pk_fma_f16 v110, v2, v4, v90
	v_pk_fma_f16 v108, v2, v11, v91
	;; [unrolled: 1-line block ×16, first 2 shown]
	s_add_co_i32 s14, s15, s14
	s_delay_alu instid0(SALU_CYCLE_1)
	s_cmp_lt_i32 s14, s3
	s_cbranch_scc0 .LBB52_44
; %bb.42:                               ;   in Loop: Header=BB52_8 Depth=1
	v_dual_mov_b32 v118, v24 :: v_dual_mov_b32 v119, v25
	v_dual_mov_b32 v117, v26 :: v_dual_mov_b32 v116, v27
	;; [unrolled: 1-line block ×4, first 2 shown]
	s_branch .LBB52_8
.LBB52_43:
	v_dual_mov_b32 v24, 0xfeffffff :: v_dual_mov_b32 v21, 0
	v_dual_mov_b32 v22, 0 :: v_dual_mov_b32 v20, 0
	;; [unrolled: 1-line block ×3, first 2 shown]
	s_delay_alu instid0(VALU_DEP_3)
	v_dual_mov_b32 v25, v24 :: v_dual_mov_b32 v26, v24
	v_dual_mov_b32 v27, v24 :: v_dual_mov_b32 v28, v24
	;; [unrolled: 1-line block ×12, first 2 shown]
	v_mov_b32_e32 v88, 0
.LBB52_44:
	s_cmp_gt_i32 s2, s14
	s_cbranch_scc1 .LBB52_47
; %bb.45:
	v_mbcnt_lo_u32_b32 v0, -1, 0
	v_mov_b32_e32 v61, 32
	s_delay_alu instid0(VALU_DEP_2)
	v_xor_b32_e32 v63, 16, v0
	v_xor_b32_e32 v62, 8, v0
	;; [unrolled: 1-line block ×5, first 2 shown]
	s_cbranch_execz .LBB52_48
; %bb.46:
	v_mov_b32_e32 v82, v0
	s_branch .LBB52_121
.LBB52_47:
                                        ; implicit-def: $vgpr0
                                        ; implicit-def: $vgpr61
                                        ; implicit-def: $vgpr63
                                        ; implicit-def: $vgpr62
                                        ; implicit-def: $vgpr60
                                        ; implicit-def: $vgpr58
                                        ; implicit-def: $vgpr59
.LBB52_48:
	v_lshl_add_u32 v6, v84, 2, v33
	s_ashr_i32 s15, s14, 31
	s_ashr_i32 s29, s28, 31
	v_dual_mov_b32 v0, 0 :: v_dual_lshlrev_b32 v1, 20, v82
	s_delay_alu instid0(VALU_DEP_2)
	v_mul_lo_u32 v4, s28, v6
	s_mul_u64 s[24:25], s[14:15], s[28:29]
	v_mul_u32_u24_e32 v35, 0x90, v40
	s_lshl_b64 s[24:25], s[24:25], 2
	v_add_nc_u64_e32 v[38:39], src_flat_scratch_base_lo, v[0:1]
	s_add_nc_u64 s[38:39], s[6:7], s[24:25]
	s_mov_b32 s24, 0
	s_sub_co_i32 s7, s2, s14
	s_mov_b32 s25, s24
	s_mov_b32 s26, s24
	s_delay_alu instid0(SALU_CYCLE_1) | instskip(SKIP_3) | instid1(VALU_DEP_3)
	v_dual_lshlrev_b32 v58, 2, v32 :: v_dual_mov_b32 v34, s26
	v_dual_ashrrev_i32 v5, 31, v4 :: v_dual_mov_b32 v59, 0
	v_cmp_gt_i32_e32 vcc_lo, s7, v6
	v_dual_mov_b32 v33, s25 :: v_dual_mov_b32 v32, s24
	v_lshl_add_u64 v[2:3], v[4:5], 2, s[38:39]
	s_clause 0x1
	scratch_store_b32 off, v59, off
	scratch_store_b96 off, v[32:34], off offset:4
	v_lshl_add_u32 v4, s28, 5, v4
	v_add_nc_u64_e32 v[60:61], v[2:3], v[58:59]
	v_add_nc_u32_e32 v7, 32, v6
	v_mad_u32_u24 v41, 0x90, v6, v58
	s_delay_alu instid0(VALU_DEP_4) | instskip(SKIP_1) | instid1(VALU_DEP_3)
	v_dual_mov_b32 v6, v59 :: v_dual_ashrrev_i32 v5, 31, v4
	s_cmp_lg_u64 s[36:37], 0
	v_cmp_gt_i32_e64 s2, s7, v7
	v_dual_cndmask_b32 v1, v39, v61 :: v_dual_cndmask_b32 v0, v38, v60
	s_delay_alu instid0(VALU_DEP_3)
	v_lshl_add_u64 v[4:5], v[4:5], 2, s[38:39]
	v_mov_b32_e32 v7, v59
	v_add_nc_u64_e32 v[60:61], 0x80, v[60:61]
	s_cselect_b32 s6, -1, 0
	flat_load_b128 v[0:3], v[0:1]
	v_add_nc_u64_e32 v[62:63], v[4:5], v[58:59]
	s_clause 0x1
	scratch_store_b32 off, v59, off
	scratch_store_b96 off, v[32:34], off offset:4
	v_mad_u32 v58, v36, s30, s14
	v_cndmask_b32_e64 v65, 0, 1, s6
	v_dual_cndmask_b32 v61, v39, v61 :: v_dual_cndmask_b32 v60, v38, v60
	v_dual_cndmask_b32 v5, v39, v63, s2 :: v_dual_cndmask_b32 v4, v38, v62, s2
	v_add_nc_u64_e32 v[62:63], 0x80, v[62:63]
	s_delay_alu instid0(VALU_DEP_1)
	v_dual_cndmask_b32 v39, v39, v63, s2 :: v_dual_cndmask_b32 v38, v38, v62, s2
	v_cmp_gt_i32_e64 s2, s7, v40
	s_wait_loadcnt_dscnt 0x0
	ds_store_b128 v41, v[0:3] offset:16384
	flat_load_b128 v[0:3], v[4:5]
	s_wait_xcnt 0x0
	v_dual_mov_b32 v4, v59 :: v_dual_mov_b32 v5, v59
	s_wait_loadcnt_dscnt 0x0
	ds_store_b128 v41, v[0:3] offset:20992
	s_wait_storecnt_dscnt 0x0
	s_barrier_signal -1
	s_barrier_wait -1
	ds_load_b128 v[8:11], v35 offset:16384
	ds_load_b128 v[12:15], v37
	ds_load_b128 v[100:103], v37 offset:256
	ds_load_b128 v[104:107], v37 offset:512
	;; [unrolled: 1-line block ×8, first 2 shown]
	v_dual_mov_b32 v0, v59 :: v_dual_mov_b32 v1, v59
	v_dual_mov_b32 v2, v59 :: v_dual_mov_b32 v3, v59
	s_wait_dscnt 0x8
	;;#ASMSTART
	v_dot2_f32_f16 v0, v8, v12, v0
	;;#ASMEND
	;;#ASMSTART
	v_dot2_f32_f16 v0, v9, v13, v0
	;;#ASMEND
	;;#ASMSTART
	v_dot2_f32_f16 v0, v10, v14, v0
	;;#ASMEND
	;;#ASMSTART
	v_dot2_f32_f16 v0, v11, v15, v0
	;;#ASMEND
	s_wait_dscnt 0x7
	;;#ASMSTART
	v_dot2_f32_f16 v1, v8, v100, v1
	;;#ASMEND
	;;#ASMSTART
	v_dot2_f32_f16 v1, v9, v101, v1
	;;#ASMEND
	;;#ASMSTART
	v_dot2_f32_f16 v1, v10, v102, v1
	;;#ASMEND
	;;#ASMSTART
	v_dot2_f32_f16 v1, v11, v103, v1
	;;#ASMEND
	;; [unrolled: 13-line block ×7, first 2 shown]
	s_wait_dscnt 0x0
	;;#ASMSTART
	v_dot2_f32_f16 v7, v8, v132, v7
	;;#ASMEND
	;;#ASMSTART
	v_dot2_f32_f16 v7, v9, v133, v7
	;;#ASMEND
	;;#ASMSTART
	v_dot2_f32_f16 v7, v10, v134, v7
	;;#ASMEND
	v_dual_mov_b32 v8, v59 :: v_dual_mov_b32 v9, v59
	;;#ASMSTART
	v_dot2_f32_f16 v7, v11, v135, v7
	;;#ASMEND
	;;#ASMSTART
	v_dot2_f32_f16 v8, v116, v12, v8
	;;#ASMEND
	;;#ASMSTART
	v_dot2_f32_f16 v8, v117, v13, v8
	;;#ASMEND
	;;#ASMSTART
	v_dot2_f32_f16 v8, v118, v14, v8
	;;#ASMEND
	;;#ASMSTART
	v_dot2_f32_f16 v8, v119, v15, v8
	;;#ASMEND
	;;#ASMSTART
	v_dot2_f32_f16 v9, v116, v100, v9
	;;#ASMEND
	;;#ASMSTART
	v_dot2_f32_f16 v9, v117, v101, v9
	;;#ASMEND
	;;#ASMSTART
	v_dot2_f32_f16 v9, v118, v102, v9
	;;#ASMEND
	v_dual_mov_b32 v10, v59 :: v_dual_mov_b32 v11, v59
	;;#ASMSTART
	v_dot2_f32_f16 v9, v119, v103, v9
	;;#ASMEND
	;;#ASMSTART
	v_dot2_f32_f16 v10, v116, v104, v10
	;;#ASMEND
	;;#ASMSTART
	v_dot2_f32_f16 v10, v117, v105, v10
	;;#ASMEND
	;;#ASMSTART
	v_dot2_f32_f16 v10, v118, v106, v10
	;;#ASMEND
	;;#ASMSTART
	v_dot2_f32_f16 v10, v119, v107, v10
	;;#ASMEND
	;; [unrolled: 25-line block ×4, first 2 shown]
	;;#ASMSTART
	v_dot2_f32_f16 v15, v116, v132, v15
	;;#ASMEND
	;;#ASMSTART
	v_dot2_f32_f16 v15, v117, v133, v15
	;;#ASMEND
	;; [unrolled: 3-line block ×4, first 2 shown]
	ds_load_b128 v[100:103], v35 offset:16400
	ds_load_b128 v[104:107], v37 offset:16
	;; [unrolled: 1-line block ×10, first 2 shown]
	s_wait_dscnt 0x8
	;;#ASMSTART
	v_dot2_f32_f16 v0, v100, v104, v0
	;;#ASMEND
	;;#ASMSTART
	v_dot2_f32_f16 v0, v101, v105, v0
	;;#ASMEND
	;;#ASMSTART
	v_dot2_f32_f16 v0, v102, v106, v0
	;;#ASMEND
	;;#ASMSTART
	v_dot2_f32_f16 v0, v103, v107, v0
	;;#ASMEND
	s_wait_dscnt 0x7
	;;#ASMSTART
	v_dot2_f32_f16 v1, v100, v112, v1
	;;#ASMEND
	;;#ASMSTART
	v_dot2_f32_f16 v1, v101, v113, v1
	;;#ASMEND
	;;#ASMSTART
	v_dot2_f32_f16 v1, v102, v114, v1
	;;#ASMEND
	;;#ASMSTART
	v_dot2_f32_f16 v1, v103, v115, v1
	;;#ASMEND
	;; [unrolled: 13-line block ×8, first 2 shown]
	;;#ASMSTART
	v_dot2_f32_f16 v8, v124, v104, v8
	;;#ASMEND
	;;#ASMSTART
	v_dot2_f32_f16 v8, v125, v105, v8
	;;#ASMEND
	;; [unrolled: 3-line block ×32, first 2 shown]
	ds_load_b128 v[100:103], v35 offset:16416
	ds_load_b128 v[104:107], v37 offset:32
	;; [unrolled: 1-line block ×10, first 2 shown]
	s_wait_dscnt 0x8
	;;#ASMSTART
	v_dot2_f32_f16 v0, v100, v104, v0
	;;#ASMEND
	;;#ASMSTART
	v_dot2_f32_f16 v0, v101, v105, v0
	;;#ASMEND
	;;#ASMSTART
	v_dot2_f32_f16 v0, v102, v106, v0
	;;#ASMEND
	;;#ASMSTART
	v_dot2_f32_f16 v0, v103, v107, v0
	;;#ASMEND
	s_wait_dscnt 0x7
	;;#ASMSTART
	v_dot2_f32_f16 v1, v100, v112, v1
	;;#ASMEND
	;;#ASMSTART
	v_dot2_f32_f16 v1, v101, v113, v1
	;;#ASMEND
	;;#ASMSTART
	v_dot2_f32_f16 v1, v102, v114, v1
	;;#ASMEND
	;;#ASMSTART
	v_dot2_f32_f16 v1, v103, v115, v1
	;;#ASMEND
	;; [unrolled: 13-line block ×8, first 2 shown]
	;;#ASMSTART
	v_dot2_f32_f16 v8, v124, v104, v8
	;;#ASMEND
	;;#ASMSTART
	v_dot2_f32_f16 v8, v125, v105, v8
	;;#ASMEND
	;; [unrolled: 3-line block ×32, first 2 shown]
	ds_load_b128 v[100:103], v35 offset:16432
	ds_load_b128 v[104:107], v37 offset:48
	;; [unrolled: 1-line block ×10, first 2 shown]
	s_wait_dscnt 0x8
	;;#ASMSTART
	v_dot2_f32_f16 v0, v100, v104, v0
	;;#ASMEND
	;;#ASMSTART
	v_dot2_f32_f16 v0, v101, v105, v0
	;;#ASMEND
	;;#ASMSTART
	v_dot2_f32_f16 v0, v102, v106, v0
	;;#ASMEND
	;;#ASMSTART
	v_dot2_f32_f16 v0, v103, v107, v0
	;;#ASMEND
	s_wait_dscnt 0x7
	;;#ASMSTART
	v_dot2_f32_f16 v1, v100, v112, v1
	;;#ASMEND
	;;#ASMSTART
	v_dot2_f32_f16 v1, v101, v113, v1
	;;#ASMEND
	;;#ASMSTART
	v_dot2_f32_f16 v1, v102, v114, v1
	;;#ASMEND
	;;#ASMSTART
	v_dot2_f32_f16 v1, v103, v115, v1
	;;#ASMEND
	;; [unrolled: 13-line block ×8, first 2 shown]
	;;#ASMSTART
	v_dot2_f32_f16 v8, v124, v104, v8
	;;#ASMEND
	;;#ASMSTART
	v_dot2_f32_f16 v8, v125, v105, v8
	;;#ASMEND
	;; [unrolled: 3-line block ×32, first 2 shown]
	ds_load_b128 v[100:103], v35 offset:16448
	ds_load_b128 v[104:107], v37 offset:64
	;; [unrolled: 1-line block ×10, first 2 shown]
	s_wait_dscnt 0x8
	;;#ASMSTART
	v_dot2_f32_f16 v0, v100, v104, v0
	;;#ASMEND
	;;#ASMSTART
	v_dot2_f32_f16 v0, v101, v105, v0
	;;#ASMEND
	;;#ASMSTART
	v_dot2_f32_f16 v0, v102, v106, v0
	;;#ASMEND
	;;#ASMSTART
	v_dot2_f32_f16 v0, v103, v107, v0
	;;#ASMEND
	s_wait_dscnt 0x7
	;;#ASMSTART
	v_dot2_f32_f16 v1, v100, v112, v1
	;;#ASMEND
	;;#ASMSTART
	v_dot2_f32_f16 v1, v101, v113, v1
	;;#ASMEND
	;;#ASMSTART
	v_dot2_f32_f16 v1, v102, v114, v1
	;;#ASMEND
	;;#ASMSTART
	v_dot2_f32_f16 v1, v103, v115, v1
	;;#ASMEND
	;; [unrolled: 13-line block ×8, first 2 shown]
	;;#ASMSTART
	v_dot2_f32_f16 v8, v124, v104, v8
	;;#ASMEND
	;;#ASMSTART
	v_dot2_f32_f16 v8, v125, v105, v8
	;;#ASMEND
	;; [unrolled: 3-line block ×32, first 2 shown]
	ds_load_b128 v[100:103], v35 offset:16464
	ds_load_b128 v[104:107], v37 offset:80
	;; [unrolled: 1-line block ×10, first 2 shown]
	s_wait_dscnt 0x8
	;;#ASMSTART
	v_dot2_f32_f16 v0, v100, v104, v0
	;;#ASMEND
	;;#ASMSTART
	v_dot2_f32_f16 v0, v101, v105, v0
	;;#ASMEND
	;;#ASMSTART
	v_dot2_f32_f16 v0, v102, v106, v0
	;;#ASMEND
	;;#ASMSTART
	v_dot2_f32_f16 v0, v103, v107, v0
	;;#ASMEND
	s_wait_dscnt 0x7
	;;#ASMSTART
	v_dot2_f32_f16 v1, v100, v112, v1
	;;#ASMEND
	;;#ASMSTART
	v_dot2_f32_f16 v1, v101, v113, v1
	;;#ASMEND
	;;#ASMSTART
	v_dot2_f32_f16 v1, v102, v114, v1
	;;#ASMEND
	;;#ASMSTART
	v_dot2_f32_f16 v1, v103, v115, v1
	;;#ASMEND
	;; [unrolled: 13-line block ×8, first 2 shown]
	;;#ASMSTART
	v_dot2_f32_f16 v8, v124, v104, v8
	;;#ASMEND
	;;#ASMSTART
	v_dot2_f32_f16 v8, v125, v105, v8
	;;#ASMEND
	;; [unrolled: 3-line block ×32, first 2 shown]
	ds_load_b128 v[100:103], v35 offset:16480
	ds_load_b128 v[104:107], v37 offset:96
	;; [unrolled: 1-line block ×10, first 2 shown]
	s_wait_dscnt 0x8
	;;#ASMSTART
	v_dot2_f32_f16 v0, v100, v104, v0
	;;#ASMEND
	;;#ASMSTART
	v_dot2_f32_f16 v0, v101, v105, v0
	;;#ASMEND
	;;#ASMSTART
	v_dot2_f32_f16 v0, v102, v106, v0
	;;#ASMEND
	;;#ASMSTART
	v_dot2_f32_f16 v0, v103, v107, v0
	;;#ASMEND
	s_wait_dscnt 0x7
	;;#ASMSTART
	v_dot2_f32_f16 v1, v100, v112, v1
	;;#ASMEND
	;;#ASMSTART
	v_dot2_f32_f16 v1, v101, v113, v1
	;;#ASMEND
	;;#ASMSTART
	v_dot2_f32_f16 v1, v102, v114, v1
	;;#ASMEND
	;;#ASMSTART
	v_dot2_f32_f16 v1, v103, v115, v1
	;;#ASMEND
	s_wait_dscnt 0x6
	;;#ASMSTART
	v_dot2_f32_f16 v2, v100, v116, v2
	;;#ASMEND
	;;#ASMSTART
	v_dot2_f32_f16 v2, v101, v117, v2
	;;#ASMEND
	;;#ASMSTART
	v_dot2_f32_f16 v2, v102, v118, v2
	;;#ASMEND
	;;#ASMSTART
	v_dot2_f32_f16 v2, v103, v119, v2
	;;#ASMEND
	s_wait_dscnt 0x5
	;;#ASMSTART
	v_dot2_f32_f16 v3, v100, v120, v3
	;;#ASMEND
	;;#ASMSTART
	v_dot2_f32_f16 v3, v101, v121, v3
	;;#ASMEND
	;;#ASMSTART
	v_dot2_f32_f16 v3, v102, v122, v3
	;;#ASMEND
	;;#ASMSTART
	v_dot2_f32_f16 v3, v103, v123, v3
	;;#ASMEND
	s_wait_dscnt 0x3
	;;#ASMSTART
	v_dot2_f32_f16 v4, v100, v128, v4
	;;#ASMEND
	;;#ASMSTART
	v_dot2_f32_f16 v4, v101, v129, v4
	;;#ASMEND
	;;#ASMSTART
	v_dot2_f32_f16 v4, v102, v130, v4
	;;#ASMEND
	;;#ASMSTART
	v_dot2_f32_f16 v4, v103, v131, v4
	;;#ASMEND
	s_wait_dscnt 0x2
	;;#ASMSTART
	v_dot2_f32_f16 v5, v100, v132, v5
	;;#ASMEND
	;;#ASMSTART
	v_dot2_f32_f16 v5, v101, v133, v5
	;;#ASMEND
	;;#ASMSTART
	v_dot2_f32_f16 v5, v102, v134, v5
	;;#ASMEND
	;;#ASMSTART
	v_dot2_f32_f16 v5, v103, v135, v5
	;;#ASMEND
	s_wait_dscnt 0x1
	;;#ASMSTART
	v_dot2_f32_f16 v6, v100, v136, v6
	;;#ASMEND
	;;#ASMSTART
	v_dot2_f32_f16 v6, v101, v137, v6
	;;#ASMEND
	;;#ASMSTART
	v_dot2_f32_f16 v6, v102, v138, v6
	;;#ASMEND
	;;#ASMSTART
	v_dot2_f32_f16 v6, v103, v139, v6
	;;#ASMEND
	s_wait_dscnt 0x0
	;;#ASMSTART
	v_dot2_f32_f16 v7, v100, v140, v7
	;;#ASMEND
	;;#ASMSTART
	v_dot2_f32_f16 v7, v101, v141, v7
	;;#ASMEND
	;;#ASMSTART
	v_dot2_f32_f16 v7, v102, v142, v7
	;;#ASMEND
	;;#ASMSTART
	v_dot2_f32_f16 v7, v103, v143, v7
	;;#ASMEND
	;;#ASMSTART
	v_dot2_f32_f16 v8, v124, v104, v8
	;;#ASMEND
	;;#ASMSTART
	v_dot2_f32_f16 v8, v125, v105, v8
	;;#ASMEND
	;;#ASMSTART
	v_dot2_f32_f16 v8, v126, v106, v8
	;;#ASMEND
	;;#ASMSTART
	v_dot2_f32_f16 v8, v127, v107, v8
	;;#ASMEND
	;;#ASMSTART
	v_dot2_f32_f16 v9, v124, v112, v9
	;;#ASMEND
	;;#ASMSTART
	v_dot2_f32_f16 v9, v125, v113, v9
	;;#ASMEND
	;;#ASMSTART
	v_dot2_f32_f16 v9, v126, v114, v9
	;;#ASMEND
	;;#ASMSTART
	v_dot2_f32_f16 v9, v127, v115, v9
	;;#ASMEND
	;;#ASMSTART
	v_dot2_f32_f16 v10, v124, v116, v10
	;;#ASMEND
	;;#ASMSTART
	v_dot2_f32_f16 v10, v125, v117, v10
	;;#ASMEND
	;;#ASMSTART
	v_dot2_f32_f16 v10, v126, v118, v10
	;;#ASMEND
	;;#ASMSTART
	v_dot2_f32_f16 v10, v127, v119, v10
	;;#ASMEND
	;;#ASMSTART
	v_dot2_f32_f16 v11, v124, v120, v11
	;;#ASMEND
	;;#ASMSTART
	v_dot2_f32_f16 v11, v125, v121, v11
	;;#ASMEND
	;;#ASMSTART
	v_dot2_f32_f16 v11, v126, v122, v11
	;;#ASMEND
	;;#ASMSTART
	v_dot2_f32_f16 v11, v127, v123, v11
	;;#ASMEND
	;;#ASMSTART
	v_dot2_f32_f16 v12, v124, v128, v12
	;;#ASMEND
	;;#ASMSTART
	v_dot2_f32_f16 v12, v125, v129, v12
	;;#ASMEND
	;;#ASMSTART
	v_dot2_f32_f16 v12, v126, v130, v12
	;;#ASMEND
	;;#ASMSTART
	v_dot2_f32_f16 v12, v127, v131, v12
	;;#ASMEND
	;;#ASMSTART
	v_dot2_f32_f16 v13, v124, v132, v13
	;;#ASMEND
	;;#ASMSTART
	v_dot2_f32_f16 v13, v125, v133, v13
	;;#ASMEND
	;;#ASMSTART
	v_dot2_f32_f16 v13, v126, v134, v13
	;;#ASMEND
	;;#ASMSTART
	v_dot2_f32_f16 v13, v127, v135, v13
	;;#ASMEND
	;;#ASMSTART
	v_dot2_f32_f16 v14, v124, v136, v14
	;;#ASMEND
	;;#ASMSTART
	v_dot2_f32_f16 v14, v125, v137, v14
	;;#ASMEND
	;;#ASMSTART
	v_dot2_f32_f16 v14, v126, v138, v14
	;;#ASMEND
	;;#ASMSTART
	v_dot2_f32_f16 v14, v127, v139, v14
	;;#ASMEND
	;;#ASMSTART
	v_dot2_f32_f16 v15, v124, v140, v15
	;;#ASMEND
	;;#ASMSTART
	v_dot2_f32_f16 v15, v125, v141, v15
	;;#ASMEND
	;;#ASMSTART
	v_dot2_f32_f16 v15, v126, v142, v15
	;;#ASMEND
	;;#ASMSTART
	v_dot2_f32_f16 v15, v127, v143, v15
	;;#ASMEND
	ds_load_b128 v[100:103], v35 offset:16496
	ds_load_b128 v[104:107], v37 offset:112
	;; [unrolled: 1-line block ×10, first 2 shown]
	s_wait_dscnt 0x8
	;;#ASMSTART
	v_dot2_f32_f16 v0, v100, v104, v0
	;;#ASMEND
	;;#ASMSTART
	v_dot2_f32_f16 v0, v101, v105, v0
	;;#ASMEND
	;;#ASMSTART
	v_dot2_f32_f16 v0, v102, v106, v0
	;;#ASMEND
	;;#ASMSTART
	v_dot2_f32_f16 v0, v103, v107, v0
	;;#ASMEND
	s_wait_dscnt 0x7
	;;#ASMSTART
	v_dot2_f32_f16 v1, v100, v112, v1
	;;#ASMEND
	;;#ASMSTART
	v_dot2_f32_f16 v1, v101, v113, v1
	;;#ASMEND
	;;#ASMSTART
	v_dot2_f32_f16 v1, v102, v114, v1
	;;#ASMEND
	;;#ASMSTART
	v_dot2_f32_f16 v1, v103, v115, v1
	;;#ASMEND
	;; [unrolled: 13-line block ×8, first 2 shown]
	;;#ASMSTART
	v_dot2_f32_f16 v8, v124, v104, v8
	;;#ASMEND
	;;#ASMSTART
	v_dot2_f32_f16 v8, v125, v105, v8
	;;#ASMEND
	;;#ASMSTART
	v_dot2_f32_f16 v8, v126, v106, v8
	;;#ASMEND
	;;#ASMSTART
	v_dot2_f32_f16 v8, v127, v107, v8
	;;#ASMEND
	;;#ASMSTART
	v_dot2_f32_f16 v9, v124, v112, v9
	;;#ASMEND
	;;#ASMSTART
	v_dot2_f32_f16 v9, v125, v113, v9
	;;#ASMEND
	;;#ASMSTART
	v_dot2_f32_f16 v9, v126, v114, v9
	;;#ASMEND
	;;#ASMSTART
	v_dot2_f32_f16 v9, v127, v115, v9
	;;#ASMEND
	;;#ASMSTART
	v_dot2_f32_f16 v10, v124, v116, v10
	;;#ASMEND
	;;#ASMSTART
	v_dot2_f32_f16 v10, v125, v117, v10
	;;#ASMEND
	;;#ASMSTART
	v_dot2_f32_f16 v10, v126, v118, v10
	;;#ASMEND
	;;#ASMSTART
	v_dot2_f32_f16 v10, v127, v119, v10
	;;#ASMEND
	;;#ASMSTART
	v_dot2_f32_f16 v11, v124, v120, v11
	;;#ASMEND
	;;#ASMSTART
	v_dot2_f32_f16 v11, v125, v121, v11
	;;#ASMEND
	;;#ASMSTART
	v_dot2_f32_f16 v11, v126, v122, v11
	;;#ASMEND
	;;#ASMSTART
	v_dot2_f32_f16 v11, v127, v123, v11
	;;#ASMEND
	;;#ASMSTART
	v_dot2_f32_f16 v12, v124, v128, v12
	;;#ASMEND
	;;#ASMSTART
	v_dot2_f32_f16 v12, v125, v129, v12
	;;#ASMEND
	;;#ASMSTART
	v_dot2_f32_f16 v12, v126, v130, v12
	;;#ASMEND
	;;#ASMSTART
	v_dot2_f32_f16 v12, v127, v131, v12
	;;#ASMEND
	;;#ASMSTART
	v_dot2_f32_f16 v13, v124, v132, v13
	;;#ASMEND
	;;#ASMSTART
	v_dot2_f32_f16 v13, v125, v133, v13
	;;#ASMEND
	;;#ASMSTART
	v_dot2_f32_f16 v13, v126, v134, v13
	;;#ASMEND
	;;#ASMSTART
	v_dot2_f32_f16 v13, v127, v135, v13
	;;#ASMEND
	;;#ASMSTART
	v_dot2_f32_f16 v14, v124, v136, v14
	;;#ASMEND
	;;#ASMSTART
	v_dot2_f32_f16 v14, v125, v137, v14
	;;#ASMEND
	;;#ASMSTART
	v_dot2_f32_f16 v14, v126, v138, v14
	;;#ASMEND
	;;#ASMSTART
	v_dot2_f32_f16 v14, v127, v139, v14
	;;#ASMEND
	;;#ASMSTART
	v_dot2_f32_f16 v15, v124, v140, v15
	;;#ASMEND
	;;#ASMSTART
	v_dot2_f32_f16 v15, v125, v141, v15
	;;#ASMEND
	;;#ASMSTART
	v_dot2_f32_f16 v15, v126, v142, v15
	;;#ASMEND
	;;#ASMSTART
	v_dot2_f32_f16 v15, v127, v143, v15
	;;#ASMEND
	s_barrier_signal -1
	s_barrier_wait -1
	s_clause 0x1
	scratch_store_b32 off, v59, off
	scratch_store_b96 off, v[32:34], off offset:4
	flat_load_b128 v[60:63], v[60:61]
	s_wait_loadcnt_dscnt 0x0
	ds_store_b128 v41, v[60:63] offset:16384
	s_clause 0x1
	scratch_store_b96 off, v[32:34], off offset:4
	scratch_store_b32 off, v59, off
	flat_load_b128 v[60:63], v[38:39]
	s_wait_loadcnt_dscnt 0x0
	ds_store_b128 v41, v[60:63] offset:20992
	s_wait_storecnt_dscnt 0x0
	s_barrier_signal -1
	s_barrier_wait -1
	ds_load_b128 v[60:63], v35 offset:16384
	ds_load_b128 v[100:103], v37 offset:128
	;; [unrolled: 1-line block ×10, first 2 shown]
	s_wait_dscnt 0x8
	;;#ASMSTART
	v_dot2_f32_f16 v0, v60, v100, v0
	;;#ASMEND
	;;#ASMSTART
	v_dot2_f32_f16 v0, v61, v101, v0
	;;#ASMEND
	;;#ASMSTART
	v_dot2_f32_f16 v0, v62, v102, v0
	;;#ASMEND
	;;#ASMSTART
	v_dot2_f32_f16 v0, v63, v103, v0
	;;#ASMEND
	s_wait_dscnt 0x7
	;;#ASMSTART
	v_dot2_f32_f16 v1, v60, v104, v1
	;;#ASMEND
	;;#ASMSTART
	v_dot2_f32_f16 v1, v61, v105, v1
	;;#ASMEND
	;;#ASMSTART
	v_dot2_f32_f16 v1, v62, v106, v1
	;;#ASMEND
	;;#ASMSTART
	v_dot2_f32_f16 v1, v63, v107, v1
	;;#ASMEND
	;; [unrolled: 13-line block ×8, first 2 shown]
	;;#ASMSTART
	v_dot2_f32_f16 v8, v120, v100, v8
	;;#ASMEND
	;;#ASMSTART
	v_dot2_f32_f16 v8, v121, v101, v8
	;;#ASMEND
	;; [unrolled: 3-line block ×32, first 2 shown]
	ds_load_b128 v[60:63], v35 offset:16400
	ds_load_b128 v[100:103], v37 offset:144
	;; [unrolled: 1-line block ×10, first 2 shown]
	s_wait_dscnt 0x8
	;;#ASMSTART
	v_dot2_f32_f16 v0, v60, v100, v0
	;;#ASMEND
	;;#ASMSTART
	v_dot2_f32_f16 v0, v61, v101, v0
	;;#ASMEND
	;;#ASMSTART
	v_dot2_f32_f16 v0, v62, v102, v0
	;;#ASMEND
	;;#ASMSTART
	v_dot2_f32_f16 v0, v63, v103, v0
	;;#ASMEND
	s_wait_dscnt 0x7
	;;#ASMSTART
	v_dot2_f32_f16 v1, v60, v104, v1
	;;#ASMEND
	;;#ASMSTART
	v_dot2_f32_f16 v1, v61, v105, v1
	;;#ASMEND
	;;#ASMSTART
	v_dot2_f32_f16 v1, v62, v106, v1
	;;#ASMEND
	;;#ASMSTART
	v_dot2_f32_f16 v1, v63, v107, v1
	;;#ASMEND
	;; [unrolled: 13-line block ×8, first 2 shown]
	;;#ASMSTART
	v_dot2_f32_f16 v8, v120, v100, v8
	;;#ASMEND
	;;#ASMSTART
	v_dot2_f32_f16 v8, v121, v101, v8
	;;#ASMEND
	;; [unrolled: 3-line block ×32, first 2 shown]
	ds_load_b128 v[60:63], v35 offset:16416
	ds_load_b128 v[100:103], v37 offset:160
	ds_load_b128 v[104:107], v37 offset:416
	ds_load_b128 v[112:115], v37 offset:672
	ds_load_b128 v[116:119], v37 offset:928
	ds_load_b128 v[120:123], v35 offset:21024
	ds_load_b128 v[124:127], v37 offset:1184
	ds_load_b128 v[128:131], v37 offset:1440
	ds_load_b128 v[132:135], v37 offset:1696
	ds_load_b128 v[136:139], v37 offset:1952
	s_wait_dscnt 0x8
	;;#ASMSTART
	v_dot2_f32_f16 v0, v60, v100, v0
	;;#ASMEND
	;;#ASMSTART
	v_dot2_f32_f16 v0, v61, v101, v0
	;;#ASMEND
	;;#ASMSTART
	v_dot2_f32_f16 v0, v62, v102, v0
	;;#ASMEND
	;;#ASMSTART
	v_dot2_f32_f16 v0, v63, v103, v0
	;;#ASMEND
	s_wait_dscnt 0x7
	;;#ASMSTART
	v_dot2_f32_f16 v1, v60, v104, v1
	;;#ASMEND
	;;#ASMSTART
	v_dot2_f32_f16 v1, v61, v105, v1
	;;#ASMEND
	;;#ASMSTART
	v_dot2_f32_f16 v1, v62, v106, v1
	;;#ASMEND
	;;#ASMSTART
	v_dot2_f32_f16 v1, v63, v107, v1
	;;#ASMEND
	s_wait_dscnt 0x6
	;;#ASMSTART
	v_dot2_f32_f16 v2, v60, v112, v2
	;;#ASMEND
	;;#ASMSTART
	v_dot2_f32_f16 v2, v61, v113, v2
	;;#ASMEND
	;;#ASMSTART
	v_dot2_f32_f16 v2, v62, v114, v2
	;;#ASMEND
	;;#ASMSTART
	v_dot2_f32_f16 v2, v63, v115, v2
	;;#ASMEND
	s_wait_dscnt 0x5
	;;#ASMSTART
	v_dot2_f32_f16 v3, v60, v116, v3
	;;#ASMEND
	;;#ASMSTART
	v_dot2_f32_f16 v3, v61, v117, v3
	;;#ASMEND
	;;#ASMSTART
	v_dot2_f32_f16 v3, v62, v118, v3
	;;#ASMEND
	;;#ASMSTART
	v_dot2_f32_f16 v3, v63, v119, v3
	;;#ASMEND
	s_wait_dscnt 0x3
	;;#ASMSTART
	v_dot2_f32_f16 v4, v60, v124, v4
	;;#ASMEND
	;;#ASMSTART
	v_dot2_f32_f16 v4, v61, v125, v4
	;;#ASMEND
	;;#ASMSTART
	v_dot2_f32_f16 v4, v62, v126, v4
	;;#ASMEND
	;;#ASMSTART
	v_dot2_f32_f16 v4, v63, v127, v4
	;;#ASMEND
	s_wait_dscnt 0x2
	;;#ASMSTART
	v_dot2_f32_f16 v5, v60, v128, v5
	;;#ASMEND
	;;#ASMSTART
	v_dot2_f32_f16 v5, v61, v129, v5
	;;#ASMEND
	;;#ASMSTART
	v_dot2_f32_f16 v5, v62, v130, v5
	;;#ASMEND
	;;#ASMSTART
	v_dot2_f32_f16 v5, v63, v131, v5
	;;#ASMEND
	s_wait_dscnt 0x1
	;;#ASMSTART
	v_dot2_f32_f16 v6, v60, v132, v6
	;;#ASMEND
	;;#ASMSTART
	v_dot2_f32_f16 v6, v61, v133, v6
	;;#ASMEND
	;;#ASMSTART
	v_dot2_f32_f16 v6, v62, v134, v6
	;;#ASMEND
	;;#ASMSTART
	v_dot2_f32_f16 v6, v63, v135, v6
	;;#ASMEND
	s_wait_dscnt 0x0
	;;#ASMSTART
	v_dot2_f32_f16 v7, v60, v136, v7
	;;#ASMEND
	;;#ASMSTART
	v_dot2_f32_f16 v7, v61, v137, v7
	;;#ASMEND
	;;#ASMSTART
	v_dot2_f32_f16 v7, v62, v138, v7
	;;#ASMEND
	;;#ASMSTART
	v_dot2_f32_f16 v7, v63, v139, v7
	;;#ASMEND
	;;#ASMSTART
	v_dot2_f32_f16 v8, v120, v100, v8
	;;#ASMEND
	;;#ASMSTART
	v_dot2_f32_f16 v8, v121, v101, v8
	;;#ASMEND
	;; [unrolled: 3-line block ×32, first 2 shown]
	ds_load_b128 v[60:63], v35 offset:16432
	ds_load_b128 v[100:103], v37 offset:176
	;; [unrolled: 1-line block ×10, first 2 shown]
	s_wait_dscnt 0x8
	;;#ASMSTART
	v_dot2_f32_f16 v0, v60, v100, v0
	;;#ASMEND
	;;#ASMSTART
	v_dot2_f32_f16 v0, v61, v101, v0
	;;#ASMEND
	;;#ASMSTART
	v_dot2_f32_f16 v0, v62, v102, v0
	;;#ASMEND
	;;#ASMSTART
	v_dot2_f32_f16 v0, v63, v103, v0
	;;#ASMEND
	s_wait_dscnt 0x7
	;;#ASMSTART
	v_dot2_f32_f16 v1, v60, v104, v1
	;;#ASMEND
	;;#ASMSTART
	v_dot2_f32_f16 v1, v61, v105, v1
	;;#ASMEND
	;;#ASMSTART
	v_dot2_f32_f16 v1, v62, v106, v1
	;;#ASMEND
	;;#ASMSTART
	v_dot2_f32_f16 v1, v63, v107, v1
	;;#ASMEND
	;; [unrolled: 13-line block ×8, first 2 shown]
	;;#ASMSTART
	v_dot2_f32_f16 v8, v120, v100, v8
	;;#ASMEND
	;;#ASMSTART
	v_dot2_f32_f16 v8, v121, v101, v8
	;;#ASMEND
	;; [unrolled: 3-line block ×32, first 2 shown]
	ds_load_b128 v[60:63], v35 offset:16448
	ds_load_b128 v[100:103], v37 offset:192
	;; [unrolled: 1-line block ×10, first 2 shown]
	s_wait_dscnt 0x8
	;;#ASMSTART
	v_dot2_f32_f16 v0, v60, v100, v0
	;;#ASMEND
	;;#ASMSTART
	v_dot2_f32_f16 v0, v61, v101, v0
	;;#ASMEND
	;;#ASMSTART
	v_dot2_f32_f16 v0, v62, v102, v0
	;;#ASMEND
	;;#ASMSTART
	v_dot2_f32_f16 v0, v63, v103, v0
	;;#ASMEND
	s_wait_dscnt 0x7
	;;#ASMSTART
	v_dot2_f32_f16 v1, v60, v104, v1
	;;#ASMEND
	;;#ASMSTART
	v_dot2_f32_f16 v1, v61, v105, v1
	;;#ASMEND
	;;#ASMSTART
	v_dot2_f32_f16 v1, v62, v106, v1
	;;#ASMEND
	;;#ASMSTART
	v_dot2_f32_f16 v1, v63, v107, v1
	;;#ASMEND
	;; [unrolled: 13-line block ×8, first 2 shown]
	;;#ASMSTART
	v_dot2_f32_f16 v8, v120, v100, v8
	;;#ASMEND
	;;#ASMSTART
	v_dot2_f32_f16 v8, v121, v101, v8
	;;#ASMEND
	;; [unrolled: 3-line block ×32, first 2 shown]
	ds_load_b128 v[60:63], v35 offset:16464
	ds_load_b128 v[100:103], v37 offset:208
	;; [unrolled: 1-line block ×10, first 2 shown]
	s_wait_dscnt 0x8
	;;#ASMSTART
	v_dot2_f32_f16 v0, v60, v100, v0
	;;#ASMEND
	;;#ASMSTART
	v_dot2_f32_f16 v0, v61, v101, v0
	;;#ASMEND
	;;#ASMSTART
	v_dot2_f32_f16 v0, v62, v102, v0
	;;#ASMEND
	;;#ASMSTART
	v_dot2_f32_f16 v0, v63, v103, v0
	;;#ASMEND
	s_wait_dscnt 0x7
	;;#ASMSTART
	v_dot2_f32_f16 v1, v60, v104, v1
	;;#ASMEND
	;;#ASMSTART
	v_dot2_f32_f16 v1, v61, v105, v1
	;;#ASMEND
	;;#ASMSTART
	v_dot2_f32_f16 v1, v62, v106, v1
	;;#ASMEND
	;;#ASMSTART
	v_dot2_f32_f16 v1, v63, v107, v1
	;;#ASMEND
	;; [unrolled: 13-line block ×8, first 2 shown]
	;;#ASMSTART
	v_dot2_f32_f16 v8, v120, v100, v8
	;;#ASMEND
	;;#ASMSTART
	v_dot2_f32_f16 v8, v121, v101, v8
	;;#ASMEND
	;; [unrolled: 3-line block ×32, first 2 shown]
	ds_load_b128 v[60:63], v35 offset:16480
	ds_load_b128 v[100:103], v37 offset:224
	;; [unrolled: 1-line block ×10, first 2 shown]
	s_wait_dscnt 0x8
	;;#ASMSTART
	v_dot2_f32_f16 v0, v60, v100, v0
	;;#ASMEND
	;;#ASMSTART
	v_dot2_f32_f16 v0, v61, v101, v0
	;;#ASMEND
	;;#ASMSTART
	v_dot2_f32_f16 v0, v62, v102, v0
	;;#ASMEND
	;;#ASMSTART
	v_dot2_f32_f16 v0, v63, v103, v0
	;;#ASMEND
	s_wait_dscnt 0x7
	;;#ASMSTART
	v_dot2_f32_f16 v1, v60, v104, v1
	;;#ASMEND
	;;#ASMSTART
	v_dot2_f32_f16 v1, v61, v105, v1
	;;#ASMEND
	;;#ASMSTART
	v_dot2_f32_f16 v1, v62, v106, v1
	;;#ASMEND
	;;#ASMSTART
	v_dot2_f32_f16 v1, v63, v107, v1
	;;#ASMEND
	;; [unrolled: 13-line block ×8, first 2 shown]
	;;#ASMSTART
	v_dot2_f32_f16 v8, v120, v100, v8
	;;#ASMEND
	;;#ASMSTART
	v_dot2_f32_f16 v8, v121, v101, v8
	;;#ASMEND
	;; [unrolled: 3-line block ×32, first 2 shown]
	ds_load_b128 v[60:63], v35 offset:16496
	s_wait_xcnt 0x2
	ds_load_b128 v[32:35], v35 offset:21104
	ds_load_b128 v[100:103], v37 offset:240
	;; [unrolled: 1-line block ×9, first 2 shown]
	s_wait_dscnt 0x7
	;;#ASMSTART
	v_dot2_f32_f16 v0, v60, v100, v0
	;;#ASMEND
	;;#ASMSTART
	v_dot2_f32_f16 v0, v61, v101, v0
	;;#ASMEND
	;;#ASMSTART
	v_dot2_f32_f16 v0, v62, v102, v0
	;;#ASMEND
	;;#ASMSTART
	v_dot2_f32_f16 v0, v63, v103, v0
	;;#ASMEND
	s_wait_dscnt 0x6
	;;#ASMSTART
	v_dot2_f32_f16 v1, v60, v104, v1
	;;#ASMEND
	;;#ASMSTART
	v_dot2_f32_f16 v1, v61, v105, v1
	;;#ASMEND
	;;#ASMSTART
	v_dot2_f32_f16 v1, v62, v106, v1
	;;#ASMEND
	;;#ASMSTART
	v_dot2_f32_f16 v1, v63, v107, v1
	;;#ASMEND
	;; [unrolled: 13-line block ×8, first 2 shown]
	;;#ASMSTART
	v_dot2_f32_f16 v8, v32, v100, v8
	;;#ASMEND
	;;#ASMSTART
	v_dot2_f32_f16 v8, v33, v101, v8
	;;#ASMEND
	;; [unrolled: 3-line block ×32, first 2 shown]
	s_wait_xcnt 0x0
	v_mov_b64_e32 v[38:39], v[30:31]
	v_mov_b64_e32 v[36:37], v[28:29]
	;; [unrolled: 1-line block ×4, first 2 shown]
	s_and_saveexec_b32 s3, s2
	s_cbranch_execz .LBB52_52
; %bb.49:
	s_and_not1_b32 vcc_lo, exec_lo, s6
	s_cbranch_vccnz .LBB52_51
; %bb.50:
	v_add_nc_u32_e32 v32, v58, v40
	global_load_u16 v32, v32, s[36:37] scale_offset
	s_wait_loadcnt 0x0
	v_cvt_f32_f16_e32 v32, v32
	s_delay_alu instid0(VALU_DEP_1)
	v_mul_f32_e32 v59, v86, v32
.LBB52_51:
	v_max_num_f32_e32 v33, v24, v24
	s_delay_alu instid0(VALU_DEP_2) | instskip(NEXT) | instid1(VALU_DEP_1)
	v_add_f32_e32 v0, v0, v59
	v_add_f32_e32 v32, 0x40051340, v0
	s_delay_alu instid0(VALU_DEP_1)
	v_max_num_f32_e32 v41, v33, v32
	v_mov_b64_e32 v[38:39], v[30:31]
	v_mov_b64_e32 v[36:37], v[28:29]
	;; [unrolled: 1-line block ×4, first 2 shown]
	v_mov_b32_e32 v32, v41
.LBB52_52:
	s_or_b32 exec_lo, exec_lo, s3
	v_add_nc_u32_e32 v64, 32, v40
	s_delay_alu instid0(VALU_DEP_1)
	v_cmp_gt_i32_e64 s3, s7, v64
	s_and_saveexec_b32 s6, s3
	s_cbranch_execz .LBB52_57
; %bb.53:
	v_cmp_ne_u32_e32 vcc_lo, 1, v65
	s_cbranch_vccnz .LBB52_55
; %bb.54:
	v_dual_ashrrev_i32 v59, 31, v58 :: v_dual_mov_b32 v41, 0
	s_delay_alu instid0(VALU_DEP_1) | instskip(NEXT) | instid1(VALU_DEP_1)
	v_add_nc_u64_e32 v[58:59], v[58:59], v[40:41]
	v_lshl_add_u64 v[58:59], v[58:59], 1, s[36:37]
	global_load_u16 v41, v[58:59], off offset:64
	s_wait_loadcnt 0x0
	v_cvt_f32_f16_e32 v41, v41
	s_delay_alu instid0(VALU_DEP_1)
	v_mul_f32_e32 v41, v86, v41
	s_branch .LBB52_56
.LBB52_55:
	v_mov_b32_e32 v41, 0
.LBB52_56:
	s_delay_alu instid0(VALU_DEP_1) | instskip(SKIP_1) | instid1(VALU_DEP_2)
	v_add_f32_e32 v8, v8, v41
	v_max_num_f32_e32 v32, v32, v32
	v_add_f32_e32 v41, 0x40051340, v8
	s_delay_alu instid0(VALU_DEP_1)
	v_max_num_f32_e32 v32, v32, v41
.LBB52_57:
	s_or_b32 exec_lo, exec_lo, s6
	v_xor_b32_e32 v63, 16, v82
	v_xor_b32_e32 v62, 8, v82
	;; [unrolled: 1-line block ×3, first 2 shown]
	v_dual_mov_b32 v57, 0 :: v_dual_bitop2_b32 v58, 2, v82 bitop3:0x14
	s_delay_alu instid0(VALU_DEP_4) | instskip(SKIP_1) | instid1(VALU_DEP_3)
	v_cmp_gt_i32_e32 vcc_lo, 32, v63
	v_dual_mov_b32 v61, 32 :: v_dual_bitop2_b32 v59, 1, v82 bitop3:0x14
	v_mul_u64_e32 v[102:103], s[4:5], v[56:57]
	v_cndmask_b32_e32 v41, v82, v63, vcc_lo
	v_cmp_gt_i32_e32 vcc_lo, 32, v62
	s_delay_alu instid0(VALU_DEP_2)
	v_lshlrev_b32_e32 v99, 2, v41
	ds_bpermute_b32 v41, v99, v32
	v_cndmask_b32_e32 v45, v82, v62, vcc_lo
	v_cmp_gt_i32_e32 vcc_lo, 32, v60
	s_wait_dscnt 0x0
	v_dual_max_num_f32 v41, v41, v41 :: v_dual_max_num_f32 v32, v32, v32
	s_delay_alu instid0(VALU_DEP_3) | instskip(NEXT) | instid1(VALU_DEP_2)
	v_dual_lshlrev_b32 v100, 2, v45 :: v_dual_add_nc_u32 v47, v56, v103
	v_max_num_f32_e32 v32, v32, v41
	ds_bpermute_b32 v41, v100, v32
	v_cndmask_b32_e32 v45, v82, v60, vcc_lo
	v_cmp_gt_i32_e32 vcc_lo, 32, v58
	s_wait_dscnt 0x0
	v_max_num_f32_e32 v41, v41, v41
	s_delay_alu instid0(VALU_DEP_3) | instskip(NEXT) | instid1(VALU_DEP_2)
	v_lshlrev_b32_e32 v101, 2, v45
	v_max_num_f32_e32 v32, v32, v41
	ds_bpermute_b32 v41, v101, v32
	v_cndmask_b32_e32 v45, v82, v58, vcc_lo
	v_cmp_gt_i32_e32 vcc_lo, 32, v59
	s_wait_dscnt 0x0
	v_max_num_f32_e32 v41, v41, v41
	s_delay_alu instid0(VALU_DEP_3) | instskip(NEXT) | instid1(VALU_DEP_2)
	v_dual_cndmask_b32 v45, v82, v59 :: v_dual_lshlrev_b32 v102, 2, v45
	v_max_num_f32_e32 v32, v32, v41
	s_delay_alu instid0(VALU_DEP_2) | instskip(SKIP_3) | instid1(VALU_DEP_1)
	v_lshlrev_b32_e32 v103, 2, v45
	ds_bpermute_b32 v41, v102, v32
	s_wait_dscnt 0x0
	v_max_num_f32_e32 v41, v41, v41
	v_dual_max_num_f32 v32, v32, v41 :: v_dual_lshrrev_b32 v41, s21, v47
	ds_bpermute_b32 v45, v103, v32
	v_mul_lo_u32 v41, v41, s22
	s_delay_alu instid0(VALU_DEP_1) | instskip(NEXT) | instid1(VALU_DEP_1)
	v_sub_nc_u32_e32 v41, v56, v41
	v_mad_u32 v56, v41, s30, s14
	s_wait_dscnt 0x0
	v_max_num_f32_e32 v41, v45, v45
	s_delay_alu instid0(VALU_DEP_1)
	v_max_num_f32_e32 v32, v32, v41
	s_and_saveexec_b32 s6, s2
	s_cbranch_execz .LBB52_61
; %bb.58:
	v_cmp_ne_u32_e32 vcc_lo, 1, v65
	s_cbranch_vccnz .LBB52_60
; %bb.59:
	s_delay_alu instid0(VALU_DEP_4) | instskip(SKIP_3) | instid1(VALU_DEP_1)
	v_add_nc_u32_e32 v41, v56, v40
	global_load_u16 v41, v41, s[36:37] scale_offset
	s_wait_loadcnt 0x0
	v_cvt_f32_f16_e32 v41, v41
	v_mul_f32_e32 v57, v86, v41
.LBB52_60:
	s_delay_alu instid0(VALU_DEP_1) | instskip(SKIP_1) | instid1(VALU_DEP_2)
	v_add_f32_e32 v1, v1, v57
	v_max_num_f32_e32 v33, v33, v33
	v_add_f32_e32 v41, 0x40051340, v1
	s_delay_alu instid0(VALU_DEP_1)
	v_max_num_f32_e32 v33, v33, v41
.LBB52_61:
	s_or_b32 exec_lo, exec_lo, s6
	s_and_saveexec_b32 s6, s3
	s_cbranch_execz .LBB52_66
; %bb.62:
	v_cmp_ne_u32_e32 vcc_lo, 1, v65
	s_cbranch_vccnz .LBB52_64
; %bb.63:
	v_dual_ashrrev_i32 v57, 31, v56 :: v_dual_mov_b32 v41, 0
	s_delay_alu instid0(VALU_DEP_1) | instskip(NEXT) | instid1(VALU_DEP_1)
	v_add_nc_u64_e32 v[56:57], v[56:57], v[40:41]
	v_lshl_add_u64 v[56:57], v[56:57], 1, s[36:37]
	global_load_u16 v41, v[56:57], off offset:64
	s_wait_loadcnt 0x0
	v_cvt_f32_f16_e32 v41, v41
	s_delay_alu instid0(VALU_DEP_1)
	v_mul_f32_e32 v41, v86, v41
	s_branch .LBB52_65
.LBB52_64:
	v_mov_b32_e32 v41, 0
.LBB52_65:
	s_delay_alu instid0(VALU_DEP_1) | instskip(SKIP_1) | instid1(VALU_DEP_2)
	v_add_f32_e32 v9, v9, v41
	v_max_num_f32_e32 v33, v33, v33
	v_add_f32_e32 v41, 0x40051340, v9
	s_delay_alu instid0(VALU_DEP_1)
	v_max_num_f32_e32 v33, v33, v41
.LBB52_66:
	s_or_b32 exec_lo, exec_lo, s6
	ds_bpermute_b32 v41, v99, v33
	v_dual_max_num_f32 v33, v33, v33 :: v_dual_mov_b32 v55, 0
	s_delay_alu instid0(VALU_DEP_1) | instskip(SKIP_2) | instid1(VALU_DEP_1)
	v_mul_u64_e32 v[56:57], s[4:5], v[54:55]
	s_wait_dscnt 0x0
	v_max_num_f32_e32 v41, v41, v41
	v_max_num_f32_e32 v33, v33, v41
	ds_bpermute_b32 v41, v100, v33
	v_add_nc_u32_e32 v45, v54, v57
	s_wait_dscnt 0x0
	v_max_num_f32_e32 v41, v41, v41
	s_delay_alu instid0(VALU_DEP_1) | instskip(SKIP_3) | instid1(VALU_DEP_1)
	v_max_num_f32_e32 v33, v33, v41
	ds_bpermute_b32 v41, v101, v33
	s_wait_dscnt 0x0
	v_max_num_f32_e32 v41, v41, v41
	v_max_num_f32_e32 v33, v33, v41
	ds_bpermute_b32 v41, v102, v33
	s_wait_dscnt 0x0
	v_max_num_f32_e32 v41, v41, v41
	s_delay_alu instid0(VALU_DEP_1) | instskip(SKIP_3) | instid1(VALU_DEP_1)
	v_max_num_f32_e32 v33, v33, v41
	v_lshrrev_b32_e32 v41, s21, v45
	ds_bpermute_b32 v45, v103, v33
	v_mul_lo_u32 v41, v41, s22
	v_sub_nc_u32_e32 v41, v54, v41
	s_delay_alu instid0(VALU_DEP_1) | instskip(SKIP_2) | instid1(VALU_DEP_1)
	v_mad_u32 v54, v41, s30, s14
	s_wait_dscnt 0x0
	v_max_num_f32_e32 v41, v45, v45
	v_max_num_f32_e32 v33, v33, v41
	s_and_saveexec_b32 s6, s2
	s_cbranch_execz .LBB52_70
; %bb.67:
	v_cmp_ne_u32_e32 vcc_lo, 1, v65
	s_cbranch_vccnz .LBB52_69
; %bb.68:
	s_delay_alu instid0(VALU_DEP_4) | instskip(SKIP_3) | instid1(VALU_DEP_1)
	v_add_nc_u32_e32 v41, v54, v40
	global_load_u16 v41, v41, s[36:37] scale_offset
	s_wait_loadcnt 0x0
	v_cvt_f32_f16_e32 v41, v41
	v_mul_f32_e32 v55, v86, v41
.LBB52_69:
	s_delay_alu instid0(VALU_DEP_1) | instskip(SKIP_1) | instid1(VALU_DEP_2)
	v_add_f32_e32 v2, v2, v55
	v_max_num_f32_e32 v34, v34, v34
	v_add_f32_e32 v41, 0x40051340, v2
	s_delay_alu instid0(VALU_DEP_1)
	v_max_num_f32_e32 v34, v34, v41
.LBB52_70:
	s_or_b32 exec_lo, exec_lo, s6
	s_and_saveexec_b32 s6, s3
	s_cbranch_execz .LBB52_75
; %bb.71:
	v_cmp_ne_u32_e32 vcc_lo, 1, v65
	s_cbranch_vccnz .LBB52_73
; %bb.72:
	v_dual_ashrrev_i32 v55, 31, v54 :: v_dual_mov_b32 v41, 0
	s_delay_alu instid0(VALU_DEP_1) | instskip(NEXT) | instid1(VALU_DEP_1)
	v_add_nc_u64_e32 v[54:55], v[54:55], v[40:41]
	v_lshl_add_u64 v[54:55], v[54:55], 1, s[36:37]
	global_load_u16 v41, v[54:55], off offset:64
	s_wait_loadcnt 0x0
	v_cvt_f32_f16_e32 v41, v41
	s_delay_alu instid0(VALU_DEP_1)
	v_mul_f32_e32 v41, v86, v41
	s_branch .LBB52_74
.LBB52_73:
	v_mov_b32_e32 v41, 0
.LBB52_74:
	s_delay_alu instid0(VALU_DEP_1) | instskip(SKIP_1) | instid1(VALU_DEP_2)
	v_add_f32_e32 v10, v10, v41
	v_max_num_f32_e32 v34, v34, v34
	v_add_f32_e32 v41, 0x40051340, v10
	s_delay_alu instid0(VALU_DEP_1)
	v_max_num_f32_e32 v34, v34, v41
.LBB52_75:
	s_or_b32 exec_lo, exec_lo, s6
	ds_bpermute_b32 v41, v99, v34
	v_dual_max_num_f32 v34, v34, v34 :: v_dual_mov_b32 v53, 0
	s_delay_alu instid0(VALU_DEP_1) | instskip(SKIP_2) | instid1(VALU_DEP_1)
	v_mul_u64_e32 v[54:55], s[4:5], v[52:53]
	s_wait_dscnt 0x0
	v_max_num_f32_e32 v41, v41, v41
	v_max_num_f32_e32 v34, v34, v41
	ds_bpermute_b32 v41, v100, v34
	s_wait_dscnt 0x0
	v_dual_add_nc_u32 v45, v52, v55 :: v_dual_max_num_f32 v41, v41, v41
	s_delay_alu instid0(VALU_DEP_1) | instskip(SKIP_3) | instid1(VALU_DEP_1)
	v_max_num_f32_e32 v34, v34, v41
	ds_bpermute_b32 v41, v101, v34
	s_wait_dscnt 0x0
	v_max_num_f32_e32 v41, v41, v41
	v_max_num_f32_e32 v34, v34, v41
	ds_bpermute_b32 v41, v102, v34
	s_wait_dscnt 0x0
	v_max_num_f32_e32 v41, v41, v41
	s_delay_alu instid0(VALU_DEP_1) | instskip(SKIP_1) | instid1(VALU_DEP_1)
	v_max_num_f32_e32 v34, v34, v41
	v_lshrrev_b32_e32 v41, s21, v45
	v_mul_lo_u32 v41, v41, s22
	s_delay_alu instid0(VALU_DEP_1) | instskip(SKIP_4) | instid1(VALU_DEP_1)
	v_sub_nc_u32_e32 v41, v52, v41
	ds_bpermute_b32 v45, v103, v34
	v_mad_u32 v52, v41, s30, s14
	s_wait_dscnt 0x0
	v_max_num_f32_e32 v41, v45, v45
	v_max_num_f32_e32 v34, v34, v41
	s_and_saveexec_b32 s6, s2
	s_cbranch_execz .LBB52_79
; %bb.76:
	v_cmp_ne_u32_e32 vcc_lo, 1, v65
	s_cbranch_vccnz .LBB52_78
; %bb.77:
	s_delay_alu instid0(VALU_DEP_4) | instskip(SKIP_3) | instid1(VALU_DEP_1)
	v_add_nc_u32_e32 v41, v52, v40
	global_load_u16 v41, v41, s[36:37] scale_offset
	s_wait_loadcnt 0x0
	v_cvt_f32_f16_e32 v41, v41
	v_mul_f32_e32 v53, v86, v41
.LBB52_78:
	s_delay_alu instid0(VALU_DEP_1) | instskip(SKIP_1) | instid1(VALU_DEP_2)
	v_add_f32_e32 v3, v3, v53
	v_max_num_f32_e32 v35, v35, v35
	v_add_f32_e32 v41, 0x40051340, v3
	s_delay_alu instid0(VALU_DEP_1)
	v_max_num_f32_e32 v35, v35, v41
.LBB52_79:
	s_or_b32 exec_lo, exec_lo, s6
	s_and_saveexec_b32 s6, s3
	s_cbranch_execz .LBB52_84
; %bb.80:
	v_cmp_ne_u32_e32 vcc_lo, 1, v65
	s_cbranch_vccnz .LBB52_82
; %bb.81:
	v_dual_ashrrev_i32 v53, 31, v52 :: v_dual_mov_b32 v41, 0
	s_delay_alu instid0(VALU_DEP_1) | instskip(NEXT) | instid1(VALU_DEP_1)
	v_add_nc_u64_e32 v[52:53], v[52:53], v[40:41]
	v_lshl_add_u64 v[52:53], v[52:53], 1, s[36:37]
	global_load_u16 v41, v[52:53], off offset:64
	s_wait_loadcnt 0x0
	v_cvt_f32_f16_e32 v41, v41
	s_delay_alu instid0(VALU_DEP_1)
	v_mul_f32_e32 v41, v86, v41
	s_branch .LBB52_83
.LBB52_82:
	v_mov_b32_e32 v41, 0
.LBB52_83:
	s_delay_alu instid0(VALU_DEP_1) | instskip(SKIP_1) | instid1(VALU_DEP_2)
	v_add_f32_e32 v11, v11, v41
	v_max_num_f32_e32 v35, v35, v35
	v_add_f32_e32 v41, 0x40051340, v11
	s_delay_alu instid0(VALU_DEP_1)
	v_max_num_f32_e32 v35, v35, v41
.LBB52_84:
	s_or_b32 exec_lo, exec_lo, s6
	ds_bpermute_b32 v41, v99, v35
	v_dual_max_num_f32 v35, v35, v35 :: v_dual_mov_b32 v51, 0
	s_delay_alu instid0(VALU_DEP_1) | instskip(SKIP_2) | instid1(VALU_DEP_1)
	v_mul_u64_e32 v[52:53], s[4:5], v[50:51]
	s_wait_dscnt 0x0
	v_max_num_f32_e32 v41, v41, v41
	v_max_num_f32_e32 v35, v35, v41
	ds_bpermute_b32 v41, v100, v35
	v_add_nc_u32_e32 v45, v50, v53
	s_wait_dscnt 0x0
	v_max_num_f32_e32 v41, v41, v41
	s_delay_alu instid0(VALU_DEP_1) | instskip(SKIP_3) | instid1(VALU_DEP_1)
	v_max_num_f32_e32 v35, v35, v41
	ds_bpermute_b32 v41, v101, v35
	s_wait_dscnt 0x0
	v_max_num_f32_e32 v41, v41, v41
	v_max_num_f32_e32 v35, v35, v41
	ds_bpermute_b32 v41, v102, v35
	s_wait_dscnt 0x0
	v_max_num_f32_e32 v41, v41, v41
	s_delay_alu instid0(VALU_DEP_1) | instskip(SKIP_1) | instid1(VALU_DEP_1)
	v_max_num_f32_e32 v35, v35, v41
	v_lshrrev_b32_e32 v41, s21, v45
	v_mul_lo_u32 v41, v41, s22
	s_delay_alu instid0(VALU_DEP_1) | instskip(SKIP_4) | instid1(VALU_DEP_1)
	v_sub_nc_u32_e32 v41, v50, v41
	ds_bpermute_b32 v45, v103, v35
	v_mad_u32 v50, v41, s30, s14
	s_wait_dscnt 0x0
	v_max_num_f32_e32 v41, v45, v45
	v_max_num_f32_e32 v35, v35, v41
	s_and_saveexec_b32 s6, s2
	s_cbranch_execz .LBB52_88
; %bb.85:
	v_cmp_ne_u32_e32 vcc_lo, 1, v65
	s_cbranch_vccnz .LBB52_87
; %bb.86:
	s_delay_alu instid0(VALU_DEP_4) | instskip(SKIP_3) | instid1(VALU_DEP_1)
	v_add_nc_u32_e32 v41, v50, v40
	global_load_u16 v41, v41, s[36:37] scale_offset
	s_wait_loadcnt 0x0
	v_cvt_f32_f16_e32 v41, v41
	v_mul_f32_e32 v51, v86, v41
.LBB52_87:
	s_delay_alu instid0(VALU_DEP_1) | instskip(SKIP_1) | instid1(VALU_DEP_2)
	v_add_f32_e32 v4, v4, v51
	v_max_num_f32_e32 v36, v36, v36
	v_add_f32_e32 v41, 0x40051340, v4
	s_delay_alu instid0(VALU_DEP_1)
	v_max_num_f32_e32 v36, v36, v41
.LBB52_88:
	s_or_b32 exec_lo, exec_lo, s6
	s_and_saveexec_b32 s6, s3
	s_cbranch_execz .LBB52_93
; %bb.89:
	v_cmp_ne_u32_e32 vcc_lo, 1, v65
	s_cbranch_vccnz .LBB52_91
; %bb.90:
	v_dual_ashrrev_i32 v51, 31, v50 :: v_dual_mov_b32 v41, 0
	s_delay_alu instid0(VALU_DEP_1) | instskip(NEXT) | instid1(VALU_DEP_1)
	v_add_nc_u64_e32 v[50:51], v[50:51], v[40:41]
	v_lshl_add_u64 v[50:51], v[50:51], 1, s[36:37]
	global_load_u16 v41, v[50:51], off offset:64
	s_wait_loadcnt 0x0
	v_cvt_f32_f16_e32 v41, v41
	s_delay_alu instid0(VALU_DEP_1)
	v_mul_f32_e32 v41, v86, v41
	s_branch .LBB52_92
.LBB52_91:
	v_mov_b32_e32 v41, 0
.LBB52_92:
	s_delay_alu instid0(VALU_DEP_1) | instskip(SKIP_1) | instid1(VALU_DEP_2)
	v_add_f32_e32 v12, v12, v41
	v_max_num_f32_e32 v36, v36, v36
	v_add_f32_e32 v41, 0x40051340, v12
	s_delay_alu instid0(VALU_DEP_1)
	v_max_num_f32_e32 v36, v36, v41
.LBB52_93:
	s_or_b32 exec_lo, exec_lo, s6
	ds_bpermute_b32 v41, v99, v36
	v_dual_max_num_f32 v36, v36, v36 :: v_dual_mov_b32 v49, 0
	s_delay_alu instid0(VALU_DEP_1) | instskip(SKIP_2) | instid1(VALU_DEP_1)
	v_mul_u64_e32 v[50:51], s[4:5], v[48:49]
	s_wait_dscnt 0x0
	v_max_num_f32_e32 v41, v41, v41
	v_max_num_f32_e32 v36, v36, v41
	ds_bpermute_b32 v41, v100, v36
	s_wait_dscnt 0x0
	v_dual_add_nc_u32 v45, v48, v51 :: v_dual_max_num_f32 v41, v41, v41
	s_delay_alu instid0(VALU_DEP_1) | instskip(SKIP_3) | instid1(VALU_DEP_1)
	v_max_num_f32_e32 v36, v36, v41
	ds_bpermute_b32 v41, v101, v36
	s_wait_dscnt 0x0
	v_max_num_f32_e32 v41, v41, v41
	v_max_num_f32_e32 v36, v36, v41
	ds_bpermute_b32 v41, v102, v36
	s_wait_dscnt 0x0
	v_max_num_f32_e32 v41, v41, v41
	s_delay_alu instid0(VALU_DEP_1) | instskip(SKIP_3) | instid1(VALU_DEP_1)
	v_max_num_f32_e32 v36, v36, v41
	v_lshrrev_b32_e32 v41, s21, v45
	ds_bpermute_b32 v45, v103, v36
	v_mul_lo_u32 v41, v41, s22
	v_sub_nc_u32_e32 v41, v48, v41
	s_delay_alu instid0(VALU_DEP_1) | instskip(SKIP_2) | instid1(VALU_DEP_1)
	v_mad_u32 v48, v41, s30, s14
	s_wait_dscnt 0x0
	v_max_num_f32_e32 v41, v45, v45
	v_max_num_f32_e32 v36, v36, v41
	s_and_saveexec_b32 s6, s2
	s_cbranch_execz .LBB52_97
; %bb.94:
	v_cmp_ne_u32_e32 vcc_lo, 1, v65
	s_cbranch_vccnz .LBB52_96
; %bb.95:
	s_delay_alu instid0(VALU_DEP_4) | instskip(SKIP_3) | instid1(VALU_DEP_1)
	v_add_nc_u32_e32 v41, v48, v40
	global_load_u16 v41, v41, s[36:37] scale_offset
	s_wait_loadcnt 0x0
	v_cvt_f32_f16_e32 v41, v41
	v_mul_f32_e32 v49, v86, v41
.LBB52_96:
	s_delay_alu instid0(VALU_DEP_1) | instskip(SKIP_1) | instid1(VALU_DEP_2)
	v_add_f32_e32 v5, v5, v49
	v_max_num_f32_e32 v37, v37, v37
	v_add_f32_e32 v41, 0x40051340, v5
	s_delay_alu instid0(VALU_DEP_1)
	v_max_num_f32_e32 v37, v37, v41
.LBB52_97:
	s_or_b32 exec_lo, exec_lo, s6
	s_and_saveexec_b32 s6, s3
	s_cbranch_execz .LBB52_102
; %bb.98:
	v_cmp_ne_u32_e32 vcc_lo, 1, v65
	s_cbranch_vccnz .LBB52_100
; %bb.99:
	v_dual_ashrrev_i32 v49, 31, v48 :: v_dual_mov_b32 v41, 0
	s_delay_alu instid0(VALU_DEP_1) | instskip(NEXT) | instid1(VALU_DEP_1)
	v_add_nc_u64_e32 v[48:49], v[48:49], v[40:41]
	v_lshl_add_u64 v[48:49], v[48:49], 1, s[36:37]
	global_load_u16 v41, v[48:49], off offset:64
	s_wait_loadcnt 0x0
	v_cvt_f32_f16_e32 v41, v41
	s_delay_alu instid0(VALU_DEP_1)
	v_mul_f32_e32 v41, v86, v41
	s_branch .LBB52_101
.LBB52_100:
	v_mov_b32_e32 v41, 0
.LBB52_101:
	s_delay_alu instid0(VALU_DEP_1) | instskip(SKIP_1) | instid1(VALU_DEP_2)
	v_add_f32_e32 v13, v13, v41
	v_max_num_f32_e32 v37, v37, v37
	v_add_f32_e32 v41, 0x40051340, v13
	s_delay_alu instid0(VALU_DEP_1)
	v_max_num_f32_e32 v37, v37, v41
.LBB52_102:
	s_or_b32 exec_lo, exec_lo, s6
	ds_bpermute_b32 v41, v99, v37
	v_dual_max_num_f32 v37, v37, v37 :: v_dual_mov_b32 v47, 0
	s_delay_alu instid0(VALU_DEP_1) | instskip(SKIP_2) | instid1(VALU_DEP_1)
	v_mul_u64_e32 v[48:49], s[4:5], v[46:47]
	s_wait_dscnt 0x0
	v_max_num_f32_e32 v41, v41, v41
	v_max_num_f32_e32 v37, v37, v41
	ds_bpermute_b32 v41, v100, v37
	v_add_nc_u32_e32 v45, v46, v49
	s_wait_dscnt 0x0
	v_max_num_f32_e32 v41, v41, v41
	s_delay_alu instid0(VALU_DEP_1) | instskip(SKIP_3) | instid1(VALU_DEP_1)
	v_max_num_f32_e32 v37, v37, v41
	ds_bpermute_b32 v41, v101, v37
	s_wait_dscnt 0x0
	v_max_num_f32_e32 v41, v41, v41
	v_max_num_f32_e32 v37, v37, v41
	ds_bpermute_b32 v41, v102, v37
	s_wait_dscnt 0x0
	v_max_num_f32_e32 v41, v41, v41
	s_delay_alu instid0(VALU_DEP_1) | instskip(SKIP_3) | instid1(VALU_DEP_1)
	v_max_num_f32_e32 v37, v37, v41
	v_lshrrev_b32_e32 v41, s21, v45
	ds_bpermute_b32 v45, v103, v37
	v_mul_lo_u32 v41, v41, s22
	v_sub_nc_u32_e32 v41, v46, v41
	s_delay_alu instid0(VALU_DEP_1) | instskip(SKIP_2) | instid1(VALU_DEP_1)
	v_mad_u32 v46, v41, s30, s14
	s_wait_dscnt 0x0
	v_max_num_f32_e32 v41, v45, v45
	v_max_num_f32_e32 v37, v37, v41
	s_and_saveexec_b32 s6, s2
	s_cbranch_execz .LBB52_106
; %bb.103:
	v_cmp_ne_u32_e32 vcc_lo, 1, v65
	s_cbranch_vccnz .LBB52_105
; %bb.104:
	s_delay_alu instid0(VALU_DEP_4) | instskip(SKIP_3) | instid1(VALU_DEP_1)
	v_add_nc_u32_e32 v41, v46, v40
	global_load_u16 v41, v41, s[36:37] scale_offset
	s_wait_loadcnt 0x0
	v_cvt_f32_f16_e32 v41, v41
	v_mul_f32_e32 v47, v86, v41
.LBB52_105:
	s_delay_alu instid0(VALU_DEP_1) | instskip(SKIP_1) | instid1(VALU_DEP_2)
	v_add_f32_e32 v6, v6, v47
	v_max_num_f32_e32 v38, v38, v38
	v_add_f32_e32 v41, 0x40051340, v6
	s_delay_alu instid0(VALU_DEP_1)
	v_max_num_f32_e32 v38, v38, v41
.LBB52_106:
	s_or_b32 exec_lo, exec_lo, s6
	s_and_saveexec_b32 s6, s3
	s_cbranch_execz .LBB52_111
; %bb.107:
	v_cmp_ne_u32_e32 vcc_lo, 1, v65
	s_cbranch_vccnz .LBB52_109
; %bb.108:
	v_dual_ashrrev_i32 v47, 31, v46 :: v_dual_mov_b32 v41, 0
	s_delay_alu instid0(VALU_DEP_1) | instskip(NEXT) | instid1(VALU_DEP_1)
	v_add_nc_u64_e32 v[46:47], v[46:47], v[40:41]
	v_lshl_add_u64 v[46:47], v[46:47], 1, s[36:37]
	global_load_u16 v41, v[46:47], off offset:64
	s_wait_loadcnt 0x0
	v_cvt_f32_f16_e32 v41, v41
	s_delay_alu instid0(VALU_DEP_1)
	v_mul_f32_e32 v41, v86, v41
	s_branch .LBB52_110
.LBB52_109:
	v_mov_b32_e32 v41, 0
.LBB52_110:
	s_delay_alu instid0(VALU_DEP_1) | instskip(SKIP_1) | instid1(VALU_DEP_2)
	v_add_f32_e32 v14, v14, v41
	v_max_num_f32_e32 v38, v38, v38
	v_add_f32_e32 v41, 0x40051340, v14
	s_delay_alu instid0(VALU_DEP_1)
	v_max_num_f32_e32 v38, v38, v41
.LBB52_111:
	s_or_b32 exec_lo, exec_lo, s6
	ds_bpermute_b32 v41, v99, v38
	v_dual_max_num_f32 v38, v38, v38 :: v_dual_mov_b32 v45, 0
	s_delay_alu instid0(VALU_DEP_1) | instskip(SKIP_2) | instid1(VALU_DEP_1)
	v_mul_u64_e32 v[46:47], s[4:5], v[44:45]
	s_wait_dscnt 0x0
	v_max_num_f32_e32 v41, v41, v41
	v_max_num_f32_e32 v38, v38, v41
	ds_bpermute_b32 v41, v100, v38
	s_wait_dscnt 0x0
	v_dual_max_num_f32 v41, v41, v41 :: v_dual_add_nc_u32 v46, v44, v47
	s_delay_alu instid0(VALU_DEP_1) | instskip(SKIP_3) | instid1(VALU_DEP_1)
	v_max_num_f32_e32 v38, v38, v41
	ds_bpermute_b32 v41, v101, v38
	s_wait_dscnt 0x0
	v_max_num_f32_e32 v41, v41, v41
	v_max_num_f32_e32 v38, v38, v41
	ds_bpermute_b32 v41, v102, v38
	s_wait_dscnt 0x0
	v_max_num_f32_e32 v41, v41, v41
	s_delay_alu instid0(VALU_DEP_1) | instskip(SKIP_2) | instid1(VALU_DEP_1)
	v_dual_max_num_f32 v38, v38, v41 :: v_dual_lshrrev_b32 v41, s21, v46
	ds_bpermute_b32 v46, v103, v38
	v_mul_lo_u32 v41, v41, s22
	v_sub_nc_u32_e32 v41, v44, v41
	s_delay_alu instid0(VALU_DEP_1) | instskip(SKIP_2) | instid1(VALU_DEP_1)
	v_mad_u32 v44, v41, s30, s14
	s_wait_dscnt 0x0
	v_max_num_f32_e32 v41, v46, v46
	v_max_num_f32_e32 v38, v38, v41
	s_and_saveexec_b32 s4, s2
	s_cbranch_execz .LBB52_115
; %bb.112:
	v_cmp_ne_u32_e32 vcc_lo, 1, v65
	s_cbranch_vccnz .LBB52_114
; %bb.113:
	s_delay_alu instid0(VALU_DEP_4) | instskip(SKIP_3) | instid1(VALU_DEP_1)
	v_add_nc_u32_e32 v41, v44, v40
	global_load_u16 v41, v41, s[36:37] scale_offset
	s_wait_loadcnt 0x0
	v_cvt_f32_f16_e32 v41, v41
	v_mul_f32_e32 v45, v86, v41
.LBB52_114:
	s_delay_alu instid0(VALU_DEP_1) | instskip(SKIP_1) | instid1(VALU_DEP_2)
	v_add_f32_e32 v7, v7, v45
	v_max_num_f32_e32 v39, v39, v39
	v_add_f32_e32 v41, 0x40051340, v7
	s_delay_alu instid0(VALU_DEP_1)
	v_max_num_f32_e32 v39, v39, v41
.LBB52_115:
	s_or_b32 exec_lo, exec_lo, s4
	s_and_saveexec_b32 s2, s3
	s_cbranch_execz .LBB52_120
; %bb.116:
	v_cmp_ne_u32_e32 vcc_lo, 1, v65
	s_cbranch_vccnz .LBB52_118
; %bb.117:
	v_dual_ashrrev_i32 v45, 31, v44 :: v_dual_mov_b32 v41, 0
	s_delay_alu instid0(VALU_DEP_1) | instskip(NEXT) | instid1(VALU_DEP_1)
	v_add_nc_u64_e32 v[44:45], v[44:45], v[40:41]
	v_lshl_add_u64 v[44:45], v[44:45], 1, s[36:37]
	global_load_u16 v41, v[44:45], off offset:64
	s_wait_loadcnt 0x0
	v_cvt_f32_f16_e32 v41, v41
	s_delay_alu instid0(VALU_DEP_1)
	v_mul_f32_e32 v41, v86, v41
	s_branch .LBB52_119
.LBB52_118:
	v_mov_b32_e32 v41, 0
.LBB52_119:
	s_delay_alu instid0(VALU_DEP_1) | instskip(SKIP_1) | instid1(VALU_DEP_2)
	v_add_f32_e32 v15, v15, v41
	v_max_num_f32_e32 v39, v39, v39
	v_add_f32_e32 v41, 0x40051340, v15
	s_delay_alu instid0(VALU_DEP_1)
	v_max_num_f32_e32 v39, v39, v41
.LBB52_120:
	s_or_b32 exec_lo, exec_lo, s2
	v_sub_f32_e32 v0, v0, v32
	v_cmp_gt_u32_e64 s2, s7, v40
	ds_bpermute_b32 v41, v99, v39
	s_mov_b32 s4, 0
	s_wait_dscnt 0x0
	v_dual_mul_f32 v44, 0x3fb8aa3b, v0 :: v_dual_sub_f32 v1, v1, v33
	v_cmp_ngt_f32_e32 vcc_lo, 0xc2ce8ed0, v0
	s_mov_b32 s5, s4
	s_mov_b32 s6, s4
	s_delay_alu instid0(VALU_DEP_2) | instskip(SKIP_3) | instid1(VALU_DEP_1)
	v_fma_f32 v45, 0x3fb8aa3b, v0, -v44
	v_rndne_f32_e32 v46, v44
	s_barrier_signal -1
	s_barrier_wait -1
	v_dual_fmac_f32 v45, 0x32a5705f, v0 :: v_dual_sub_f32 v44, v44, v46
	s_ashr_i32 s11, s10, 31
	v_dual_max_num_f32 v39, v39, v39 :: v_dual_sub_f32 v26, v26, v34
	s_delay_alu instid0(VALU_DEP_2) | instskip(SKIP_3) | instid1(VALU_DEP_4)
	v_dual_sub_f32 v2, v2, v34 :: v_dual_add_f32 v44, v44, v45
	v_cvt_i32_f32_e32 v45, v46
	v_dual_max_num_f32 v41, v41, v41 :: v_dual_sub_f32 v3, v3, v35
	v_sub_f32_e32 v28, v28, v36
	v_exp_f32_e32 v44, v44
	s_delay_alu instid0(VALU_DEP_2) | instskip(SKIP_1) | instid1(TRANS32_DEP_1)
	v_dual_sub_f32 v4, v4, v36 :: v_dual_max_num_f32 v39, v39, v41
	v_dual_sub_f32 v5, v5, v37 :: v_dual_sub_f32 v6, v6, v38
	v_ldexp_f32 v44, v44, v45
	ds_bpermute_b32 v41, v100, v39
	v_cndmask_b32_e32 v44, 0, v44, vcc_lo
	v_cmp_nlt_f32_e32 vcc_lo, 0x42b17218, v0
	s_delay_alu instid0(VALU_DEP_2) | instskip(SKIP_1) | instid1(VALU_DEP_2)
	v_cndmask_b32_e32 v0, 0x7f800000, v44, vcc_lo
	v_cmp_gt_u32_e32 vcc_lo, s7, v64
	v_cndmask_b32_e64 v45, 0, v0, s2
	s_wait_dscnt 0x0
	v_dual_sub_f32 v0, v8, v32 :: v_dual_max_num_f32 v41, v41, v41
	s_delay_alu instid0(VALU_DEP_1) | instskip(SKIP_1) | instid1(VALU_DEP_3)
	v_mul_f32_e32 v8, 0x3fb8aa3b, v0
	v_cmp_ngt_f32_e64 s3, 0xc2ce8ed0, v0
	v_max_num_f32_e32 v39, v39, v41
	s_delay_alu instid0(VALU_DEP_3) | instskip(SKIP_4) | instid1(VALU_DEP_1)
	v_fma_f32 v44, 0x3fb8aa3b, v0, -v8
	v_rndne_f32_e32 v46, v8
	ds_bpermute_b32 v41, v101, v39
	v_fmac_f32_e32 v44, 0x32a5705f, v0
	v_sub_f32_e32 v8, v8, v46
	v_add_f32_e32 v8, v8, v44
	v_cvt_i32_f32_e32 v44, v46
	s_delay_alu instid0(VALU_DEP_2) | instskip(SKIP_1) | instid1(TRANS32_DEP_1)
	v_exp_f32_e32 v8, v8
	v_nop
	v_ldexp_f32 v8, v8, v44
	s_wait_dscnt 0x0
	s_delay_alu instid0(VALU_DEP_1) | instskip(SKIP_1) | instid1(VALU_DEP_2)
	v_dual_max_num_f32 v41, v41, v41 :: v_dual_cndmask_b32 v8, 0, v8, s3
	v_cmp_nlt_f32_e64 s3, 0x42b17218, v0
	v_max_num_f32_e32 v39, v39, v41
	s_delay_alu instid0(VALU_DEP_2) | instskip(SKIP_2) | instid1(VALU_DEP_1)
	v_cndmask_b32_e64 v0, 0x7f800000, v8, s3
	ds_bpermute_b32 v41, v102, v39
	v_cndmask_b32_e32 v46, 0, v0, vcc_lo
	v_dual_sub_f32 v24, v24, v32 :: v_dual_add_f32 v0, v45, v46
	s_delay_alu instid0(VALU_DEP_1) | instskip(SKIP_1) | instid1(VALU_DEP_2)
	v_mul_f32_e32 v8, 0x3fb8aa3b, v24
	v_cmp_ngt_f32_e64 s3, 0xc2ce8ed0, v24
	v_fma_f32 v44, 0x3fb8aa3b, v24, -v8
	v_rndne_f32_e32 v47, v8
	s_delay_alu instid0(VALU_DEP_2) | instskip(SKIP_1) | instid1(VALU_DEP_2)
	v_fmac_f32_e32 v44, 0x32a5705f, v24
	s_wait_dscnt 0x0
	v_dual_sub_f32 v8, v8, v47 :: v_dual_max_num_f32 v41, v41, v41
	s_delay_alu instid0(VALU_DEP_1) | instskip(SKIP_1) | instid1(VALU_DEP_3)
	v_add_f32_e32 v8, v8, v44
	v_cvt_i32_f32_e32 v44, v47
	v_max_num_f32_e32 v39, v39, v41
	s_delay_alu instid0(VALU_DEP_3) | instskip(SKIP_3) | instid1(VALU_DEP_1)
	v_exp_f32_e32 v8, v8
	ds_bpermute_b32 v41, v103, v39
	v_nop
	v_ldexp_f32 v8, v8, v44
	v_dual_sub_f32 v44, v25, v33 :: v_dual_cndmask_b32 v8, 0, v8, s3
	v_cmp_nlt_f32_e64 s3, 0x42b17218, v24
	s_delay_alu instid0(VALU_DEP_1) | instskip(SKIP_2) | instid1(VALU_DEP_2)
	v_cndmask_b32_e64 v8, 0x7f800000, v8, s3
	v_cmp_ngt_f32_e64 s3, 0xc2ce8ed0, v1
	s_wait_dscnt 0x0
	v_dual_max_num_f32 v41, v41, v41 :: v_dual_fmac_f32 v0, v16, v8
	v_mul_f32_e32 v16, 0x3fb8aa3b, v1
	v_cvt_f16_f32_e32 v8, v8
	s_delay_alu instid0(VALU_DEP_3) | instskip(NEXT) | instid1(VALU_DEP_3)
	v_dual_max_num_f32 v39, v39, v41 :: v_dual_lshlrev_b32 v41, 10, v84
	v_fma_f32 v25, 0x3fb8aa3b, v1, -v16
	v_rndne_f32_e32 v47, v16
	s_delay_alu instid0(VALU_DEP_4) | instskip(NEXT) | instid1(VALU_DEP_4)
	v_and_b32_e32 v8, 0xffff, v8
	v_sub_f32_e32 v7, v7, v39
	s_delay_alu instid0(VALU_DEP_3) | instskip(NEXT) | instid1(VALU_DEP_3)
	v_dual_fmac_f32 v25, 0x32a5705f, v1 :: v_dual_sub_f32 v16, v16, v47
	v_mul_u32_u24_e32 v8, 0x10001, v8
	s_delay_alu instid0(VALU_DEP_2) | instskip(SKIP_1) | instid1(VALU_DEP_3)
	v_add_f32_e32 v16, v16, v25
	v_cvt_i32_f32_e32 v25, v47
	v_pk_mul_f16 v24, v110, v8
	v_pk_mul_f16 v8, v111, v8
	s_delay_alu instid0(VALU_DEP_4) | instskip(SKIP_1) | instid1(TRANS32_DEP_1)
	v_exp_f32_e32 v16, v16
	v_nop
	v_ldexp_f32 v16, v16, v25
	s_delay_alu instid0(VALU_DEP_1) | instskip(SKIP_1) | instid1(VALU_DEP_1)
	v_cndmask_b32_e64 v16, 0, v16, s3
	v_cmp_nlt_f32_e64 s3, 0x42b17218, v1
	v_cndmask_b32_e64 v1, 0x7f800000, v16, s3
	s_delay_alu instid0(VALU_DEP_1) | instskip(SKIP_1) | instid1(VALU_DEP_1)
	v_cndmask_b32_e64 v16, 0, v1, s2
	v_sub_f32_e32 v1, v9, v33
	v_mul_f32_e32 v9, 0x3fb8aa3b, v1
	v_cmp_ngt_f32_e64 s3, 0xc2ce8ed0, v1
	s_delay_alu instid0(VALU_DEP_2) | instskip(SKIP_1) | instid1(VALU_DEP_2)
	v_fma_f32 v25, 0x3fb8aa3b, v1, -v9
	v_rndne_f32_e32 v47, v9
	v_fmac_f32_e32 v25, 0x32a5705f, v1
	s_delay_alu instid0(VALU_DEP_2) | instskip(NEXT) | instid1(VALU_DEP_1)
	v_sub_f32_e32 v9, v9, v47
	v_add_f32_e32 v9, v9, v25
	v_cvt_i32_f32_e32 v25, v47
	s_delay_alu instid0(VALU_DEP_2) | instskip(SKIP_1) | instid1(TRANS32_DEP_1)
	v_exp_f32_e32 v9, v9
	v_nop
	v_ldexp_f32 v9, v9, v25
	s_delay_alu instid0(VALU_DEP_1) | instskip(SKIP_1) | instid1(VALU_DEP_1)
	v_cndmask_b32_e64 v9, 0, v9, s3
	v_cmp_nlt_f32_e64 s3, 0x42b17218, v1
	v_cndmask_b32_e64 v1, 0x7f800000, v9, s3
	v_mul_f32_e32 v9, 0x3fb8aa3b, v44
	v_cmp_ngt_f32_e64 s3, 0xc2ce8ed0, v44
	s_delay_alu instid0(VALU_DEP_3) | instskip(NEXT) | instid1(VALU_DEP_3)
	v_cndmask_b32_e32 v25, 0, v1, vcc_lo
	v_fma_f32 v47, 0x3fb8aa3b, v44, -v9
	v_rndne_f32_e32 v48, v9
	s_delay_alu instid0(VALU_DEP_3) | instskip(NEXT) | instid1(VALU_DEP_3)
	v_add_f32_e32 v1, v16, v25
	v_fmac_f32_e32 v47, 0x32a5705f, v44
	s_delay_alu instid0(VALU_DEP_3) | instskip(NEXT) | instid1(VALU_DEP_1)
	v_sub_f32_e32 v9, v9, v48
	v_add_f32_e32 v9, v9, v47
	v_cvt_i32_f32_e32 v47, v48
	s_delay_alu instid0(VALU_DEP_2) | instskip(SKIP_1) | instid1(TRANS32_DEP_1)
	v_exp_f32_e32 v9, v9
	v_nop
	v_ldexp_f32 v9, v9, v47
	s_delay_alu instid0(VALU_DEP_1) | instskip(SKIP_1) | instid1(VALU_DEP_1)
	v_cndmask_b32_e64 v9, 0, v9, s3
	v_cmp_nlt_f32_e64 s3, 0x42b17218, v44
	v_cndmask_b32_e64 v9, 0x7f800000, v9, s3
	v_cmp_ngt_f32_e64 s3, 0xc2ce8ed0, v2
	s_delay_alu instid0(VALU_DEP_2) | instskip(SKIP_2) | instid1(VALU_DEP_2)
	v_fmac_f32_e32 v1, v17, v9
	v_mul_f32_e32 v17, 0x3fb8aa3b, v2
	v_cvt_f16_f32_e32 v9, v9
	v_fma_f32 v47, 0x3fb8aa3b, v2, -v17
	v_rndne_f32_e32 v48, v17
	s_delay_alu instid0(VALU_DEP_3) | instskip(NEXT) | instid1(VALU_DEP_3)
	v_and_b32_e32 v9, 0xffff, v9
	v_fmac_f32_e32 v47, 0x32a5705f, v2
	s_delay_alu instid0(VALU_DEP_3) | instskip(NEXT) | instid1(VALU_DEP_3)
	v_sub_f32_e32 v17, v17, v48
	v_mul_u32_u24_e32 v9, 0x10001, v9
	s_delay_alu instid0(VALU_DEP_2) | instskip(SKIP_1) | instid1(VALU_DEP_3)
	v_add_f32_e32 v17, v17, v47
	v_cvt_i32_f32_e32 v47, v48
	v_pk_mul_f16 v44, v108, v9
	v_pk_mul_f16 v9, v109, v9
	s_delay_alu instid0(VALU_DEP_4) | instskip(SKIP_1) | instid1(TRANS32_DEP_1)
	v_exp_f32_e32 v17, v17
	v_nop
	v_ldexp_f32 v17, v17, v47
	s_delay_alu instid0(VALU_DEP_1) | instskip(SKIP_1) | instid1(VALU_DEP_1)
	v_cndmask_b32_e64 v17, 0, v17, s3
	v_cmp_nlt_f32_e64 s3, 0x42b17218, v2
	v_cndmask_b32_e64 v2, 0x7f800000, v17, s3
	s_delay_alu instid0(VALU_DEP_1) | instskip(SKIP_1) | instid1(VALU_DEP_1)
	v_cndmask_b32_e64 v17, 0, v2, s2
	v_sub_f32_e32 v2, v10, v34
	v_mul_f32_e32 v10, 0x3fb8aa3b, v2
	v_cmp_ngt_f32_e64 s3, 0xc2ce8ed0, v2
	s_delay_alu instid0(VALU_DEP_2) | instskip(SKIP_1) | instid1(VALU_DEP_1)
	v_fma_f32 v47, 0x3fb8aa3b, v2, -v10
	v_rndne_f32_e32 v48, v10
	v_dual_fmac_f32 v47, 0x32a5705f, v2 :: v_dual_sub_f32 v10, v10, v48
	s_delay_alu instid0(VALU_DEP_1) | instskip(SKIP_1) | instid1(VALU_DEP_2)
	v_add_f32_e32 v10, v10, v47
	v_cvt_i32_f32_e32 v47, v48
	v_exp_f32_e32 v10, v10
	v_nop
	s_delay_alu instid0(TRANS32_DEP_1) | instskip(NEXT) | instid1(VALU_DEP_1)
	v_ldexp_f32 v10, v10, v47
	v_cndmask_b32_e64 v10, 0, v10, s3
	v_cmp_nlt_f32_e64 s3, 0x42b17218, v2
	s_delay_alu instid0(VALU_DEP_1) | instskip(SKIP_2) | instid1(VALU_DEP_3)
	v_cndmask_b32_e64 v2, 0x7f800000, v10, s3
	v_mul_f32_e32 v10, 0x3fb8aa3b, v26
	v_cmp_ngt_f32_e64 s3, 0xc2ce8ed0, v26
	v_cndmask_b32_e32 v50, 0, v2, vcc_lo
	s_delay_alu instid0(VALU_DEP_3) | instskip(SKIP_1) | instid1(VALU_DEP_1)
	v_fma_f32 v47, 0x3fb8aa3b, v26, -v10
	v_rndne_f32_e32 v48, v10
	v_dual_fmac_f32 v47, 0x32a5705f, v26 :: v_dual_sub_f32 v10, v10, v48
	s_delay_alu instid0(VALU_DEP_1) | instskip(SKIP_1) | instid1(VALU_DEP_2)
	v_dual_add_f32 v2, v17, v50 :: v_dual_add_f32 v10, v10, v47
	v_cvt_i32_f32_e32 v47, v48
	v_exp_f32_e32 v10, v10
	v_nop
	s_delay_alu instid0(TRANS32_DEP_1) | instskip(NEXT) | instid1(VALU_DEP_1)
	v_ldexp_f32 v10, v10, v47
	v_dual_sub_f32 v47, v27, v35 :: v_dual_cndmask_b32 v10, 0, v10, s3
	v_cmp_nlt_f32_e64 s3, 0x42b17218, v26
	s_delay_alu instid0(VALU_DEP_1) | instskip(SKIP_1) | instid1(VALU_DEP_2)
	v_cndmask_b32_e64 v10, 0x7f800000, v10, s3
	v_cmp_ngt_f32_e64 s3, 0xc2ce8ed0, v3
	v_fmac_f32_e32 v2, v18, v10
	v_mul_f32_e32 v18, 0x3fb8aa3b, v3
	v_cvt_f16_f32_e32 v10, v10
	s_delay_alu instid0(VALU_DEP_2) | instskip(SKIP_1) | instid1(VALU_DEP_3)
	v_fma_f32 v27, 0x3fb8aa3b, v3, -v18
	v_rndne_f32_e32 v48, v18
	v_and_b32_e32 v10, 0xffff, v10
	s_delay_alu instid0(VALU_DEP_2) | instskip(NEXT) | instid1(VALU_DEP_2)
	v_dual_fmac_f32 v27, 0x32a5705f, v3 :: v_dual_sub_f32 v18, v18, v48
	v_mul_u32_u24_e32 v10, 0x10001, v10
	s_delay_alu instid0(VALU_DEP_2) | instskip(SKIP_1) | instid1(VALU_DEP_3)
	v_add_f32_e32 v18, v18, v27
	v_cvt_i32_f32_e32 v27, v48
	v_pk_mul_f16 v26, v98, v10
	v_pk_mul_f16 v10, v97, v10
	s_delay_alu instid0(VALU_DEP_4) | instskip(SKIP_1) | instid1(TRANS32_DEP_1)
	v_exp_f32_e32 v18, v18
	v_nop
	v_ldexp_f32 v18, v18, v27
	s_delay_alu instid0(VALU_DEP_1) | instskip(SKIP_1) | instid1(VALU_DEP_1)
	v_cndmask_b32_e64 v18, 0, v18, s3
	v_cmp_nlt_f32_e64 s3, 0x42b17218, v3
	v_cndmask_b32_e64 v3, 0x7f800000, v18, s3
	s_delay_alu instid0(VALU_DEP_1) | instskip(SKIP_1) | instid1(VALU_DEP_1)
	v_cndmask_b32_e64 v18, 0, v3, s2
	v_sub_f32_e32 v3, v11, v35
	v_mul_f32_e32 v11, 0x3fb8aa3b, v3
	v_cmp_ngt_f32_e64 s3, 0xc2ce8ed0, v3
	s_delay_alu instid0(VALU_DEP_2) | instskip(SKIP_1) | instid1(VALU_DEP_2)
	v_fma_f32 v27, 0x3fb8aa3b, v3, -v11
	v_rndne_f32_e32 v48, v11
	v_fmac_f32_e32 v27, 0x32a5705f, v3
	s_delay_alu instid0(VALU_DEP_2) | instskip(NEXT) | instid1(VALU_DEP_1)
	v_sub_f32_e32 v11, v11, v48
	v_add_f32_e32 v11, v11, v27
	v_cvt_i32_f32_e32 v27, v48
	s_delay_alu instid0(VALU_DEP_2) | instskip(SKIP_1) | instid1(TRANS32_DEP_1)
	v_exp_f32_e32 v11, v11
	v_nop
	v_ldexp_f32 v11, v11, v27
	s_delay_alu instid0(VALU_DEP_1) | instskip(SKIP_1) | instid1(VALU_DEP_1)
	v_cndmask_b32_e64 v11, 0, v11, s3
	v_cmp_nlt_f32_e64 s3, 0x42b17218, v3
	v_cndmask_b32_e64 v3, 0x7f800000, v11, s3
	v_mul_f32_e32 v11, 0x3fb8aa3b, v47
	v_cmp_ngt_f32_e64 s3, 0xc2ce8ed0, v47
	s_delay_alu instid0(VALU_DEP_2) | instskip(SKIP_2) | instid1(VALU_DEP_2)
	v_fma_f32 v48, 0x3fb8aa3b, v47, -v11
	v_rndne_f32_e32 v49, v11
	v_cndmask_b32_e32 v27, 0, v3, vcc_lo
	v_dual_fmac_f32 v48, 0x32a5705f, v47 :: v_dual_sub_f32 v11, v11, v49
	s_delay_alu instid0(VALU_DEP_1) | instskip(SKIP_1) | instid1(VALU_DEP_2)
	v_dual_add_f32 v3, v18, v27 :: v_dual_add_f32 v11, v11, v48
	v_cvt_i32_f32_e32 v48, v49
	v_exp_f32_e32 v11, v11
	v_nop
	s_delay_alu instid0(TRANS32_DEP_1) | instskip(NEXT) | instid1(VALU_DEP_1)
	v_ldexp_f32 v11, v11, v48
	v_cndmask_b32_e64 v11, 0, v11, s3
	v_cmp_nlt_f32_e64 s3, 0x42b17218, v47
	s_delay_alu instid0(VALU_DEP_1) | instskip(SKIP_1) | instid1(VALU_DEP_2)
	v_cndmask_b32_e64 v11, 0x7f800000, v11, s3
	v_cmp_ngt_f32_e64 s3, 0xc2ce8ed0, v4
	v_fmac_f32_e32 v3, v19, v11
	v_mul_f32_e32 v19, 0x3fb8aa3b, v4
	v_cvt_f16_f32_e32 v11, v11
	s_delay_alu instid0(VALU_DEP_2) | instskip(SKIP_1) | instid1(VALU_DEP_3)
	v_fma_f32 v48, 0x3fb8aa3b, v4, -v19
	v_rndne_f32_e32 v49, v19
	v_and_b32_e32 v11, 0xffff, v11
	s_delay_alu instid0(VALU_DEP_2) | instskip(NEXT) | instid1(VALU_DEP_2)
	v_dual_fmac_f32 v48, 0x32a5705f, v4 :: v_dual_sub_f32 v19, v19, v49
	v_mul_u32_u24_e32 v11, 0x10001, v11
	s_delay_alu instid0(VALU_DEP_2) | instskip(SKIP_1) | instid1(VALU_DEP_3)
	v_add_f32_e32 v19, v19, v48
	v_cvt_i32_f32_e32 v48, v49
	v_pk_mul_f16 v47, v95, v11
	v_pk_mul_f16 v11, v96, v11
	s_delay_alu instid0(VALU_DEP_4) | instskip(SKIP_1) | instid1(TRANS32_DEP_1)
	v_exp_f32_e32 v19, v19
	v_nop
	v_ldexp_f32 v19, v19, v48
	s_delay_alu instid0(VALU_DEP_1) | instskip(SKIP_1) | instid1(VALU_DEP_1)
	v_cndmask_b32_e64 v19, 0, v19, s3
	v_cmp_nlt_f32_e64 s3, 0x42b17218, v4
	v_cndmask_b32_e64 v4, 0x7f800000, v19, s3
	s_delay_alu instid0(VALU_DEP_1) | instskip(SKIP_1) | instid1(VALU_DEP_1)
	v_cndmask_b32_e64 v19, 0, v4, s2
	v_sub_f32_e32 v4, v12, v36
	v_mul_f32_e32 v12, 0x3fb8aa3b, v4
	v_cmp_ngt_f32_e64 s3, 0xc2ce8ed0, v4
	s_delay_alu instid0(VALU_DEP_2) | instskip(SKIP_1) | instid1(VALU_DEP_2)
	v_fma_f32 v48, 0x3fb8aa3b, v4, -v12
	v_rndne_f32_e32 v49, v12
	v_fmac_f32_e32 v48, 0x32a5705f, v4
	s_delay_alu instid0(VALU_DEP_2) | instskip(NEXT) | instid1(VALU_DEP_1)
	v_sub_f32_e32 v12, v12, v49
	v_add_f32_e32 v12, v12, v48
	v_cvt_i32_f32_e32 v48, v49
	s_delay_alu instid0(VALU_DEP_2) | instskip(SKIP_1) | instid1(TRANS32_DEP_1)
	v_exp_f32_e32 v12, v12
	v_nop
	v_ldexp_f32 v12, v12, v48
	v_mul_f32_e32 v48, 0x3fb8aa3b, v28
	s_delay_alu instid0(VALU_DEP_1) | instskip(SKIP_1) | instid1(VALU_DEP_4)
	v_fma_f32 v49, 0x3fb8aa3b, v28, -v48
	v_rndne_f32_e32 v51, v48
	v_cndmask_b32_e64 v12, 0, v12, s3
	v_cmp_nlt_f32_e64 s3, 0x42b17218, v4
	s_delay_alu instid0(VALU_DEP_3) | instskip(NEXT) | instid1(VALU_DEP_2)
	v_dual_fmac_f32 v49, 0x32a5705f, v28 :: v_dual_sub_f32 v48, v48, v51
	v_cndmask_b32_e64 v4, 0x7f800000, v12, s3
	v_cmp_ngt_f32_e64 s3, 0xc2ce8ed0, v28
	s_delay_alu instid0(VALU_DEP_3) | instskip(SKIP_1) | instid1(VALU_DEP_4)
	v_add_f32_e32 v48, v48, v49
	v_cvt_i32_f32_e32 v49, v51
	v_cndmask_b32_e32 v12, 0, v4, vcc_lo
	s_delay_alu instid0(VALU_DEP_3) | instskip(NEXT) | instid1(VALU_DEP_1)
	v_exp_f32_e32 v48, v48
	v_add_f32_e32 v4, v19, v12
	s_delay_alu instid0(TRANS32_DEP_1) | instskip(NEXT) | instid1(VALU_DEP_1)
	v_ldexp_f32 v48, v48, v49
	v_cndmask_b32_e64 v48, 0, v48, s3
	v_cmp_nlt_f32_e64 s3, 0x42b17218, v28
	s_delay_alu instid0(VALU_DEP_1) | instskip(SKIP_1) | instid1(VALU_DEP_2)
	v_cndmask_b32_e64 v28, 0x7f800000, v48, s3
	v_cmp_ngt_f32_e64 s3, 0xc2ce8ed0, v5
	v_fmac_f32_e32 v4, v20, v28
	v_cvt_f16_f32_e32 v20, v28
	v_mul_f32_e32 v28, 0x3fb8aa3b, v5
	s_delay_alu instid0(VALU_DEP_2) | instskip(NEXT) | instid1(VALU_DEP_2)
	v_and_b32_e32 v20, 0xffff, v20
	v_rndne_f32_e32 v51, v28
	s_delay_alu instid0(VALU_DEP_2) | instskip(NEXT) | instid1(VALU_DEP_1)
	v_mul_u32_u24_e32 v20, 0x10001, v20
	v_pk_mul_f16 v49, v93, v20
	v_pk_mul_f16 v48, v94, v20
	v_sub_f32_e32 v20, v29, v37
	v_fma_f32 v29, 0x3fb8aa3b, v5, -v28
	s_delay_alu instid0(VALU_DEP_1) | instskip(NEXT) | instid1(VALU_DEP_1)
	v_dual_sub_f32 v28, v28, v51 :: v_dual_fmac_f32 v29, 0x32a5705f, v5
	v_add_f32_e32 v28, v28, v29
	v_cvt_i32_f32_e32 v29, v51
	s_delay_alu instid0(VALU_DEP_2) | instskip(SKIP_1) | instid1(TRANS32_DEP_1)
	v_exp_f32_e32 v28, v28
	v_nop
	v_ldexp_f32 v28, v28, v29
	s_delay_alu instid0(VALU_DEP_1) | instskip(SKIP_1) | instid1(VALU_DEP_1)
	v_cndmask_b32_e64 v28, 0, v28, s3
	v_cmp_nlt_f32_e64 s3, 0x42b17218, v5
	v_cndmask_b32_e64 v5, 0x7f800000, v28, s3
	s_delay_alu instid0(VALU_DEP_1) | instskip(SKIP_1) | instid1(VALU_DEP_1)
	v_cndmask_b32_e64 v28, 0, v5, s2
	v_sub_f32_e32 v5, v13, v37
	v_mul_f32_e32 v13, 0x3fb8aa3b, v5
	v_cmp_ngt_f32_e64 s3, 0xc2ce8ed0, v5
	s_delay_alu instid0(VALU_DEP_2) | instskip(SKIP_1) | instid1(VALU_DEP_2)
	v_fma_f32 v29, 0x3fb8aa3b, v5, -v13
	v_rndne_f32_e32 v51, v13
	v_fmac_f32_e32 v29, 0x32a5705f, v5
	s_delay_alu instid0(VALU_DEP_2) | instskip(NEXT) | instid1(VALU_DEP_1)
	v_sub_f32_e32 v13, v13, v51
	v_add_f32_e32 v13, v13, v29
	v_cvt_i32_f32_e32 v29, v51
	s_delay_alu instid0(VALU_DEP_2) | instskip(SKIP_1) | instid1(TRANS32_DEP_1)
	v_exp_f32_e32 v13, v13
	v_nop
	v_ldexp_f32 v13, v13, v29
	v_mul_f32_e32 v29, 0x3fb8aa3b, v20
	s_delay_alu instid0(VALU_DEP_1) | instskip(NEXT) | instid1(VALU_DEP_3)
	v_rndne_f32_e32 v52, v29
	v_cndmask_b32_e64 v13, 0, v13, s3
	v_cmp_nlt_f32_e64 s3, 0x42b17218, v5
	v_fma_f32 v51, 0x3fb8aa3b, v20, -v29
	s_delay_alu instid0(VALU_DEP_4) | instskip(NEXT) | instid1(VALU_DEP_3)
	v_sub_f32_e32 v29, v29, v52
	v_cndmask_b32_e64 v5, 0x7f800000, v13, s3
	s_delay_alu instid0(VALU_DEP_3) | instskip(SKIP_1) | instid1(VALU_DEP_2)
	v_fmac_f32_e32 v51, 0x32a5705f, v20
	v_cmp_ngt_f32_e64 s3, 0xc2ce8ed0, v20
	v_dual_cndmask_b32 v13, 0, v5, vcc_lo :: v_dual_add_f32 v29, v29, v51
	v_cvt_i32_f32_e32 v51, v52
	s_delay_alu instid0(VALU_DEP_2) | instskip(NEXT) | instid1(VALU_DEP_3)
	v_add_f32_e32 v5, v28, v13
	v_exp_f32_e32 v29, v29
	v_nop
	s_delay_alu instid0(TRANS32_DEP_1) | instskip(NEXT) | instid1(VALU_DEP_1)
	v_ldexp_f32 v29, v29, v51
	v_cndmask_b32_e64 v29, 0, v29, s3
	v_cmp_nlt_f32_e64 s3, 0x42b17218, v20
	s_delay_alu instid0(VALU_DEP_1) | instskip(SKIP_1) | instid1(VALU_DEP_2)
	v_cndmask_b32_e64 v20, 0x7f800000, v29, s3
	v_cmp_ngt_f32_e64 s3, 0xc2ce8ed0, v6
	v_fmac_f32_e32 v5, v21, v20
	v_cvt_f16_f32_e32 v20, v20
	v_mul_f32_e32 v21, 0x3fb8aa3b, v6
	s_delay_alu instid0(VALU_DEP_2) | instskip(NEXT) | instid1(VALU_DEP_2)
	v_and_b32_e32 v20, 0xffff, v20
	v_fma_f32 v29, 0x3fb8aa3b, v6, -v21
	s_delay_alu instid0(VALU_DEP_2) | instskip(NEXT) | instid1(VALU_DEP_2)
	v_mul_u32_u24_e32 v20, 0x10001, v20
	v_fmac_f32_e32 v29, 0x32a5705f, v6
	s_delay_alu instid0(VALU_DEP_2) | instskip(SKIP_3) | instid1(VALU_DEP_1)
	v_pk_mul_f16 v52, v91, v20
	v_pk_mul_f16 v51, v92, v20
	v_sub_f32_e32 v20, v30, v38
	v_rndne_f32_e32 v30, v21
	v_sub_f32_e32 v21, v21, v30
	s_delay_alu instid0(VALU_DEP_1) | instskip(SKIP_1) | instid1(VALU_DEP_2)
	v_add_f32_e32 v21, v21, v29
	v_cvt_i32_f32_e32 v29, v30
	v_exp_f32_e32 v21, v21
	v_nop
	s_delay_alu instid0(TRANS32_DEP_1) | instskip(NEXT) | instid1(VALU_DEP_1)
	v_ldexp_f32 v21, v21, v29
	v_cndmask_b32_e64 v21, 0, v21, s3
	v_cmp_nlt_f32_e64 s3, 0x42b17218, v6
	s_delay_alu instid0(VALU_DEP_1) | instskip(NEXT) | instid1(VALU_DEP_1)
	v_cndmask_b32_e64 v6, 0x7f800000, v21, s3
	v_cndmask_b32_e64 v21, 0, v6, s2
	v_sub_f32_e32 v6, v14, v38
	s_delay_alu instid0(VALU_DEP_1) | instskip(SKIP_1) | instid1(VALU_DEP_2)
	v_mul_f32_e32 v14, 0x3fb8aa3b, v6
	v_cmp_ngt_f32_e64 s3, 0xc2ce8ed0, v6
	v_fma_f32 v29, 0x3fb8aa3b, v6, -v14
	v_rndne_f32_e32 v30, v14
	s_delay_alu instid0(VALU_DEP_2) | instskip(NEXT) | instid1(VALU_DEP_2)
	v_fmac_f32_e32 v29, 0x32a5705f, v6
	v_sub_f32_e32 v14, v14, v30
	s_delay_alu instid0(VALU_DEP_1) | instskip(SKIP_1) | instid1(VALU_DEP_2)
	v_add_f32_e32 v14, v14, v29
	v_cvt_i32_f32_e32 v29, v30
	v_exp_f32_e32 v14, v14
	v_nop
	s_delay_alu instid0(TRANS32_DEP_1) | instskip(SKIP_1) | instid1(VALU_DEP_2)
	v_ldexp_f32 v14, v14, v29
	v_mul_f32_e32 v29, 0x3fb8aa3b, v20
	v_cndmask_b32_e64 v14, 0, v14, s3
	s_delay_alu instid0(VALU_DEP_2) | instskip(SKIP_2) | instid1(VALU_DEP_2)
	v_fma_f32 v30, 0x3fb8aa3b, v20, -v29
	v_rndne_f32_e32 v53, v29
	v_cmp_nlt_f32_e64 s3, 0x42b17218, v6
	v_dual_fmac_f32 v30, 0x32a5705f, v20 :: v_dual_sub_f32 v29, v29, v53
	s_delay_alu instid0(VALU_DEP_2) | instskip(SKIP_1) | instid1(VALU_DEP_3)
	v_cndmask_b32_e64 v6, 0x7f800000, v14, s3
	v_cmp_ngt_f32_e64 s3, 0xc2ce8ed0, v20
	v_add_f32_e32 v29, v29, v30
	v_cvt_i32_f32_e32 v30, v53
	s_delay_alu instid0(VALU_DEP_4) | instskip(NEXT) | instid1(VALU_DEP_3)
	v_cndmask_b32_e32 v14, 0, v6, vcc_lo
	v_exp_f32_e32 v29, v29
	v_nop
	s_delay_alu instid0(TRANS32_DEP_1) | instskip(NEXT) | instid1(VALU_DEP_1)
	v_ldexp_f32 v29, v29, v30
	v_dual_add_f32 v6, v21, v14 :: v_dual_cndmask_b32 v29, 0, v29, s3
	v_cmp_nlt_f32_e64 s3, 0x42b17218, v20
	s_delay_alu instid0(VALU_DEP_1) | instskip(NEXT) | instid1(VALU_DEP_1)
	v_cndmask_b32_e64 v20, 0x7f800000, v29, s3
	v_fmac_f32_e32 v6, v22, v20
	v_cvt_f16_f32_e32 v20, v20
	v_mul_f32_e32 v22, 0x3fb8aa3b, v7
	s_delay_alu instid0(VALU_DEP_2) | instskip(NEXT) | instid1(VALU_DEP_2)
	v_and_b32_e32 v20, 0xffff, v20
	v_fma_f32 v29, 0x3fb8aa3b, v7, -v22
	v_rndne_f32_e32 v30, v22
	s_delay_alu instid0(VALU_DEP_3) | instskip(NEXT) | instid1(VALU_DEP_2)
	v_mul_u32_u24_e32 v20, 0x10001, v20
	v_sub_f32_e32 v22, v22, v30
	v_cmp_ngt_f32_e64 s3, 0xc2ce8ed0, v7
	s_delay_alu instid0(VALU_DEP_3) | instskip(SKIP_3) | instid1(VALU_DEP_1)
	v_pk_mul_f16 v53, v89, v20
	v_pk_mul_f16 v100, v90, v20
	v_sub_f32_e32 v20, v31, v39
	v_fmac_f32_e32 v29, 0x32a5705f, v7
	v_add_f32_e32 v22, v22, v29
	v_cvt_i32_f32_e32 v29, v30
	s_delay_alu instid0(VALU_DEP_2) | instskip(SKIP_1) | instid1(TRANS32_DEP_1)
	v_exp_f32_e32 v22, v22
	v_nop
	v_ldexp_f32 v22, v22, v29
	s_delay_alu instid0(VALU_DEP_1) | instskip(SKIP_1) | instid1(VALU_DEP_1)
	v_cndmask_b32_e64 v22, 0, v22, s3
	v_cmp_nlt_f32_e64 s3, 0x42b17218, v7
	v_cndmask_b32_e64 v7, 0x7f800000, v22, s3
	s_delay_alu instid0(VALU_DEP_1) | instskip(SKIP_1) | instid1(VALU_DEP_1)
	v_cndmask_b32_e64 v22, 0, v7, s2
	v_sub_f32_e32 v7, v15, v39
	v_mul_f32_e32 v15, 0x3fb8aa3b, v7
	v_cmp_ngt_f32_e64 s2, 0xc2ce8ed0, v7
	s_delay_alu instid0(VALU_DEP_2) | instskip(SKIP_1) | instid1(VALU_DEP_2)
	v_fma_f32 v29, 0x3fb8aa3b, v7, -v15
	v_rndne_f32_e32 v30, v15
	v_fmac_f32_e32 v29, 0x32a5705f, v7
	s_delay_alu instid0(VALU_DEP_2) | instskip(SKIP_1) | instid1(VALU_DEP_2)
	v_sub_f32_e32 v15, v15, v30
	v_cvt_pk_f16_f32 v21, v21, v22
	v_add_f32_e32 v15, v15, v29
	v_cvt_i32_f32_e32 v29, v30
	s_delay_alu instid0(VALU_DEP_2) | instskip(SKIP_1) | instid1(TRANS32_DEP_1)
	v_exp_f32_e32 v15, v15
	v_nop
	v_ldexp_f32 v15, v15, v29
	v_mul_f32_e32 v29, 0x3fb8aa3b, v20
	s_delay_alu instid0(VALU_DEP_1) | instskip(SKIP_1) | instid1(VALU_DEP_1)
	v_fma_f32 v30, 0x3fb8aa3b, v20, -v29
	v_rndne_f32_e32 v31, v29
	v_dual_fmac_f32 v30, 0x32a5705f, v20 :: v_dual_sub_f32 v29, v29, v31
	v_cndmask_b32_e64 v15, 0, v15, s2
	v_cmp_nlt_f32_e64 s2, 0x42b17218, v7
	s_delay_alu instid0(VALU_DEP_3) | instskip(SKIP_1) | instid1(VALU_DEP_3)
	v_add_f32_e32 v29, v29, v30
	v_cvt_i32_f32_e32 v30, v31
	v_cndmask_b32_e64 v7, 0x7f800000, v15, s2
	s_mul_u64 s[2:3], s[14:15], s[10:11]
	s_delay_alu instid0(VALU_DEP_3) | instskip(SKIP_1) | instid1(SALU_CYCLE_1)
	v_exp_f32_e32 v29, v29
	s_lshl_b64 s[2:3], s[2:3], 2
	s_add_nc_u64 s[2:3], s[8:9], s[2:3]
	v_nop
	s_delay_alu instid0(TRANS32_DEP_1) | instskip(SKIP_3) | instid1(VALU_DEP_4)
	v_ldexp_f32 v29, v29, v30
	v_cndmask_b32_e32 v15, 0, v7, vcc_lo
	v_cmp_ngt_f32_e32 vcc_lo, 0xc2ce8ed0, v20
	v_lshl_add_u32 v30, v84, 1, v85
	v_cndmask_b32_e32 v29, 0, v29, vcc_lo
	v_cmp_nlt_f32_e32 vcc_lo, 0x42b17218, v20
	v_add_f32_e32 v7, v22, v15
	v_cvt_pk_f16_f32 v15, v14, v15
	v_cvt_pk_f16_f32 v14, v12, v13
	;; [unrolled: 1-line block ×3, first 2 shown]
	v_cndmask_b32_e32 v20, 0x7f800000, v29, vcc_lo
	v_cvt_pk_f16_f32 v12, v46, v25
	v_cmp_gt_i32_e32 vcc_lo, s7, v30
	v_add_nc_u32_e32 v25, 0x4000, v83
	s_delay_alu instid0(VALU_DEP_4) | instskip(SKIP_2) | instid1(VALU_DEP_2)
	v_fmac_f32_e32 v7, v23, v20
	v_cvt_f16_f32_e32 v20, v20
	v_add_nc_u32_e32 v23, 0x6400, v41
	v_and_b32_e32 v20, 0xffff, v20
	s_delay_alu instid0(VALU_DEP_2) | instskip(NEXT) | instid1(VALU_DEP_2)
	v_lshl_add_u32 v29, v40, 4, v23
	v_mul_u32_u24_e32 v20, 0x10001, v20
	s_delay_alu instid0(VALU_DEP_1)
	v_pk_mul_f16 v31, v87, v20
	v_pk_mul_f16 v101, v88, v20
	v_cvt_pk_f16_f32 v20, v19, v28
	v_cvt_pk_f16_f32 v19, v17, v18
	;; [unrolled: 1-line block ×3, first 2 shown]
	v_lshl_add_u32 v16, v64, 4, v23
	ds_store_b128 v29, v[18:21]
	ds_store_b128 v16, v[12:15]
	v_mul_lo_u32 v20, s10, v30
	v_mov_b32_e32 v19, 0
	v_mbcnt_lo_u32_b32 v12, -1, 0
	v_lshlrev_b32_e32 v18, 2, v42
	s_delay_alu instid0(VALU_DEP_2) | instskip(SKIP_1) | instid1(VALU_DEP_3)
	v_dual_add_nc_u32 v29, 16, v30 :: v_dual_lshlrev_b32 v13, 20, v12
	v_mov_b32_e32 v12, 0
	v_lshl_or_b32 v28, v30, 8, v18
	s_delay_alu instid0(VALU_DEP_3) | instskip(SKIP_4) | instid1(VALU_DEP_4)
	v_lshl_or_b32 v27, v29, 8, v18
	v_ashrrev_i32_e32 v21, 31, v20
	v_lshl_add_u32 v64, s10, 4, v20
	v_add_nc_u64_e32 v[16:17], src_flat_scratch_base_lo, v[12:13]
	v_dual_mov_b32 v14, s6 :: v_dual_mov_b32 v13, s5
	v_lshlrev_b64_e32 v[22:23], 2, v[20:21]
	s_delay_alu instid0(VALU_DEP_4) | instskip(NEXT) | instid1(VALU_DEP_2)
	v_ashrrev_i32_e32 v65, 31, v64
	v_add_nc_u64_e32 v[20:21], s[2:3], v[22:23]
	s_delay_alu instid0(VALU_DEP_1) | instskip(SKIP_2) | instid1(VALU_DEP_2)
	v_add_nc_u64_e32 v[20:21], v[20:21], v[18:19]
	v_mov_b32_e32 v12, s4
	s_sub_co_i32 s4, s7, 32
	v_dual_cndmask_b32 v21, v17, v21 :: v_dual_cndmask_b32 v20, v16, v20
	s_clause 0x1
	scratch_store_b32 off, v19, off
	scratch_store_b96 off, v[12:14], off offset:4
	v_cmp_gt_i32_e32 vcc_lo, s7, v29
	flat_load_b128 v[54:57], v[20:21]
	s_wait_xcnt 0x0
	v_lshlrev_b64_e32 v[20:21], 2, v[64:65]
	s_wait_loadcnt_dscnt 0x0
	ds_store_b128 v28, v[54:57] offset:16384
	v_add_nc_u64_e32 v[54:55], s[2:3], v[20:21]
	s_clause 0x1
	scratch_store_b32 off, v19, off
	scratch_store_b96 off, v[12:14], off offset:4
	s_or_b32 s2, s14, 32
	s_delay_alu instid0(SALU_CYCLE_1) | instskip(NEXT) | instid1(SALU_CYCLE_1)
	s_ashr_i32 s3, s2, 31
	s_mul_u64 s[2:3], s[2:3], s[10:11]
	v_add_nc_u64_e32 v[54:55], v[54:55], v[18:19]
	s_lshl_b64 s[2:3], s[2:3], 2
	s_delay_alu instid0(SALU_CYCLE_1) | instskip(NEXT) | instid1(VALU_DEP_1)
	s_add_nc_u64 s[2:3], s[8:9], s[2:3]
	v_dual_cndmask_b32 v55, v17, v55 :: v_dual_cndmask_b32 v54, v16, v54
	v_cmp_gt_i32_e32 vcc_lo, s4, v30
	flat_load_b128 v[54:57], v[54:55]
	s_wait_loadcnt_dscnt 0x0
	ds_store_b128 v27, v[54:57] offset:16384
	s_wait_storecnt_dscnt 0x0
	s_barrier_signal -1
	s_barrier_wait -1
	s_wait_xcnt 0x0
	ds_load_2addr_b64 v[54:57], v25 offset1:32
	ds_load_b128 v[84:87], v41 offset:25600
	ds_load_b128 v[88:91], v41 offset:25616
	;; [unrolled: 1-line block ×4, first 2 shown]
	s_wait_dscnt 0x3
	v_dual_lshrrev_b32 v15, 16, v84 :: v_dual_lshrrev_b32 v42, 16, v85
	v_dual_lshrrev_b32 v45, 16, v86 :: v_dual_lshrrev_b32 v46, 16, v87
	v_and_b32_e32 v50, 0xffff, v84
	v_and_b32_e32 v64, 0xffff, v85
	;; [unrolled: 1-line block ×4, first 2 shown]
	v_mul_u32_u24_e32 v15, 0x10001, v15
	v_mul_u32_u24_e32 v50, 0x10001, v50
	;; [unrolled: 1-line block ×8, first 2 shown]
	v_pk_fma_f16 v24, v54, v50, v24
	v_pk_fma_f16 v44, v54, v15, v44
	v_pk_fma_f16 v26, v54, v64, v26
	v_pk_fma_f16 v47, v54, v42, v47
	v_pk_fma_f16 v49, v54, v65, v49
	v_pk_fma_f16 v52, v54, v45, v52
	v_pk_fma_f16 v53, v54, v84, v53
	v_pk_fma_f16 v31, v54, v46, v31
	v_pk_fma_f16 v8, v55, v50, v8
	v_pk_fma_f16 v9, v55, v15, v9
	v_pk_fma_f16 v10, v55, v64, v10
	v_pk_fma_f16 v11, v55, v42, v11
	v_pk_fma_f16 v15, v55, v65, v48
	v_pk_fma_f16 v42, v55, v45, v51
	v_pk_fma_f16 v45, v55, v84, v100
	v_pk_fma_f16 v46, v55, v46, v101
	s_wait_dscnt 0x2
	v_dual_lshrrev_b32 v48, 16, v88 :: v_dual_lshrrev_b32 v50, 16, v89
	v_dual_lshrrev_b32 v51, 16, v90 :: v_dual_lshrrev_b32 v54, 16, v91
	v_and_b32_e32 v55, 0xffff, v88
	v_and_b32_e32 v64, 0xffff, v89
	v_and_b32_e32 v65, 0xffff, v90
	v_and_b32_e32 v84, 0xffff, v91
	v_mul_u32_u24_e32 v48, 0x10001, v48
	v_mul_u32_u24_e32 v55, 0x10001, v55
	;; [unrolled: 1-line block ×8, first 2 shown]
	v_pk_fma_f16 v24, v56, v55, v24
	v_pk_fma_f16 v44, v56, v48, v44
	;; [unrolled: 1-line block ×12, first 2 shown]
	ds_load_2addr_b64 v[8:11], v25 offset0:64 offset1:96
	v_pk_fma_f16 v15, v57, v65, v15
	v_pk_fma_f16 v42, v57, v51, v42
	;; [unrolled: 1-line block ×4, first 2 shown]
	s_wait_dscnt 0x2
	v_dual_lshrrev_b32 v51, 16, v92 :: v_dual_lshrrev_b32 v54, 16, v93
	v_dual_lshrrev_b32 v57, 16, v94 :: v_dual_lshrrev_b32 v64, 16, v95
	v_and_b32_e32 v65, 0xffff, v92
	v_and_b32_e32 v84, 0xffff, v93
	;; [unrolled: 1-line block ×4, first 2 shown]
	v_mul_u32_u24_e32 v51, 0x10001, v51
	v_mul_u32_u24_e32 v65, 0x10001, v65
	;; [unrolled: 1-line block ×8, first 2 shown]
	s_wait_dscnt 0x0
	v_pk_fma_f16 v24, v8, v65, v24
	v_pk_fma_f16 v44, v8, v51, v44
	;; [unrolled: 1-line block ×16, first 2 shown]
	v_dual_lshrrev_b32 v46, 16, v96 :: v_dual_lshrrev_b32 v54, 16, v97
	v_dual_lshrrev_b32 v55, 16, v98 :: v_dual_lshrrev_b32 v56, 16, v99
	v_and_b32_e32 v57, 0xffff, v96
	v_and_b32_e32 v64, 0xffff, v97
	v_and_b32_e32 v65, 0xffff, v98
	v_and_b32_e32 v84, 0xffff, v99
	v_mul_u32_u24_e32 v46, 0x10001, v46
	v_mul_u32_u24_e32 v57, 0x10001, v57
	;; [unrolled: 1-line block ×8, first 2 shown]
	v_pk_fma_f16 v24, v10, v57, v24
	v_pk_fma_f16 v85, v10, v46, v44
	;; [unrolled: 1-line block ×16, first 2 shown]
	ds_load_2addr_b64 v[8:11], v25 offset0:128 offset1:160
	ds_load_b128 v[44:47], v41 offset:25664
	s_wait_dscnt 0x0
	v_dual_lshrrev_b32 v56, 16, v44 :: v_dual_lshrrev_b32 v57, 16, v45
	v_dual_lshrrev_b32 v64, 16, v46 :: v_dual_lshrrev_b32 v65, 16, v47
	v_and_b32_e32 v44, 0xffff, v44
	v_and_b32_e32 v45, 0xffff, v45
	;; [unrolled: 1-line block ×4, first 2 shown]
	v_mul_u32_u24_e32 v56, 0x10001, v56
	v_mul_u32_u24_e32 v44, 0x10001, v44
	;; [unrolled: 1-line block ×6, first 2 shown]
	v_pk_fma_f16 v24, v8, v44, v24
	v_pk_fma_f16 v26, v8, v45, v26
	;; [unrolled: 1-line block ×8, first 2 shown]
	ds_load_b128 v[44:47], v41 offset:25680
	v_mul_u32_u24_e32 v64, 0x10001, v64
	v_mul_u32_u24_e32 v65, 0x10001, v65
	v_pk_fma_f16 v84, v8, v56, v85
	v_pk_fma_f16 v85, v8, v57, v86
	;; [unrolled: 1-line block ×8, first 2 shown]
	s_wait_dscnt 0x0
	v_dual_lshrrev_b32 v55, 16, v44 :: v_dual_lshrrev_b32 v56, 16, v45
	v_dual_lshrrev_b32 v57, 16, v46 :: v_dual_lshrrev_b32 v64, 16, v47
	v_and_b32_e32 v44, 0xffff, v44
	v_and_b32_e32 v45, 0xffff, v45
	;; [unrolled: 1-line block ×4, first 2 shown]
	v_mul_u32_u24_e32 v55, 0x10001, v55
	v_mul_u32_u24_e32 v44, 0x10001, v44
	;; [unrolled: 1-line block ×8, first 2 shown]
	v_pk_fma_f16 v24, v10, v44, v24
	v_pk_fma_f16 v65, v10, v55, v84
	;; [unrolled: 1-line block ×16, first 2 shown]
	ds_load_2addr_b64 v[8:11], v25 offset0:192 offset1:224
	ds_load_b128 v[44:47], v41 offset:25696
	s_wait_dscnt 0x0
	v_dual_lshrrev_b32 v56, 16, v44 :: v_dual_lshrrev_b32 v57, 16, v45
	v_dual_lshrrev_b32 v64, 16, v46 :: v_dual_lshrrev_b32 v86, 16, v47
	v_and_b32_e32 v44, 0xffff, v44
	v_and_b32_e32 v45, 0xffff, v45
	;; [unrolled: 1-line block ×4, first 2 shown]
	v_mul_u32_u24_e32 v56, 0x10001, v56
	v_mul_u32_u24_e32 v44, 0x10001, v44
	;; [unrolled: 1-line block ×8, first 2 shown]
	v_pk_fma_f16 v24, v8, v44, v24
	v_pk_fma_f16 v65, v8, v56, v65
	;; [unrolled: 1-line block ×12, first 2 shown]
	ds_load_b128 v[44:47], v41 offset:25712
	v_pk_fma_f16 v56, v9, v56, v48
	v_pk_fma_f16 v57, v9, v57, v50
	;; [unrolled: 1-line block ×4, first 2 shown]
	s_wait_dscnt 0x0
	v_dual_lshrrev_b32 v26, 16, v44 :: v_dual_lshrrev_b32 v31, 16, v45
	v_dual_lshrrev_b32 v42, 16, v46 :: v_dual_lshrrev_b32 v48, 16, v47
	v_and_b32_e32 v44, 0xffff, v44
	s_delay_alu instid0(VALU_DEP_3) | instskip(SKIP_1) | instid1(VALU_DEP_4)
	v_mul_u32_u24_e32 v55, 0x10001, v26
	v_and_b32_e32 v26, 0xffff, v45
	v_mul_u32_u24_e32 v90, 0x10001, v42
	v_mul_u32_u24_e32 v88, 0x10001, v31
	;; [unrolled: 1-line block ×5, first 2 shown]
	v_and_b32_e32 v26, 0xffff, v46
	v_pk_fma_f16 v45, v10, v90, v52
	v_pk_fma_f16 v24, v10, v50, v24
	v_pk_fma_f16 v42, v10, v88, v84
	v_pk_fma_f16 v31, v10, v86, v87
	v_mul_u32_u24_e32 v89, 0x10001, v26
	v_and_b32_e32 v26, 0xffff, v47
	v_pk_fma_f16 v47, v10, v92, v8
	v_pk_fma_f16 v48, v11, v50, v85
	;; [unrolled: 1-line block ×4, first 2 shown]
	v_mul_u32_u24_e32 v91, 0x10001, v26
	v_add_nc_u32_e32 v15, 0x4800, v83
	v_pk_fma_f16 v26, v10, v55, v65
	v_pk_fma_f16 v44, v10, v89, v49
	;; [unrolled: 1-line block ×8, first 2 shown]
	ds_load_2addr_b64 v[8:11], v15 offset1:32
	ds_load_b128 v[84:87], v41 offset:25728
	s_wait_dscnt 0x0
	v_dual_lshrrev_b32 v56, 16, v84 :: v_dual_lshrrev_b32 v57, 16, v85
	v_dual_lshrrev_b32 v64, 16, v86 :: v_dual_lshrrev_b32 v65, 16, v87
	v_and_b32_e32 v84, 0xffff, v84
	v_and_b32_e32 v85, 0xffff, v85
	;; [unrolled: 1-line block ×4, first 2 shown]
	v_mul_u32_u24_e32 v56, 0x10001, v56
	v_mul_u32_u24_e32 v84, 0x10001, v84
	;; [unrolled: 1-line block ×8, first 2 shown]
	v_pk_fma_f16 v24, v8, v84, v24
	v_pk_fma_f16 v26, v8, v56, v26
	;; [unrolled: 1-line block ×8, first 2 shown]
	ds_load_b128 v[44:47], v41 offset:25744
	v_pk_fma_f16 v48, v9, v84, v48
	v_pk_fma_f16 v49, v9, v56, v49
	;; [unrolled: 1-line block ×8, first 2 shown]
	s_wait_dscnt 0x0
	v_dual_lshrrev_b32 v55, 16, v44 :: v_dual_lshrrev_b32 v56, 16, v45
	v_dual_lshrrev_b32 v57, 16, v46 :: v_dual_lshrrev_b32 v64, 16, v47
	v_and_b32_e32 v44, 0xffff, v44
	v_and_b32_e32 v45, 0xffff, v45
	;; [unrolled: 1-line block ×4, first 2 shown]
	v_mul_u32_u24_e32 v55, 0x10001, v55
	v_mul_u32_u24_e32 v44, 0x10001, v44
	;; [unrolled: 1-line block ×8, first 2 shown]
	v_pk_fma_f16 v24, v10, v44, v24
	v_pk_fma_f16 v26, v10, v55, v26
	v_pk_fma_f16 v31, v10, v45, v31
	v_pk_fma_f16 v42, v10, v56, v42
	v_pk_fma_f16 v65, v10, v46, v88
	v_pk_fma_f16 v84, v10, v57, v89
	v_pk_fma_f16 v85, v10, v47, v90
	v_pk_fma_f16 v86, v10, v64, v8
	v_pk_fma_f16 v48, v11, v44, v48
	v_pk_fma_f16 v49, v11, v55, v49
	v_pk_fma_f16 v50, v11, v45, v50
	v_pk_fma_f16 v51, v11, v56, v51
	v_pk_fma_f16 v52, v11, v46, v52
	v_pk_fma_f16 v53, v11, v57, v53
	v_pk_fma_f16 v54, v11, v47, v54
	v_pk_fma_f16 v55, v11, v64, v9
	ds_load_2addr_b64 v[8:11], v15 offset0:64 offset1:96
	ds_load_b128 v[44:47], v41 offset:25760
	s_wait_dscnt 0x0
	v_dual_lshrrev_b32 v56, 16, v44 :: v_dual_lshrrev_b32 v57, 16, v45
	v_dual_lshrrev_b32 v64, 16, v46 :: v_dual_lshrrev_b32 v87, 16, v47
	v_and_b32_e32 v44, 0xffff, v44
	v_and_b32_e32 v45, 0xffff, v45
	;; [unrolled: 1-line block ×4, first 2 shown]
	v_mul_u32_u24_e32 v56, 0x10001, v56
	v_mul_u32_u24_e32 v44, 0x10001, v44
	;; [unrolled: 1-line block ×6, first 2 shown]
	v_pk_fma_f16 v24, v8, v44, v24
	v_pk_fma_f16 v31, v8, v45, v31
	;; [unrolled: 1-line block ×8, first 2 shown]
	ds_load_b128 v[44:47], v41 offset:25776
	v_mul_u32_u24_e32 v64, 0x10001, v64
	v_mul_u32_u24_e32 v87, 0x10001, v87
	v_pk_fma_f16 v26, v8, v56, v26
	v_pk_fma_f16 v42, v8, v57, v42
	;; [unrolled: 1-line block ×8, first 2 shown]
	s_wait_dscnt 0x0
	v_dual_lshrrev_b32 v55, 16, v44 :: v_dual_lshrrev_b32 v56, 16, v45
	v_dual_lshrrev_b32 v57, 16, v46 :: v_dual_lshrrev_b32 v64, 16, v47
	v_and_b32_e32 v44, 0xffff, v44
	v_and_b32_e32 v45, 0xffff, v45
	v_and_b32_e32 v46, 0xffff, v46
	v_and_b32_e32 v47, 0xffff, v47
	v_mul_u32_u24_e32 v55, 0x10001, v55
	v_mul_u32_u24_e32 v44, 0x10001, v44
	;; [unrolled: 1-line block ×8, first 2 shown]
	v_pk_fma_f16 v24, v10, v44, v24
	v_pk_fma_f16 v26, v10, v55, v26
	;; [unrolled: 1-line block ×16, first 2 shown]
	ds_load_2addr_b64 v[8:11], v15 offset0:128 offset1:160
	ds_load_b128 v[44:47], v41 offset:25792
	s_wait_dscnt 0x0
	v_dual_lshrrev_b32 v56, 16, v44 :: v_dual_lshrrev_b32 v57, 16, v45
	v_and_b32_e32 v44, 0xffff, v44
	v_dual_lshrrev_b32 v64, 16, v46 :: v_dual_lshrrev_b32 v87, 16, v47
	s_delay_alu instid0(VALU_DEP_3) | instskip(NEXT) | instid1(VALU_DEP_4)
	v_mul_u32_u24_e32 v56, 0x10001, v56
	v_mul_u32_u24_e32 v57, 0x10001, v57
	s_delay_alu instid0(VALU_DEP_4)
	v_mul_u32_u24_e32 v88, 0x10001, v44
	v_and_b32_e32 v44, 0xffff, v45
	v_mul_u32_u24_e32 v64, 0x10001, v64
	v_mul_u32_u24_e32 v87, 0x10001, v87
	v_pk_fma_f16 v26, v8, v56, v26
	v_pk_fma_f16 v42, v8, v57, v42
	v_mul_u32_u24_e32 v89, 0x10001, v44
	v_and_b32_e32 v44, 0xffff, v46
	v_pk_fma_f16 v45, v8, v64, v84
	v_pk_fma_f16 v24, v8, v88, v24
	s_delay_alu instid0(VALU_DEP_4) | instskip(NEXT) | instid1(VALU_DEP_4)
	v_pk_fma_f16 v31, v8, v89, v31
	v_mul_u32_u24_e32 v90, 0x10001, v44
	v_and_b32_e32 v44, 0xffff, v47
	v_pk_fma_f16 v47, v9, v88, v48
	v_pk_fma_f16 v48, v9, v56, v49
	;; [unrolled: 1-line block ×4, first 2 shown]
	v_mul_u32_u24_e32 v91, 0x10001, v44
	v_pk_fma_f16 v51, v9, v90, v52
	v_pk_fma_f16 v52, v9, v64, v53
	;; [unrolled: 1-line block ×3, first 2 shown]
	s_delay_alu instid0(VALU_DEP_4)
	v_pk_fma_f16 v53, v9, v91, v54
	v_pk_fma_f16 v9, v9, v87, v55
	ds_load_b128 v[54:57], v41 offset:25808
	v_pk_fma_f16 v46, v8, v91, v85
	v_pk_fma_f16 v8, v8, v87, v86
	s_wait_dscnt 0x0
	v_dual_lshrrev_b32 v64, 16, v54 :: v_dual_lshrrev_b32 v65, 16, v55
	v_dual_lshrrev_b32 v84, 16, v56 :: v_dual_lshrrev_b32 v85, 16, v57
	v_and_b32_e32 v54, 0xffff, v54
	v_and_b32_e32 v55, 0xffff, v55
	;; [unrolled: 1-line block ×4, first 2 shown]
	v_mul_u32_u24_e32 v64, 0x10001, v64
	v_mul_u32_u24_e32 v54, 0x10001, v54
	;; [unrolled: 1-line block ×8, first 2 shown]
	v_pk_fma_f16 v24, v10, v54, v24
	v_pk_fma_f16 v26, v10, v64, v26
	;; [unrolled: 1-line block ×16, first 2 shown]
	ds_load_2addr_b64 v[8:11], v15 offset0:192 offset1:224
	ds_load_b128 v[44:47], v41 offset:25824
	s_wait_dscnt 0x0
	v_dual_lshrrev_b32 v56, 16, v44 :: v_dual_lshrrev_b32 v57, 16, v45
	v_dual_lshrrev_b32 v64, 16, v46 :: v_dual_lshrrev_b32 v65, 16, v47
	v_and_b32_e32 v44, 0xffff, v44
	v_and_b32_e32 v45, 0xffff, v45
	;; [unrolled: 1-line block ×4, first 2 shown]
	v_mul_u32_u24_e32 v56, 0x10001, v56
	v_mul_u32_u24_e32 v44, 0x10001, v44
	;; [unrolled: 1-line block ×6, first 2 shown]
	v_pk_fma_f16 v24, v8, v44, v24
	v_pk_fma_f16 v31, v8, v45, v31
	;; [unrolled: 1-line block ×8, first 2 shown]
	ds_load_b128 v[44:47], v41 offset:25840
	v_mul_u32_u24_e32 v64, 0x10001, v64
	v_mul_u32_u24_e32 v65, 0x10001, v65
	v_pk_fma_f16 v48, v9, v56, v48
	v_pk_fma_f16 v50, v9, v57, v50
	;; [unrolled: 1-line block ×8, first 2 shown]
	s_wait_dscnt 0x0
	v_dual_lshrrev_b32 v55, 16, v44 :: v_dual_lshrrev_b32 v56, 16, v45
	v_dual_lshrrev_b32 v57, 16, v46 :: v_dual_lshrrev_b32 v64, 16, v47
	v_and_b32_e32 v44, 0xffff, v44
	s_delay_alu instid0(VALU_DEP_3)
	v_mul_u32_u24_e32 v55, 0x10001, v55
	v_and_b32_e32 v45, 0xffff, v45
	v_and_b32_e32 v46, 0xffff, v46
	;; [unrolled: 1-line block ×3, first 2 shown]
	v_mul_u32_u24_e32 v44, 0x10001, v44
	v_mul_u32_u24_e32 v56, 0x10001, v56
	;; [unrolled: 1-line block ×7, first 2 shown]
	v_pk_fma_f16 v65, v10, v55, v26
	v_add_nc_u32_e32 v26, 0x5000, v83
	v_pk_fma_f16 v24, v10, v44, v24
	v_pk_fma_f16 v31, v10, v45, v31
	;; [unrolled: 1-line block ×15, first 2 shown]
	ds_load_2addr_b64 v[8:11], v26 offset1:32
	ds_load_b128 v[44:47], v41 offset:25856
	s_wait_dscnt 0x0
	v_dual_lshrrev_b32 v56, 16, v44 :: v_dual_lshrrev_b32 v57, 16, v45
	v_dual_lshrrev_b32 v64, 16, v46 :: v_dual_lshrrev_b32 v88, 16, v47
	v_and_b32_e32 v44, 0xffff, v44
	v_and_b32_e32 v45, 0xffff, v45
	;; [unrolled: 1-line block ×4, first 2 shown]
	v_mul_u32_u24_e32 v56, 0x10001, v56
	v_mul_u32_u24_e32 v44, 0x10001, v44
	v_mul_u32_u24_e32 v45, 0x10001, v45
	v_mul_u32_u24_e32 v46, 0x10001, v46
	v_mul_u32_u24_e32 v47, 0x10001, v47
	v_mul_u32_u24_e32 v57, 0x10001, v57
	v_pk_fma_f16 v24, v8, v44, v24
	v_pk_fma_f16 v31, v8, v45, v31
	;; [unrolled: 1-line block ×8, first 2 shown]
	ds_load_b128 v[44:47], v41 offset:25872
	v_mul_u32_u24_e32 v64, 0x10001, v64
	v_mul_u32_u24_e32 v88, 0x10001, v88
	v_pk_fma_f16 v65, v8, v56, v65
	v_pk_fma_f16 v42, v8, v57, v42
	;; [unrolled: 1-line block ×8, first 2 shown]
	s_wait_dscnt 0x0
	v_dual_lshrrev_b32 v55, 16, v44 :: v_dual_lshrrev_b32 v56, 16, v45
	v_dual_lshrrev_b32 v57, 16, v46 :: v_dual_lshrrev_b32 v64, 16, v47
	v_and_b32_e32 v44, 0xffff, v44
	v_and_b32_e32 v45, 0xffff, v45
	;; [unrolled: 1-line block ×4, first 2 shown]
	v_mul_u32_u24_e32 v55, 0x10001, v55
	v_mul_u32_u24_e32 v44, 0x10001, v44
	;; [unrolled: 1-line block ×8, first 2 shown]
	v_pk_fma_f16 v24, v10, v44, v24
	v_pk_fma_f16 v65, v10, v55, v65
	v_pk_fma_f16 v31, v10, v45, v31
	v_pk_fma_f16 v42, v10, v56, v42
	v_pk_fma_f16 v84, v10, v46, v84
	v_pk_fma_f16 v85, v10, v57, v85
	v_pk_fma_f16 v86, v10, v47, v86
	v_pk_fma_f16 v87, v10, v64, v8
	v_pk_fma_f16 v54, v11, v44, v54
	v_pk_fma_f16 v48, v11, v55, v48
	v_pk_fma_f16 v49, v11, v45, v49
	v_pk_fma_f16 v50, v11, v56, v50
	v_pk_fma_f16 v51, v11, v46, v51
	v_pk_fma_f16 v52, v11, v57, v52
	v_pk_fma_f16 v53, v11, v47, v53
	v_pk_fma_f16 v55, v11, v64, v9
	ds_load_2addr_b64 v[8:11], v26 offset0:64 offset1:96
	ds_load_b128 v[44:47], v41 offset:25888
	s_wait_dscnt 0x0
	v_dual_lshrrev_b32 v56, 16, v44 :: v_dual_lshrrev_b32 v57, 16, v45
	v_dual_lshrrev_b32 v64, 16, v46 :: v_dual_lshrrev_b32 v88, 16, v47
	v_and_b32_e32 v44, 0xffff, v44
	v_and_b32_e32 v45, 0xffff, v45
	;; [unrolled: 1-line block ×4, first 2 shown]
	v_mul_u32_u24_e32 v56, 0x10001, v56
	v_mul_u32_u24_e32 v44, 0x10001, v44
	;; [unrolled: 1-line block ×6, first 2 shown]
	v_pk_fma_f16 v24, v8, v44, v24
	v_pk_fma_f16 v31, v8, v45, v31
	;; [unrolled: 1-line block ×8, first 2 shown]
	ds_load_b128 v[44:47], v41 offset:25904
	v_mul_u32_u24_e32 v64, 0x10001, v64
	v_mul_u32_u24_e32 v88, 0x10001, v88
	v_pk_fma_f16 v65, v8, v56, v65
	v_pk_fma_f16 v42, v8, v57, v42
	;; [unrolled: 1-line block ×8, first 2 shown]
	s_wait_dscnt 0x0
	v_dual_lshrrev_b32 v55, 16, v44 :: v_dual_lshrrev_b32 v56, 16, v45
	v_dual_lshrrev_b32 v57, 16, v46 :: v_dual_lshrrev_b32 v64, 16, v47
	v_and_b32_e32 v44, 0xffff, v44
	v_and_b32_e32 v45, 0xffff, v45
	;; [unrolled: 1-line block ×4, first 2 shown]
	v_mul_u32_u24_e32 v55, 0x10001, v55
	v_mul_u32_u24_e32 v44, 0x10001, v44
	;; [unrolled: 1-line block ×8, first 2 shown]
	v_pk_fma_f16 v24, v10, v44, v24
	v_pk_fma_f16 v65, v10, v55, v65
	;; [unrolled: 1-line block ×16, first 2 shown]
	ds_load_2addr_b64 v[8:11], v26 offset0:128 offset1:160
	ds_load_b128 v[44:47], v41 offset:25920
	s_wait_dscnt 0x0
	v_dual_lshrrev_b32 v56, 16, v44 :: v_dual_lshrrev_b32 v57, 16, v45
	v_dual_lshrrev_b32 v64, 16, v46 :: v_dual_lshrrev_b32 v88, 16, v47
	v_and_b32_e32 v44, 0xffff, v44
	v_and_b32_e32 v45, 0xffff, v45
	v_and_b32_e32 v46, 0xffff, v46
	v_and_b32_e32 v47, 0xffff, v47
	v_mul_u32_u24_e32 v56, 0x10001, v56
	v_mul_u32_u24_e32 v44, 0x10001, v44
	;; [unrolled: 1-line block ×6, first 2 shown]
	v_pk_fma_f16 v24, v8, v44, v24
	v_pk_fma_f16 v31, v8, v45, v31
	;; [unrolled: 1-line block ×8, first 2 shown]
	ds_load_b128 v[44:47], v41 offset:25936
	v_mul_u32_u24_e32 v64, 0x10001, v64
	v_mul_u32_u24_e32 v88, 0x10001, v88
	v_pk_fma_f16 v65, v8, v56, v65
	v_pk_fma_f16 v42, v8, v57, v42
	;; [unrolled: 1-line block ×8, first 2 shown]
	s_wait_dscnt 0x0
	v_dual_lshrrev_b32 v55, 16, v44 :: v_dual_lshrrev_b32 v56, 16, v45
	v_dual_lshrrev_b32 v57, 16, v46 :: v_dual_lshrrev_b32 v64, 16, v47
	v_and_b32_e32 v44, 0xffff, v44
	v_and_b32_e32 v45, 0xffff, v45
	;; [unrolled: 1-line block ×4, first 2 shown]
	v_mul_u32_u24_e32 v55, 0x10001, v55
	v_mul_u32_u24_e32 v44, 0x10001, v44
	;; [unrolled: 1-line block ×8, first 2 shown]
	v_pk_fma_f16 v24, v10, v44, v24
	v_pk_fma_f16 v65, v10, v55, v65
	;; [unrolled: 1-line block ×16, first 2 shown]
	ds_load_2addr_b64 v[8:11], v26 offset0:192 offset1:224
	ds_load_b128 v[44:47], v41 offset:25952
	s_wait_dscnt 0x0
	v_dual_lshrrev_b32 v56, 16, v44 :: v_dual_lshrrev_b32 v57, 16, v45
	v_dual_lshrrev_b32 v64, 16, v46 :: v_dual_lshrrev_b32 v88, 16, v47
	v_and_b32_e32 v44, 0xffff, v44
	v_and_b32_e32 v45, 0xffff, v45
	;; [unrolled: 1-line block ×4, first 2 shown]
	v_mul_u32_u24_e32 v56, 0x10001, v56
	v_mul_u32_u24_e32 v44, 0x10001, v44
	;; [unrolled: 1-line block ×6, first 2 shown]
	v_pk_fma_f16 v24, v8, v44, v24
	v_pk_fma_f16 v31, v8, v45, v31
	v_pk_fma_f16 v84, v8, v46, v84
	v_pk_fma_f16 v86, v8, v47, v86
	v_pk_fma_f16 v54, v9, v44, v54
	v_pk_fma_f16 v49, v9, v45, v49
	v_pk_fma_f16 v51, v9, v46, v51
	v_pk_fma_f16 v53, v9, v47, v53
	ds_load_b128 v[44:47], v41 offset:25968
	v_mul_u32_u24_e32 v64, 0x10001, v64
	v_mul_u32_u24_e32 v88, 0x10001, v88
	v_pk_fma_f16 v48, v9, v56, v48
	v_pk_fma_f16 v50, v9, v57, v50
	;; [unrolled: 1-line block ×8, first 2 shown]
	s_wait_dscnt 0x0
	v_dual_lshrrev_b32 v55, 16, v44 :: v_dual_lshrrev_b32 v56, 16, v45
	v_and_b32_e32 v44, 0xffff, v44
	v_dual_lshrrev_b32 v57, 16, v46 :: v_dual_lshrrev_b32 v64, 16, v47
	v_and_b32_e32 v45, 0xffff, v45
	v_and_b32_e32 v46, 0xffff, v46
	s_delay_alu instid0(VALU_DEP_4)
	v_mul_u32_u24_e32 v44, 0x10001, v44
	v_and_b32_e32 v47, 0xffff, v47
	v_mul_u32_u24_e32 v55, 0x10001, v55
	v_mul_u32_u24_e32 v45, 0x10001, v45
	;; [unrolled: 1-line block ×7, first 2 shown]
	v_pk_fma_f16 v87, v10, v44, v24
	v_add_nc_u32_e32 v24, 0x5800, v83
	v_pk_fma_f16 v65, v10, v55, v65
	v_pk_fma_f16 v31, v10, v45, v31
	;; [unrolled: 1-line block ×15, first 2 shown]
	ds_load_2addr_b64 v[8:11], v24 offset1:32
	ds_load_b128 v[44:47], v41 offset:25984
	s_wait_dscnt 0x0
	v_dual_lshrrev_b32 v56, 16, v44 :: v_dual_lshrrev_b32 v57, 16, v45
	v_dual_lshrrev_b32 v64, 16, v46 :: v_dual_lshrrev_b32 v83, 16, v47
	v_and_b32_e32 v44, 0xffff, v44
	v_and_b32_e32 v45, 0xffff, v45
	;; [unrolled: 1-line block ×4, first 2 shown]
	v_mul_u32_u24_e32 v56, 0x10001, v56
	v_mul_u32_u24_e32 v44, 0x10001, v44
	v_mul_u32_u24_e32 v45, 0x10001, v45
	v_mul_u32_u24_e32 v46, 0x10001, v46
	v_mul_u32_u24_e32 v47, 0x10001, v47
	v_mul_u32_u24_e32 v57, 0x10001, v57
	v_pk_fma_f16 v87, v8, v44, v87
	v_pk_fma_f16 v31, v8, v45, v31
	;; [unrolled: 1-line block ×8, first 2 shown]
	ds_load_b128 v[44:47], v41 offset:26000
	v_mul_u32_u24_e32 v64, 0x10001, v64
	v_mul_u32_u24_e32 v83, 0x10001, v83
	v_pk_fma_f16 v65, v8, v56, v65
	v_pk_fma_f16 v42, v8, v57, v42
	;; [unrolled: 1-line block ×8, first 2 shown]
	s_wait_dscnt 0x0
	v_dual_lshrrev_b32 v55, 16, v44 :: v_dual_lshrrev_b32 v56, 16, v45
	v_dual_lshrrev_b32 v57, 16, v46 :: v_dual_lshrrev_b32 v64, 16, v47
	v_and_b32_e32 v44, 0xffff, v44
	v_and_b32_e32 v45, 0xffff, v45
	v_and_b32_e32 v46, 0xffff, v46
	v_and_b32_e32 v47, 0xffff, v47
	v_mul_u32_u24_e32 v55, 0x10001, v55
	v_mul_u32_u24_e32 v44, 0x10001, v44
	;; [unrolled: 1-line block ×8, first 2 shown]
	v_pk_fma_f16 v83, v10, v44, v87
	v_pk_fma_f16 v65, v10, v55, v65
	;; [unrolled: 1-line block ×16, first 2 shown]
	ds_load_2addr_b64 v[8:11], v24 offset0:64 offset1:96
	ds_load_b128 v[44:47], v41 offset:26016
	s_wait_dscnt 0x0
	v_dual_lshrrev_b32 v56, 16, v44 :: v_dual_lshrrev_b32 v57, 16, v45
	v_dual_lshrrev_b32 v64, 16, v46 :: v_dual_lshrrev_b32 v88, 16, v47
	v_and_b32_e32 v44, 0xffff, v44
	v_and_b32_e32 v45, 0xffff, v45
	;; [unrolled: 1-line block ×4, first 2 shown]
	v_mul_u32_u24_e32 v56, 0x10001, v56
	v_mul_u32_u24_e32 v44, 0x10001, v44
	;; [unrolled: 1-line block ×6, first 2 shown]
	v_pk_fma_f16 v83, v8, v44, v83
	v_pk_fma_f16 v31, v8, v45, v31
	;; [unrolled: 1-line block ×8, first 2 shown]
	ds_load_b128 v[44:47], v41 offset:26032
	v_mul_u32_u24_e32 v64, 0x10001, v64
	v_mul_u32_u24_e32 v88, 0x10001, v88
	v_pk_fma_f16 v65, v8, v56, v65
	v_pk_fma_f16 v42, v8, v57, v42
	;; [unrolled: 1-line block ×8, first 2 shown]
	s_wait_dscnt 0x0
	v_dual_lshrrev_b32 v55, 16, v44 :: v_dual_lshrrev_b32 v56, 16, v45
	v_dual_lshrrev_b32 v57, 16, v46 :: v_dual_lshrrev_b32 v64, 16, v47
	v_and_b32_e32 v44, 0xffff, v44
	v_and_b32_e32 v45, 0xffff, v45
	;; [unrolled: 1-line block ×4, first 2 shown]
	v_mul_u32_u24_e32 v55, 0x10001, v55
	v_mul_u32_u24_e32 v44, 0x10001, v44
	;; [unrolled: 1-line block ×8, first 2 shown]
	v_pk_fma_f16 v83, v10, v44, v83
	v_pk_fma_f16 v65, v10, v55, v65
	;; [unrolled: 1-line block ×16, first 2 shown]
	ds_load_2addr_b64 v[8:11], v24 offset0:128 offset1:160
	ds_load_b128 v[44:47], v41 offset:26048
	s_wait_dscnt 0x0
	v_dual_lshrrev_b32 v56, 16, v44 :: v_dual_lshrrev_b32 v57, 16, v45
	v_dual_lshrrev_b32 v64, 16, v46 :: v_dual_lshrrev_b32 v88, 16, v47
	v_and_b32_e32 v44, 0xffff, v44
	v_and_b32_e32 v45, 0xffff, v45
	;; [unrolled: 1-line block ×4, first 2 shown]
	v_mul_u32_u24_e32 v56, 0x10001, v56
	v_mul_u32_u24_e32 v44, 0x10001, v44
	;; [unrolled: 1-line block ×6, first 2 shown]
	v_pk_fma_f16 v83, v8, v44, v83
	v_pk_fma_f16 v31, v8, v45, v31
	;; [unrolled: 1-line block ×8, first 2 shown]
	ds_load_b128 v[44:47], v41 offset:26064
	v_mul_u32_u24_e32 v64, 0x10001, v64
	v_mul_u32_u24_e32 v88, 0x10001, v88
	v_pk_fma_f16 v65, v8, v56, v65
	v_pk_fma_f16 v42, v8, v57, v42
	;; [unrolled: 1-line block ×8, first 2 shown]
	s_wait_dscnt 0x0
	v_dual_lshrrev_b32 v55, 16, v44 :: v_dual_lshrrev_b32 v56, 16, v45
	v_dual_lshrrev_b32 v57, 16, v46 :: v_dual_lshrrev_b32 v64, 16, v47
	v_and_b32_e32 v44, 0xffff, v44
	v_and_b32_e32 v45, 0xffff, v45
	;; [unrolled: 1-line block ×4, first 2 shown]
	v_mul_u32_u24_e32 v55, 0x10001, v55
	v_mul_u32_u24_e32 v44, 0x10001, v44
	;; [unrolled: 1-line block ×8, first 2 shown]
	v_pk_fma_f16 v83, v10, v44, v83
	v_pk_fma_f16 v65, v10, v55, v65
	;; [unrolled: 1-line block ×16, first 2 shown]
	ds_load_2addr_b64 v[8:11], v24 offset0:192 offset1:224
	ds_load_b128 v[44:47], v41 offset:26080
	s_wait_dscnt 0x0
	v_dual_lshrrev_b32 v56, 16, v44 :: v_dual_lshrrev_b32 v57, 16, v45
	v_dual_lshrrev_b32 v64, 16, v46 :: v_dual_lshrrev_b32 v88, 16, v47
	v_and_b32_e32 v44, 0xffff, v44
	v_and_b32_e32 v45, 0xffff, v45
	;; [unrolled: 1-line block ×4, first 2 shown]
	v_mul_u32_u24_e32 v56, 0x10001, v56
	v_mul_u32_u24_e32 v44, 0x10001, v44
	;; [unrolled: 1-line block ×8, first 2 shown]
	v_pk_fma_f16 v83, v8, v44, v83
	v_pk_fma_f16 v65, v8, v56, v65
	v_pk_fma_f16 v89, v8, v45, v31
	v_pk_fma_f16 v90, v8, v57, v42
	v_pk_fma_f16 v84, v8, v46, v84
	v_pk_fma_f16 v85, v8, v64, v85
	v_pk_fma_f16 v86, v8, v47, v86
	v_pk_fma_f16 v8, v8, v88, v87
	v_pk_fma_f16 v54, v9, v44, v54
	v_pk_fma_f16 v87, v9, v45, v49
	v_pk_fma_f16 v91, v9, v46, v51
	v_pk_fma_f16 v92, v9, v47, v53
	ds_load_b128 v[44:47], v41 offset:26096
	v_pk_fma_f16 v56, v9, v56, v48
	v_pk_fma_f16 v57, v9, v57, v50
	;; [unrolled: 1-line block ×4, first 2 shown]
	s_wait_dscnt 0x0
	s_barrier_signal -1
	s_barrier_wait -1
	s_clause 0x1
	scratch_store_b32 off, v19, off
	scratch_store_b96 off, v[12:14], off offset:4
	v_dual_lshrrev_b32 v31, 16, v44 :: v_dual_lshrrev_b32 v42, 16, v45
	v_dual_lshrrev_b32 v48, 16, v46 :: v_dual_lshrrev_b32 v49, 16, v47
	v_and_b32_e32 v44, 0xffff, v44
	s_delay_alu instid0(VALU_DEP_3) | instskip(NEXT) | instid1(VALU_DEP_4)
	v_mul_u32_u24_e32 v51, 0x10001, v31
	v_mul_u32_u24_e32 v53, 0x10001, v42
	v_and_b32_e32 v31, 0xffff, v45
	v_mul_u32_u24_e32 v94, 0x10001, v49
	v_mul_u32_u24_e32 v50, 0x10001, v44
	;; [unrolled: 1-line block ×3, first 2 shown]
	v_pk_fma_f16 v45, v10, v53, v90
	v_pk_fma_f16 v53, v11, v53, v57
	;; [unrolled: 1-line block ×4, first 2 shown]
	v_add_nc_u64_e32 v[8:9], s[2:3], v[22:23]
	v_mul_u32_u24_e32 v52, 0x10001, v31
	v_and_b32_e32 v31, 0xffff, v46
	v_pk_fma_f16 v42, v10, v51, v65
	v_pk_fma_f16 v51, v11, v51, v56
	s_delay_alu instid0(VALU_DEP_4)
	v_pk_fma_f16 v44, v10, v52, v89
	v_add_nc_u64_e32 v[8:9], v[8:9], v[18:19]
	v_mul_u32_u24_e32 v55, 0x10001, v31
	v_and_b32_e32 v31, 0xffff, v47
	v_pk_fma_f16 v47, v10, v88, v85
	v_pk_fma_f16 v52, v11, v52, v87
	s_delay_alu instid0(VALU_DEP_4) | instskip(NEXT) | instid1(VALU_DEP_4)
	v_pk_fma_f16 v46, v10, v55, v84
	v_mul_u32_u24_e32 v93, 0x10001, v31
	v_dual_cndmask_b32 v9, v17, v9 :: v_dual_cndmask_b32 v8, v16, v8
	v_pk_fma_f16 v31, v10, v50, v83
	v_pk_fma_f16 v50, v11, v50, v54
	s_delay_alu instid0(VALU_DEP_4)
	v_pk_fma_f16 v48, v10, v93, v86
	v_pk_fma_f16 v54, v11, v55, v91
	;; [unrolled: 1-line block ×4, first 2 shown]
	flat_load_b128 v[8:11], v[8:9]
	v_cmp_gt_i32_e32 vcc_lo, s4, v29
	s_wait_loadcnt_dscnt 0x0
	ds_store_b128 v28, v[8:11] offset:16384
	s_wait_xcnt 0x0
	v_add_nc_u64_e32 v[8:9], s[2:3], v[20:21]
	s_clause 0x1
	scratch_store_b32 off, v19, off
	scratch_store_b96 off, v[12:14], off offset:4
	v_add_nc_u64_e32 v[8:9], v[8:9], v[18:19]
	s_delay_alu instid0(VALU_DEP_1)
	v_dual_cndmask_b32 v9, v17, v9 :: v_dual_cndmask_b32 v8, v16, v8
	flat_load_b128 v[8:11], v[8:9]
	s_wait_loadcnt_dscnt 0x0
	ds_store_b128 v27, v[8:11] offset:16384
	s_wait_storecnt_dscnt 0x0
	s_barrier_signal -1
	s_barrier_wait -1
	s_wait_xcnt 0x0
	ds_load_2addr_b64 v[8:11], v25 offset1:32
	ds_load_b128 v[16:19], v41 offset:26112
	ds_load_b128 v[20:23], v41 offset:26128
	ds_load_b128 v[84:87], v41 offset:26144
	ds_load_b128 v[88:91], v41 offset:26160
	s_wait_dscnt 0x3
	v_dual_lshrrev_b32 v12, 16, v16 :: v_dual_lshrrev_b32 v14, 16, v18
	v_and_b32_e32 v18, 0xffff, v18
	v_dual_lshrrev_b32 v13, 16, v17 :: v_dual_lshrrev_b32 v27, 16, v19
	v_and_b32_e32 v16, 0xffff, v16
	s_delay_alu instid0(VALU_DEP_4)
	v_mul_u32_u24_e32 v12, 0x10001, v12
	v_and_b32_e32 v17, 0xffff, v17
	v_mul_u32_u24_e32 v18, 0x10001, v18
	v_and_b32_e32 v19, 0xffff, v19
	v_mul_u32_u24_e32 v16, 0x10001, v16
	v_mul_u32_u24_e32 v13, 0x10001, v13
	;; [unrolled: 1-line block ×5, first 2 shown]
	v_pk_fma_f16 v29, v8, v12, v42
	v_pk_fma_f16 v42, v8, v18, v46
	s_wait_dscnt 0x2
	v_lshrrev_b32_e32 v46, 16, v21
	v_mul_u32_u24_e32 v27, 0x10001, v27
	v_and_b32_e32 v21, 0xffff, v21
	v_pk_fma_f16 v28, v8, v16, v31
	v_pk_fma_f16 v30, v8, v17, v44
	;; [unrolled: 1-line block ×14, first 2 shown]
	v_dual_lshrrev_b32 v27, 16, v20 :: v_dual_lshrrev_b32 v47, 16, v22
	v_lshrrev_b32_e32 v48, 16, v23
	v_and_b32_e32 v20, 0xffff, v20
	v_mul_u32_u24_e32 v21, 0x10001, v21
	v_and_b32_e32 v22, 0xffff, v22
	v_and_b32_e32 v23, 0xffff, v23
	v_mul_u32_u24_e32 v27, 0x10001, v27
	v_mul_u32_u24_e32 v20, 0x10001, v20
	;; [unrolled: 1-line block ×6, first 2 shown]
	v_pk_fma_f16 v30, v10, v21, v30
	v_pk_fma_f16 v17, v11, v21, v17
	s_wait_dscnt 0x1
	v_lshrrev_b32_e32 v21, 16, v84
	v_mul_u32_u24_e32 v48, 0x10001, v48
	v_pk_fma_f16 v28, v10, v20, v28
	v_pk_fma_f16 v29, v10, v27, v29
	;; [unrolled: 1-line block ×14, first 2 shown]
	ds_load_2addr_b64 v[8:11], v25 offset0:64 offset1:96
	v_dual_lshrrev_b32 v22, 16, v85 :: v_dual_lshrrev_b32 v23, 16, v86
	v_lshrrev_b32_e32 v27, 16, v87
	v_and_b32_e32 v46, 0xffff, v84
	v_and_b32_e32 v47, 0xffff, v85
	v_and_b32_e32 v48, 0xffff, v86
	v_and_b32_e32 v50, 0xffff, v87
	v_mul_u32_u24_e32 v21, 0x10001, v21
	v_mul_u32_u24_e32 v46, 0x10001, v46
	;; [unrolled: 1-line block ×8, first 2 shown]
	s_wait_dscnt 0x0
	v_pk_fma_f16 v28, v8, v46, v28
	v_pk_fma_f16 v29, v8, v21, v29
	;; [unrolled: 1-line block ×16, first 2 shown]
	v_dual_lshrrev_b32 v20, 16, v88 :: v_dual_lshrrev_b32 v21, 16, v89
	v_dual_lshrrev_b32 v22, 16, v90 :: v_dual_lshrrev_b32 v23, 16, v91
	v_and_b32_e32 v27, 0xffff, v88
	v_and_b32_e32 v46, 0xffff, v89
	;; [unrolled: 1-line block ×4, first 2 shown]
	v_mul_u32_u24_e32 v20, 0x10001, v20
	v_mul_u32_u24_e32 v27, 0x10001, v27
	;; [unrolled: 1-line block ×8, first 2 shown]
	v_pk_fma_f16 v28, v10, v27, v28
	v_pk_fma_f16 v29, v10, v20, v29
	;; [unrolled: 1-line block ×16, first 2 shown]
	ds_load_2addr_b64 v[8:11], v25 offset0:128 offset1:160
	ds_load_b128 v[16:19], v41 offset:26176
	s_wait_dscnt 0x0
	v_dual_lshrrev_b32 v46, 16, v16 :: v_dual_lshrrev_b32 v47, 16, v17
	v_dual_lshrrev_b32 v48, 16, v18 :: v_dual_lshrrev_b32 v50, 16, v19
	v_and_b32_e32 v16, 0xffff, v16
	v_and_b32_e32 v17, 0xffff, v17
	;; [unrolled: 1-line block ×4, first 2 shown]
	v_mul_u32_u24_e32 v46, 0x10001, v46
	v_mul_u32_u24_e32 v16, 0x10001, v16
	;; [unrolled: 1-line block ×6, first 2 shown]
	v_pk_fma_f16 v28, v8, v16, v28
	v_pk_fma_f16 v30, v8, v17, v30
	;; [unrolled: 1-line block ×8, first 2 shown]
	ds_load_b128 v[16:19], v41 offset:26192
	v_mul_u32_u24_e32 v48, 0x10001, v48
	v_mul_u32_u24_e32 v50, 0x10001, v50
	v_pk_fma_f16 v29, v8, v46, v29
	v_pk_fma_f16 v31, v8, v47, v31
	;; [unrolled: 1-line block ×8, first 2 shown]
	s_wait_dscnt 0x0
	v_dual_lshrrev_b32 v23, 16, v16 :: v_dual_lshrrev_b32 v46, 16, v17
	v_dual_lshrrev_b32 v47, 16, v18 :: v_dual_lshrrev_b32 v48, 16, v19
	v_and_b32_e32 v16, 0xffff, v16
	v_and_b32_e32 v17, 0xffff, v17
	;; [unrolled: 1-line block ×4, first 2 shown]
	v_mul_u32_u24_e32 v23, 0x10001, v23
	v_mul_u32_u24_e32 v16, 0x10001, v16
	v_mul_u32_u24_e32 v17, 0x10001, v17
	v_mul_u32_u24_e32 v46, 0x10001, v46
	v_mul_u32_u24_e32 v18, 0x10001, v18
	v_mul_u32_u24_e32 v47, 0x10001, v47
	v_mul_u32_u24_e32 v19, 0x10001, v19
	v_mul_u32_u24_e32 v48, 0x10001, v48
	v_pk_fma_f16 v28, v10, v16, v28
	v_pk_fma_f16 v29, v10, v23, v29
	;; [unrolled: 1-line block ×16, first 2 shown]
	ds_load_2addr_b64 v[8:11], v25 offset0:192 offset1:224
	ds_load_b128 v[16:19], v41 offset:26208
	s_wait_dscnt 0x0
	v_dual_lshrrev_b32 v25, 16, v16 :: v_dual_lshrrev_b32 v46, 16, v17
	v_dual_lshrrev_b32 v47, 16, v18 :: v_dual_lshrrev_b32 v48, 16, v19
	v_and_b32_e32 v16, 0xffff, v16
	v_and_b32_e32 v17, 0xffff, v17
	;; [unrolled: 1-line block ×4, first 2 shown]
	v_mul_u32_u24_e32 v25, 0x10001, v25
	v_mul_u32_u24_e32 v16, 0x10001, v16
	;; [unrolled: 1-line block ×6, first 2 shown]
	v_pk_fma_f16 v28, v8, v16, v28
	v_pk_fma_f16 v30, v8, v17, v30
	v_pk_fma_f16 v42, v8, v18, v42
	v_pk_fma_f16 v45, v8, v19, v45
	v_pk_fma_f16 v27, v9, v16, v27
	v_pk_fma_f16 v20, v9, v17, v20
	v_pk_fma_f16 v21, v9, v18, v21
	v_pk_fma_f16 v22, v9, v19, v22
	ds_load_b128 v[16:19], v41 offset:26224
	v_mul_u32_u24_e32 v47, 0x10001, v47
	v_mul_u32_u24_e32 v48, 0x10001, v48
	v_pk_fma_f16 v29, v8, v25, v29
	v_pk_fma_f16 v31, v8, v46, v31
	;; [unrolled: 1-line block ×8, first 2 shown]
	s_wait_dscnt 0x0
	v_dual_lshrrev_b32 v23, 16, v16 :: v_dual_lshrrev_b32 v25, 16, v17
	v_dual_lshrrev_b32 v46, 16, v18 :: v_dual_lshrrev_b32 v47, 16, v19
	v_and_b32_e32 v16, 0xffff, v16
	v_and_b32_e32 v17, 0xffff, v17
	v_and_b32_e32 v18, 0xffff, v18
	v_and_b32_e32 v19, 0xffff, v19
	v_mul_u32_u24_e32 v23, 0x10001, v23
	v_mul_u32_u24_e32 v16, 0x10001, v16
	;; [unrolled: 1-line block ×8, first 2 shown]
	v_pk_fma_f16 v28, v10, v16, v28
	v_pk_fma_f16 v29, v10, v23, v29
	;; [unrolled: 1-line block ×16, first 2 shown]
	ds_load_2addr_b64 v[8:11], v15 offset1:32
	ds_load_b128 v[16:19], v41 offset:26240
	s_wait_dscnt 0x0
	v_dual_lshrrev_b32 v25, 16, v16 :: v_dual_lshrrev_b32 v46, 16, v17
	v_dual_lshrrev_b32 v47, 16, v18 :: v_dual_lshrrev_b32 v49, 16, v19
	v_and_b32_e32 v16, 0xffff, v16
	v_and_b32_e32 v17, 0xffff, v17
	;; [unrolled: 1-line block ×4, first 2 shown]
	v_mul_u32_u24_e32 v25, 0x10001, v25
	v_mul_u32_u24_e32 v16, 0x10001, v16
	;; [unrolled: 1-line block ×6, first 2 shown]
	v_pk_fma_f16 v28, v8, v16, v28
	v_pk_fma_f16 v30, v8, v17, v30
	;; [unrolled: 1-line block ×8, first 2 shown]
	ds_load_b128 v[16:19], v41 offset:26256
	v_mul_u32_u24_e32 v47, 0x10001, v47
	v_mul_u32_u24_e32 v49, 0x10001, v49
	v_pk_fma_f16 v29, v8, v25, v29
	v_pk_fma_f16 v31, v8, v46, v31
	v_pk_fma_f16 v12, v9, v25, v12
	v_pk_fma_f16 v44, v8, v47, v44
	v_pk_fma_f16 v13, v9, v46, v13
	v_pk_fma_f16 v14, v9, v47, v14
	v_pk_fma_f16 v9, v9, v49, v23
	v_pk_fma_f16 v8, v8, v49, v48
	s_wait_dscnt 0x0
	v_dual_lshrrev_b32 v23, 16, v16 :: v_dual_lshrrev_b32 v25, 16, v17
	v_dual_lshrrev_b32 v46, 16, v18 :: v_dual_lshrrev_b32 v47, 16, v19
	v_and_b32_e32 v16, 0xffff, v16
	v_and_b32_e32 v17, 0xffff, v17
	;; [unrolled: 1-line block ×4, first 2 shown]
	v_mul_u32_u24_e32 v23, 0x10001, v23
	v_mul_u32_u24_e32 v16, 0x10001, v16
	;; [unrolled: 1-line block ×8, first 2 shown]
	v_pk_fma_f16 v28, v10, v16, v28
	v_pk_fma_f16 v29, v10, v23, v29
	;; [unrolled: 1-line block ×16, first 2 shown]
	ds_load_2addr_b64 v[8:11], v15 offset0:64 offset1:96
	ds_load_b128 v[16:19], v41 offset:26272
	s_wait_dscnt 0x0
	v_dual_lshrrev_b32 v25, 16, v16 :: v_dual_lshrrev_b32 v46, 16, v17
	v_dual_lshrrev_b32 v47, 16, v18 :: v_dual_lshrrev_b32 v49, 16, v19
	v_and_b32_e32 v16, 0xffff, v16
	v_and_b32_e32 v17, 0xffff, v17
	;; [unrolled: 1-line block ×4, first 2 shown]
	v_mul_u32_u24_e32 v25, 0x10001, v25
	v_mul_u32_u24_e32 v16, 0x10001, v16
	;; [unrolled: 1-line block ×6, first 2 shown]
	v_pk_fma_f16 v28, v8, v16, v28
	v_pk_fma_f16 v30, v8, v17, v30
	;; [unrolled: 1-line block ×8, first 2 shown]
	ds_load_b128 v[16:19], v41 offset:26288
	v_mul_u32_u24_e32 v47, 0x10001, v47
	v_mul_u32_u24_e32 v49, 0x10001, v49
	v_pk_fma_f16 v29, v8, v25, v29
	v_pk_fma_f16 v31, v8, v46, v31
	v_pk_fma_f16 v12, v9, v25, v12
	v_pk_fma_f16 v44, v8, v47, v44
	v_pk_fma_f16 v13, v9, v46, v13
	v_pk_fma_f16 v14, v9, v47, v14
	v_pk_fma_f16 v9, v9, v49, v23
	v_pk_fma_f16 v8, v8, v49, v48
	s_wait_dscnt 0x0
	v_dual_lshrrev_b32 v23, 16, v16 :: v_dual_lshrrev_b32 v25, 16, v17
	v_dual_lshrrev_b32 v46, 16, v18 :: v_dual_lshrrev_b32 v47, 16, v19
	v_and_b32_e32 v16, 0xffff, v16
	v_and_b32_e32 v17, 0xffff, v17
	;; [unrolled: 1-line block ×4, first 2 shown]
	v_mul_u32_u24_e32 v23, 0x10001, v23
	v_mul_u32_u24_e32 v16, 0x10001, v16
	;; [unrolled: 1-line block ×8, first 2 shown]
	v_pk_fma_f16 v28, v10, v16, v28
	v_pk_fma_f16 v29, v10, v23, v29
	;; [unrolled: 1-line block ×16, first 2 shown]
	ds_load_2addr_b64 v[8:11], v15 offset0:128 offset1:160
	ds_load_b128 v[16:19], v41 offset:26304
	s_wait_dscnt 0x0
	v_dual_lshrrev_b32 v25, 16, v16 :: v_dual_lshrrev_b32 v46, 16, v17
	v_dual_lshrrev_b32 v47, 16, v18 :: v_dual_lshrrev_b32 v49, 16, v19
	v_and_b32_e32 v16, 0xffff, v16
	v_and_b32_e32 v17, 0xffff, v17
	;; [unrolled: 1-line block ×4, first 2 shown]
	v_mul_u32_u24_e32 v25, 0x10001, v25
	v_mul_u32_u24_e32 v16, 0x10001, v16
	;; [unrolled: 1-line block ×6, first 2 shown]
	v_pk_fma_f16 v28, v8, v16, v28
	v_pk_fma_f16 v30, v8, v17, v30
	;; [unrolled: 1-line block ×8, first 2 shown]
	ds_load_b128 v[16:19], v41 offset:26320
	v_mul_u32_u24_e32 v47, 0x10001, v47
	v_mul_u32_u24_e32 v49, 0x10001, v49
	v_pk_fma_f16 v29, v8, v25, v29
	v_pk_fma_f16 v31, v8, v46, v31
	;; [unrolled: 1-line block ×8, first 2 shown]
	s_wait_dscnt 0x0
	v_dual_lshrrev_b32 v23, 16, v16 :: v_dual_lshrrev_b32 v25, 16, v17
	v_dual_lshrrev_b32 v46, 16, v18 :: v_dual_lshrrev_b32 v47, 16, v19
	v_and_b32_e32 v16, 0xffff, v16
	v_and_b32_e32 v17, 0xffff, v17
	v_and_b32_e32 v18, 0xffff, v18
	v_and_b32_e32 v19, 0xffff, v19
	v_mul_u32_u24_e32 v23, 0x10001, v23
	v_mul_u32_u24_e32 v16, 0x10001, v16
	;; [unrolled: 1-line block ×8, first 2 shown]
	v_pk_fma_f16 v28, v10, v16, v28
	v_pk_fma_f16 v29, v10, v23, v29
	;; [unrolled: 1-line block ×16, first 2 shown]
	ds_load_2addr_b64 v[8:11], v15 offset0:192 offset1:224
	ds_load_b128 v[12:15], v41 offset:26336
	s_wait_dscnt 0x0
	v_dual_lshrrev_b32 v25, 16, v12 :: v_dual_lshrrev_b32 v27, 16, v13
	v_dual_lshrrev_b32 v46, 16, v14 :: v_dual_lshrrev_b32 v47, 16, v15
	v_and_b32_e32 v12, 0xffff, v12
	v_and_b32_e32 v13, 0xffff, v13
	;; [unrolled: 1-line block ×4, first 2 shown]
	v_mul_u32_u24_e32 v25, 0x10001, v25
	v_mul_u32_u24_e32 v12, 0x10001, v12
	;; [unrolled: 1-line block ×6, first 2 shown]
	v_pk_fma_f16 v28, v8, v12, v28
	v_pk_fma_f16 v30, v8, v13, v30
	;; [unrolled: 1-line block ×8, first 2 shown]
	ds_load_b128 v[12:15], v41 offset:26352
	v_mul_u32_u24_e32 v46, 0x10001, v46
	v_mul_u32_u24_e32 v47, 0x10001, v47
	v_pk_fma_f16 v29, v8, v25, v29
	v_pk_fma_f16 v31, v8, v27, v31
	;; [unrolled: 1-line block ×8, first 2 shown]
	s_wait_dscnt 0x0
	v_dual_lshrrev_b32 v22, 16, v12 :: v_dual_lshrrev_b32 v25, 16, v13
	v_dual_lshrrev_b32 v27, 16, v14 :: v_dual_lshrrev_b32 v46, 16, v15
	v_and_b32_e32 v12, 0xffff, v12
	v_and_b32_e32 v13, 0xffff, v13
	;; [unrolled: 1-line block ×4, first 2 shown]
	v_mul_u32_u24_e32 v22, 0x10001, v22
	v_mul_u32_u24_e32 v12, 0x10001, v12
	v_mul_u32_u24_e32 v13, 0x10001, v13
	v_mul_u32_u24_e32 v25, 0x10001, v25
	v_mul_u32_u24_e32 v14, 0x10001, v14
	v_mul_u32_u24_e32 v27, 0x10001, v27
	v_mul_u32_u24_e32 v15, 0x10001, v15
	v_mul_u32_u24_e32 v46, 0x10001, v46
	v_pk_fma_f16 v28, v10, v12, v28
	v_pk_fma_f16 v29, v10, v22, v29
	v_pk_fma_f16 v30, v10, v13, v30
	v_pk_fma_f16 v31, v10, v25, v31
	v_pk_fma_f16 v42, v10, v14, v42
	v_pk_fma_f16 v44, v10, v27, v44
	v_pk_fma_f16 v45, v10, v15, v45
	v_pk_fma_f16 v47, v10, v46, v8
	v_pk_fma_f16 v16, v11, v12, v16
	v_pk_fma_f16 v22, v11, v22, v23
	v_pk_fma_f16 v17, v11, v13, v17
	v_pk_fma_f16 v20, v11, v25, v20
	v_pk_fma_f16 v18, v11, v14, v18
	v_pk_fma_f16 v21, v11, v27, v21
	v_pk_fma_f16 v19, v11, v15, v19
	v_pk_fma_f16 v23, v11, v46, v9
	ds_load_2addr_b64 v[8:11], v26 offset1:32
	ds_load_b128 v[12:15], v41 offset:26368
	s_wait_dscnt 0x0
	v_dual_lshrrev_b32 v25, 16, v12 :: v_dual_lshrrev_b32 v27, 16, v13
	v_dual_lshrrev_b32 v46, 16, v14 :: v_dual_lshrrev_b32 v48, 16, v15
	v_and_b32_e32 v12, 0xffff, v12
	v_and_b32_e32 v13, 0xffff, v13
	;; [unrolled: 1-line block ×4, first 2 shown]
	v_mul_u32_u24_e32 v25, 0x10001, v25
	v_mul_u32_u24_e32 v12, 0x10001, v12
	v_mul_u32_u24_e32 v13, 0x10001, v13
	v_mul_u32_u24_e32 v14, 0x10001, v14
	v_mul_u32_u24_e32 v15, 0x10001, v15
	v_mul_u32_u24_e32 v27, 0x10001, v27
	v_pk_fma_f16 v28, v8, v12, v28
	v_pk_fma_f16 v30, v8, v13, v30
	v_pk_fma_f16 v42, v8, v14, v42
	v_pk_fma_f16 v45, v8, v15, v45
	v_pk_fma_f16 v16, v9, v12, v16
	v_pk_fma_f16 v17, v9, v13, v17
	v_pk_fma_f16 v18, v9, v14, v18
	v_pk_fma_f16 v19, v9, v15, v19
	ds_load_b128 v[12:15], v41 offset:26384
	v_mul_u32_u24_e32 v46, 0x10001, v46
	v_mul_u32_u24_e32 v48, 0x10001, v48
	v_pk_fma_f16 v29, v8, v25, v29
	v_pk_fma_f16 v31, v8, v27, v31
	;; [unrolled: 1-line block ×8, first 2 shown]
	s_wait_dscnt 0x0
	v_dual_lshrrev_b32 v23, 16, v12 :: v_dual_lshrrev_b32 v25, 16, v13
	v_dual_lshrrev_b32 v27, 16, v14 :: v_dual_lshrrev_b32 v46, 16, v15
	v_and_b32_e32 v12, 0xffff, v12
	v_and_b32_e32 v13, 0xffff, v13
	v_and_b32_e32 v14, 0xffff, v14
	v_and_b32_e32 v15, 0xffff, v15
	v_mul_u32_u24_e32 v23, 0x10001, v23
	v_mul_u32_u24_e32 v12, 0x10001, v12
	;; [unrolled: 1-line block ×8, first 2 shown]
	v_pk_fma_f16 v28, v10, v12, v28
	v_pk_fma_f16 v29, v10, v23, v29
	v_pk_fma_f16 v30, v10, v13, v30
	v_pk_fma_f16 v31, v10, v25, v31
	v_pk_fma_f16 v42, v10, v14, v42
	v_pk_fma_f16 v44, v10, v27, v44
	v_pk_fma_f16 v45, v10, v15, v45
	v_pk_fma_f16 v47, v10, v46, v8
	v_pk_fma_f16 v16, v11, v12, v16
	v_pk_fma_f16 v22, v11, v23, v22
	v_pk_fma_f16 v17, v11, v13, v17
	v_pk_fma_f16 v20, v11, v25, v20
	v_pk_fma_f16 v18, v11, v14, v18
	v_pk_fma_f16 v21, v11, v27, v21
	v_pk_fma_f16 v19, v11, v15, v19
	v_pk_fma_f16 v23, v11, v46, v9
	ds_load_2addr_b64 v[8:11], v26 offset0:64 offset1:96
	ds_load_b128 v[12:15], v41 offset:26400
	s_wait_dscnt 0x0
	v_dual_lshrrev_b32 v25, 16, v12 :: v_dual_lshrrev_b32 v27, 16, v13
	v_dual_lshrrev_b32 v46, 16, v14 :: v_dual_lshrrev_b32 v48, 16, v15
	v_and_b32_e32 v12, 0xffff, v12
	v_and_b32_e32 v13, 0xffff, v13
	;; [unrolled: 1-line block ×4, first 2 shown]
	v_mul_u32_u24_e32 v25, 0x10001, v25
	v_mul_u32_u24_e32 v12, 0x10001, v12
	;; [unrolled: 1-line block ×6, first 2 shown]
	v_pk_fma_f16 v28, v8, v12, v28
	v_pk_fma_f16 v30, v8, v13, v30
	;; [unrolled: 1-line block ×8, first 2 shown]
	ds_load_b128 v[12:15], v41 offset:26416
	v_mul_u32_u24_e32 v46, 0x10001, v46
	v_mul_u32_u24_e32 v48, 0x10001, v48
	v_pk_fma_f16 v29, v8, v25, v29
	v_pk_fma_f16 v31, v8, v27, v31
	v_pk_fma_f16 v22, v9, v25, v22
	v_pk_fma_f16 v44, v8, v46, v44
	v_pk_fma_f16 v20, v9, v27, v20
	v_pk_fma_f16 v21, v9, v46, v21
	v_pk_fma_f16 v9, v9, v48, v23
	v_pk_fma_f16 v8, v8, v48, v47
	s_wait_dscnt 0x0
	v_dual_lshrrev_b32 v23, 16, v12 :: v_dual_lshrrev_b32 v25, 16, v13
	v_dual_lshrrev_b32 v27, 16, v14 :: v_dual_lshrrev_b32 v46, 16, v15
	v_and_b32_e32 v12, 0xffff, v12
	v_and_b32_e32 v13, 0xffff, v13
	;; [unrolled: 1-line block ×4, first 2 shown]
	v_mul_u32_u24_e32 v23, 0x10001, v23
	v_mul_u32_u24_e32 v12, 0x10001, v12
	v_mul_u32_u24_e32 v13, 0x10001, v13
	v_mul_u32_u24_e32 v25, 0x10001, v25
	v_mul_u32_u24_e32 v14, 0x10001, v14
	v_mul_u32_u24_e32 v27, 0x10001, v27
	v_mul_u32_u24_e32 v15, 0x10001, v15
	v_mul_u32_u24_e32 v46, 0x10001, v46
	v_pk_fma_f16 v28, v10, v12, v28
	v_pk_fma_f16 v29, v10, v23, v29
	;; [unrolled: 1-line block ×16, first 2 shown]
	ds_load_2addr_b64 v[8:11], v26 offset0:128 offset1:160
	ds_load_b128 v[12:15], v41 offset:26432
	s_wait_dscnt 0x0
	v_dual_lshrrev_b32 v25, 16, v12 :: v_dual_lshrrev_b32 v27, 16, v13
	v_dual_lshrrev_b32 v46, 16, v14 :: v_dual_lshrrev_b32 v48, 16, v15
	v_and_b32_e32 v12, 0xffff, v12
	v_and_b32_e32 v13, 0xffff, v13
	v_and_b32_e32 v14, 0xffff, v14
	v_and_b32_e32 v15, 0xffff, v15
	v_mul_u32_u24_e32 v25, 0x10001, v25
	v_mul_u32_u24_e32 v12, 0x10001, v12
	;; [unrolled: 1-line block ×6, first 2 shown]
	v_pk_fma_f16 v28, v8, v12, v28
	v_pk_fma_f16 v30, v8, v13, v30
	;; [unrolled: 1-line block ×8, first 2 shown]
	ds_load_b128 v[12:15], v41 offset:26448
	v_mul_u32_u24_e32 v46, 0x10001, v46
	v_mul_u32_u24_e32 v48, 0x10001, v48
	v_pk_fma_f16 v29, v8, v25, v29
	v_pk_fma_f16 v31, v8, v27, v31
	;; [unrolled: 1-line block ×8, first 2 shown]
	s_wait_dscnt 0x0
	v_dual_lshrrev_b32 v23, 16, v12 :: v_dual_lshrrev_b32 v25, 16, v13
	v_dual_lshrrev_b32 v27, 16, v14 :: v_dual_lshrrev_b32 v46, 16, v15
	v_and_b32_e32 v12, 0xffff, v12
	v_and_b32_e32 v13, 0xffff, v13
	;; [unrolled: 1-line block ×4, first 2 shown]
	v_mul_u32_u24_e32 v23, 0x10001, v23
	v_mul_u32_u24_e32 v12, 0x10001, v12
	;; [unrolled: 1-line block ×8, first 2 shown]
	v_pk_fma_f16 v28, v10, v12, v28
	v_pk_fma_f16 v29, v10, v23, v29
	;; [unrolled: 1-line block ×16, first 2 shown]
	ds_load_2addr_b64 v[8:11], v26 offset0:192 offset1:224
	ds_load_b128 v[12:15], v41 offset:26464
	s_wait_dscnt 0x0
	v_dual_lshrrev_b32 v25, 16, v12 :: v_dual_lshrrev_b32 v26, 16, v13
	v_dual_lshrrev_b32 v27, 16, v14 :: v_dual_lshrrev_b32 v46, 16, v15
	v_and_b32_e32 v12, 0xffff, v12
	v_and_b32_e32 v13, 0xffff, v13
	;; [unrolled: 1-line block ×4, first 2 shown]
	v_mul_u32_u24_e32 v25, 0x10001, v25
	v_mul_u32_u24_e32 v12, 0x10001, v12
	;; [unrolled: 1-line block ×6, first 2 shown]
	v_pk_fma_f16 v28, v8, v12, v28
	v_pk_fma_f16 v30, v8, v13, v30
	;; [unrolled: 1-line block ×8, first 2 shown]
	ds_load_b128 v[12:15], v41 offset:26480
	v_mul_u32_u24_e32 v27, 0x10001, v27
	v_mul_u32_u24_e32 v46, 0x10001, v46
	v_pk_fma_f16 v29, v8, v25, v29
	v_pk_fma_f16 v31, v8, v26, v31
	;; [unrolled: 1-line block ×8, first 2 shown]
	s_wait_dscnt 0x0
	v_dual_lshrrev_b32 v23, 16, v12 :: v_dual_lshrrev_b32 v25, 16, v13
	v_dual_lshrrev_b32 v26, 16, v14 :: v_dual_lshrrev_b32 v27, 16, v15
	v_and_b32_e32 v12, 0xffff, v12
	v_and_b32_e32 v13, 0xffff, v13
	;; [unrolled: 1-line block ×4, first 2 shown]
	v_mul_u32_u24_e32 v23, 0x10001, v23
	v_mul_u32_u24_e32 v12, 0x10001, v12
	;; [unrolled: 1-line block ×8, first 2 shown]
	v_pk_fma_f16 v28, v10, v12, v28
	v_pk_fma_f16 v29, v10, v23, v29
	;; [unrolled: 1-line block ×16, first 2 shown]
	ds_load_2addr_b64 v[8:11], v24 offset1:32
	ds_load_b128 v[12:15], v41 offset:26496
	s_wait_dscnt 0x0
	v_dual_lshrrev_b32 v25, 16, v12 :: v_dual_lshrrev_b32 v26, 16, v13
	v_dual_lshrrev_b32 v27, 16, v14 :: v_dual_lshrrev_b32 v47, 16, v15
	v_and_b32_e32 v12, 0xffff, v12
	v_and_b32_e32 v13, 0xffff, v13
	;; [unrolled: 1-line block ×4, first 2 shown]
	v_mul_u32_u24_e32 v25, 0x10001, v25
	v_mul_u32_u24_e32 v12, 0x10001, v12
	;; [unrolled: 1-line block ×6, first 2 shown]
	v_pk_fma_f16 v28, v8, v12, v28
	v_pk_fma_f16 v30, v8, v13, v30
	;; [unrolled: 1-line block ×8, first 2 shown]
	ds_load_b128 v[12:15], v41 offset:26512
	v_mul_u32_u24_e32 v27, 0x10001, v27
	v_mul_u32_u24_e32 v47, 0x10001, v47
	v_pk_fma_f16 v29, v8, v25, v29
	v_pk_fma_f16 v31, v8, v26, v31
	;; [unrolled: 1-line block ×8, first 2 shown]
	s_wait_dscnt 0x0
	v_dual_lshrrev_b32 v23, 16, v12 :: v_dual_lshrrev_b32 v25, 16, v13
	v_dual_lshrrev_b32 v26, 16, v14 :: v_dual_lshrrev_b32 v27, 16, v15
	v_and_b32_e32 v12, 0xffff, v12
	v_and_b32_e32 v13, 0xffff, v13
	;; [unrolled: 1-line block ×4, first 2 shown]
	v_mul_u32_u24_e32 v23, 0x10001, v23
	v_mul_u32_u24_e32 v12, 0x10001, v12
	;; [unrolled: 1-line block ×8, first 2 shown]
	v_pk_fma_f16 v28, v10, v12, v28
	v_pk_fma_f16 v29, v10, v23, v29
	;; [unrolled: 1-line block ×16, first 2 shown]
	ds_load_2addr_b64 v[8:11], v24 offset0:64 offset1:96
	ds_load_b128 v[12:15], v41 offset:26528
	s_wait_dscnt 0x0
	v_dual_lshrrev_b32 v25, 16, v12 :: v_dual_lshrrev_b32 v26, 16, v13
	v_dual_lshrrev_b32 v27, 16, v14 :: v_dual_lshrrev_b32 v47, 16, v15
	v_and_b32_e32 v12, 0xffff, v12
	v_and_b32_e32 v13, 0xffff, v13
	v_and_b32_e32 v14, 0xffff, v14
	v_and_b32_e32 v15, 0xffff, v15
	v_mul_u32_u24_e32 v25, 0x10001, v25
	v_mul_u32_u24_e32 v12, 0x10001, v12
	;; [unrolled: 1-line block ×6, first 2 shown]
	v_pk_fma_f16 v28, v8, v12, v28
	v_pk_fma_f16 v30, v8, v13, v30
	;; [unrolled: 1-line block ×8, first 2 shown]
	ds_load_b128 v[12:15], v41 offset:26544
	v_mul_u32_u24_e32 v27, 0x10001, v27
	v_mul_u32_u24_e32 v47, 0x10001, v47
	v_pk_fma_f16 v29, v8, v25, v29
	v_pk_fma_f16 v31, v8, v26, v31
	;; [unrolled: 1-line block ×8, first 2 shown]
	s_wait_dscnt 0x0
	v_dual_lshrrev_b32 v23, 16, v12 :: v_dual_lshrrev_b32 v25, 16, v13
	v_dual_lshrrev_b32 v26, 16, v14 :: v_dual_lshrrev_b32 v27, 16, v15
	v_and_b32_e32 v12, 0xffff, v12
	v_and_b32_e32 v13, 0xffff, v13
	;; [unrolled: 1-line block ×4, first 2 shown]
	v_mul_u32_u24_e32 v23, 0x10001, v23
	v_mul_u32_u24_e32 v12, 0x10001, v12
	;; [unrolled: 1-line block ×8, first 2 shown]
	v_pk_fma_f16 v28, v10, v12, v28
	v_pk_fma_f16 v29, v10, v23, v29
	;; [unrolled: 1-line block ×16, first 2 shown]
	ds_load_2addr_b64 v[8:11], v24 offset0:128 offset1:160
	ds_load_b128 v[12:15], v41 offset:26560
	s_wait_dscnt 0x0
	v_dual_lshrrev_b32 v25, 16, v12 :: v_dual_lshrrev_b32 v26, 16, v13
	v_dual_lshrrev_b32 v27, 16, v14 :: v_dual_lshrrev_b32 v47, 16, v15
	v_and_b32_e32 v12, 0xffff, v12
	v_and_b32_e32 v13, 0xffff, v13
	;; [unrolled: 1-line block ×4, first 2 shown]
	v_mul_u32_u24_e32 v25, 0x10001, v25
	v_mul_u32_u24_e32 v12, 0x10001, v12
	;; [unrolled: 1-line block ×6, first 2 shown]
	v_pk_fma_f16 v28, v8, v12, v28
	v_pk_fma_f16 v30, v8, v13, v30
	v_pk_fma_f16 v42, v8, v14, v42
	v_pk_fma_f16 v45, v8, v15, v45
	v_pk_fma_f16 v16, v9, v12, v16
	v_pk_fma_f16 v17, v9, v13, v17
	v_pk_fma_f16 v18, v9, v14, v18
	v_pk_fma_f16 v19, v9, v15, v19
	ds_load_b128 v[12:15], v41 offset:26576
	v_mul_u32_u24_e32 v27, 0x10001, v27
	v_mul_u32_u24_e32 v47, 0x10001, v47
	v_pk_fma_f16 v29, v8, v25, v29
	v_pk_fma_f16 v31, v8, v26, v31
	;; [unrolled: 1-line block ×8, first 2 shown]
	s_wait_dscnt 0x0
	v_dual_lshrrev_b32 v23, 16, v12 :: v_dual_lshrrev_b32 v25, 16, v13
	v_dual_lshrrev_b32 v26, 16, v14 :: v_dual_lshrrev_b32 v27, 16, v15
	v_and_b32_e32 v12, 0xffff, v12
	v_and_b32_e32 v13, 0xffff, v13
	;; [unrolled: 1-line block ×4, first 2 shown]
	v_mul_u32_u24_e32 v23, 0x10001, v23
	v_mul_u32_u24_e32 v12, 0x10001, v12
	;; [unrolled: 1-line block ×8, first 2 shown]
	v_pk_fma_f16 v28, v10, v12, v28
	v_pk_fma_f16 v29, v10, v23, v29
	;; [unrolled: 1-line block ×16, first 2 shown]
	ds_load_2addr_b64 v[8:11], v24 offset0:192 offset1:224
	ds_load_b128 v[12:15], v41 offset:26592
	s_wait_dscnt 0x0
	v_dual_lshrrev_b32 v24, 16, v12 :: v_dual_lshrrev_b32 v25, 16, v13
	v_dual_lshrrev_b32 v26, 16, v14 :: v_dual_lshrrev_b32 v27, 16, v15
	v_and_b32_e32 v12, 0xffff, v12
	v_and_b32_e32 v13, 0xffff, v13
	;; [unrolled: 1-line block ×4, first 2 shown]
	v_mul_u32_u24_e32 v24, 0x10001, v24
	v_mul_u32_u24_e32 v12, 0x10001, v12
	;; [unrolled: 1-line block ×6, first 2 shown]
	v_pk_fma_f16 v28, v8, v12, v28
	v_pk_fma_f16 v30, v8, v13, v30
	;; [unrolled: 1-line block ×8, first 2 shown]
	ds_load_b128 v[12:15], v41 offset:26608
	v_mul_u32_u24_e32 v26, 0x10001, v26
	v_mul_u32_u24_e32 v27, 0x10001, v27
	v_pk_fma_f16 v29, v8, v24, v29
	v_pk_fma_f16 v31, v8, v25, v31
	;; [unrolled: 1-line block ×8, first 2 shown]
	s_wait_dscnt 0x0
	s_barrier_signal -1
	s_barrier_wait -1
	v_dual_lshrrev_b32 v23, 16, v12 :: v_dual_lshrrev_b32 v24, 16, v13
	v_dual_lshrrev_b32 v25, 16, v14 :: v_dual_lshrrev_b32 v26, 16, v15
	v_and_b32_e32 v12, 0xffff, v12
	v_and_b32_e32 v13, 0xffff, v13
	;; [unrolled: 1-line block ×4, first 2 shown]
	v_mul_u32_u24_e32 v23, 0x10001, v23
	v_mul_u32_u24_e32 v12, 0x10001, v12
	;; [unrolled: 1-line block ×8, first 2 shown]
	v_pk_fma_f16 v110, v10, v12, v28
	v_pk_fma_f16 v108, v10, v23, v29
	;; [unrolled: 1-line block ×14, first 2 shown]
	v_mov_b64_e32 v[24:25], v[32:33]
	v_mov_b64_e32 v[22:23], v[6:7]
	;; [unrolled: 1-line block ×8, first 2 shown]
	v_pk_fma_f16 v93, v10, v14, v42
	v_pk_fma_f16 v89, v10, v15, v45
.LBB52_121:
	v_cmp_lt_i32_e32 vcc_lo, v63, v61
	s_cmp_eq_u64 s[12:13], 0
	s_cselect_b32 s2, -1, 0
	s_cmp_lg_u32 s20, 0
	v_cndmask_b32_e32 v0, v82, v63, vcc_lo
	v_cmp_lt_i32_e32 vcc_lo, v62, v61
	s_cselect_b32 s3, -1, 0
	s_delay_alu instid0(SALU_CYCLE_1) | instskip(NEXT) | instid1(VALU_DEP_2)
	s_or_b32 s2, s3, s2
	v_dual_cndmask_b32 v8, v82, v62 :: v_dual_lshlrev_b32 v7, 2, v0
	v_cmp_lt_i32_e32 vcc_lo, v60, v61
	s_delay_alu instid0(VALU_DEP_2)
	v_lshlrev_b32_e32 v15, 2, v8
	ds_bpermute_b32 v0, v7, v16
	ds_bpermute_b32 v1, v7, v17
	;; [unrolled: 1-line block ×8, first 2 shown]
	s_wait_dscnt 0x6
	v_pk_add_f32 v[0:1], v[16:17], v[0:1]
	v_cndmask_b32_e32 v16, v82, v60, vcc_lo
	s_wait_dscnt 0x4
	v_pk_add_f32 v[2:3], v[18:19], v[2:3]
	v_cmp_lt_i32_e32 vcc_lo, v58, v61
	s_wait_dscnt 0x2
	v_pk_add_f32 v[4:5], v[20:21], v[4:5]
	ds_bpermute_b32 v8, v15, v0
	s_wait_dscnt 0x1
	v_pk_add_f32 v[6:7], v[22:23], v[6:7]
	ds_bpermute_b32 v9, v15, v1
	ds_bpermute_b32 v10, v15, v2
	;; [unrolled: 1-line block ×7, first 2 shown]
	v_lshlrev_b32_e32 v16, 2, v16
	s_wait_dscnt 0x6
	v_pk_add_f32 v[0:1], v[0:1], v[8:9]
	s_wait_dscnt 0x4
	v_pk_add_f32 v[2:3], v[2:3], v[10:11]
	;; [unrolled: 2-line block ×3, first 2 shown]
	ds_bpermute_b32 v8, v16, v0
	s_wait_dscnt 0x1
	v_pk_add_f32 v[6:7], v[6:7], v[14:15]
	ds_bpermute_b32 v9, v16, v1
	ds_bpermute_b32 v10, v16, v2
	;; [unrolled: 1-line block ×7, first 2 shown]
	v_cndmask_b32_e32 v16, v82, v58, vcc_lo
	v_cmp_lt_i32_e32 vcc_lo, v59, v61
	s_delay_alu instid0(VALU_DEP_2)
	v_lshlrev_b32_e32 v16, 2, v16
	s_wait_dscnt 0x6
	v_pk_add_f32 v[0:1], v[0:1], v[8:9]
	s_wait_dscnt 0x4
	v_pk_add_f32 v[2:3], v[2:3], v[10:11]
	;; [unrolled: 2-line block ×3, first 2 shown]
	ds_bpermute_b32 v8, v16, v0
	s_wait_dscnt 0x1
	v_pk_add_f32 v[6:7], v[6:7], v[14:15]
	ds_bpermute_b32 v9, v16, v1
	ds_bpermute_b32 v10, v16, v2
	;; [unrolled: 1-line block ×7, first 2 shown]
	v_cndmask_b32_e32 v16, v82, v59, vcc_lo
	s_and_b32 vcc_lo, exec_lo, s2
	s_delay_alu instid0(VALU_DEP_1)
	v_lshlrev_b32_e32 v19, 2, v16
	s_wait_dscnt 0x6
	v_pk_add_f32 v[0:1], v[0:1], v[8:9]
	s_wait_dscnt 0x4
	v_pk_add_f32 v[2:3], v[2:3], v[10:11]
	;; [unrolled: 2-line block ×3, first 2 shown]
	ds_bpermute_b32 v8, v19, v0
	s_wait_dscnt 0x1
	v_pk_add_f32 v[6:7], v[6:7], v[14:15]
	ds_bpermute_b32 v9, v19, v1
	ds_bpermute_b32 v10, v19, v2
	;; [unrolled: 1-line block ×7, first 2 shown]
	s_wait_dscnt 0x6
	v_pk_add_f32 v[14:15], v[0:1], v[8:9]
	s_wait_dscnt 0x4
	v_pk_add_f32 v[12:13], v[2:3], v[10:11]
	;; [unrolled: 2-line block ×4, first 2 shown]
	s_cbranch_vccnz .LBB52_123
; %bb.122:
	v_dual_mov_b32 v0, s33 :: v_dual_max_num_f32 v1, v25, v25
	v_dual_max_num_f32 v4, v28, v28 :: v_dual_max_num_f32 v5, v29, v29
	v_dual_max_num_f32 v6, v30, v30 :: v_dual_max_num_f32 v17, v31, v31
	global_load_b32 v16, v0, s[12:13] scale_offset
	s_wait_xcnt 0x0
	v_dual_max_num_f32 v0, v24, v24 :: v_dual_max_num_f32 v2, v26, v26
	s_wait_loadcnt 0x0
	v_dual_max_num_f32 v3, v27, v27 :: v_dual_max_num_f32 v7, v16, v16
	s_delay_alu instid0(VALU_DEP_1) | instskip(NEXT) | instid1(VALU_DEP_2)
	v_dual_max_num_f32 v0, v0, v7 :: v_dual_max_num_f32 v1, v1, v7
	v_dual_max_num_f32 v2, v2, v7 :: v_dual_max_num_f32 v3, v3, v7
	;; [unrolled: 1-line block ×4, first 2 shown]
	s_delay_alu instid0(VALU_DEP_4)
	v_dual_sub_f32 v17, v24, v0 :: v_dual_sub_f32 v19, v25, v1
	v_dual_sub_f32 v18, v16, v0 :: v_dual_sub_f32 v20, v16, v1
	;; [unrolled: 1-line block ×8, first 2 shown]
	v_dual_mul_f32 v16, 0x3fb8aa3b, v17 :: v_dual_mul_f32 v33, 0x3fb8aa3b, v18
	v_dual_mul_f32 v34, 0x3fb8aa3b, v19 :: v_dual_mul_f32 v35, 0x3fb8aa3b, v20
	v_dual_mul_f32 v38, 0x3fb8aa3b, v23 :: v_dual_mul_f32 v39, 0x3fb8aa3b, v24
	v_dual_mul_f32 v41, 0x3fb8aa3b, v25 :: v_dual_mul_f32 v42, 0x3fb8aa3b, v26
	s_delay_alu instid0(VALU_DEP_4)
	v_fma_f32 v50, 0x3fb8aa3b, v17, -v16
	v_rndne_f32_e32 v51, v16
	v_dual_mul_f32 v36, 0x3fb8aa3b, v21 :: v_dual_mul_f32 v37, 0x3fb8aa3b, v22
	v_dual_mul_f32 v44, 0x3fb8aa3b, v27 :: v_dual_mul_f32 v45, 0x3fb8aa3b, v28
	v_fma_f32 v52, 0x3fb8aa3b, v18, -v33
	v_rndne_f32_e32 v53, v33
	v_fma_f32 v54, 0x3fb8aa3b, v19, -v34
	v_rndne_f32_e32 v55, v34
	v_rndne_f32_e32 v63, v38
	;; [unrolled: 1-line block ×3, first 2 shown]
	v_fmac_f32_e32 v50, 0x32a5705f, v17
	v_dual_sub_f32 v16, v16, v51 :: v_dual_sub_f32 v33, v33, v53
	v_rndne_f32_e32 v57, v35
	v_fma_f32 v58, 0x3fb8aa3b, v21, -v36
	v_rndne_f32_e32 v61, v37
	v_fma_f32 v62, 0x3fb8aa3b, v23, -v38
	;; [unrolled: 2-line block ×3, first 2 shown]
	v_rndne_f32_e32 v99, v44
	v_fmac_f32_e32 v52, 0x32a5705f, v18
	v_fmac_f32_e32 v54, 0x32a5705f, v19
	v_sub_f32_e32 v34, v34, v55
	v_sub_f32_e32 v41, v41, v83
	v_dual_sub_f32 v38, v38, v63 :: v_dual_add_f32 v16, v16, v50
	v_fma_f32 v56, 0x3fb8aa3b, v20, -v35
	v_fma_f32 v60, 0x3fb8aa3b, v22, -v37
	;; [unrolled: 1-line block ×4, first 2 shown]
	v_sub_f32_e32 v35, v35, v57
	v_dual_fmac_f32 v58, 0x32a5705f, v21 :: v_dual_add_f32 v33, v33, v52
	v_sub_f32_e32 v37, v37, v61
	v_dual_sub_f32 v39, v39, v65 :: v_dual_sub_f32 v44, v44, v99
	v_add_f32_e32 v34, v34, v54
	v_exp_f32_e32 v16, v16
	v_cvt_i32_f32_e32 v51, v51
	v_dual_mul_f32 v46, 0x3fb8aa3b, v29 :: v_dual_mul_f32 v47, 0x3fb8aa3b, v30
	v_rndne_f32_e32 v59, v36
	v_rndne_f32_e32 v101, v45
	v_fmac_f32_e32 v56, 0x32a5705f, v20
	v_exp_f32_e32 v33, v33
	v_exp_f32_e32 v34, v34
	v_cvt_i32_f32_e32 v53, v53
	v_cvt_i32_f32_e32 v55, v55
	v_ldexp_f32 v16, v16, v51
	v_cmp_ngt_f32_e32 vcc_lo, 0xc2ce8ed0, v17
	v_rndne_f32_e32 v85, v42
	v_fma_f32 v100, 0x3fb8aa3b, v28, -v45
	v_rndne_f32_e32 v103, v46
	v_dual_sub_f32 v36, v36, v59 :: v_dual_sub_f32 v45, v45, v101
	v_dual_fmac_f32 v82, 0x32a5705f, v25 :: v_dual_add_f32 v35, v35, v56
	v_ldexp_f32 v33, v33, v53
	v_ldexp_f32 v34, v34, v55
	v_cndmask_b32_e32 v16, 0, v16, vcc_lo
	v_cmp_ngt_f32_e32 vcc_lo, 0xc2ce8ed0, v18
	v_dual_mul_f32 v48, 0x3fb8aa3b, v31 :: v_dual_mul_f32 v49, 0x3fb8aa3b, v32
	v_fma_f32 v84, 0x3fb8aa3b, v26, -v42
	v_fma_f32 v102, 0x3fb8aa3b, v29, -v46
	v_rndne_f32_e32 v105, v47
	v_fmac_f32_e32 v60, 0x32a5705f, v22
	v_sub_f32_e32 v42, v42, v85
	v_dual_sub_f32 v46, v46, v103 :: v_dual_add_f32 v36, v36, v58
	v_exp_f32_e32 v35, v35
	v_cvt_i32_f32_e32 v57, v57
	v_dual_fmac_f32 v100, 0x32a5705f, v28 :: v_dual_cndmask_b32 v33, 0, v33
	v_cmp_ngt_f32_e32 vcc_lo, 0xc2ce8ed0, v19
	v_fma_f32 v104, 0x3fb8aa3b, v30, -v47
	v_rndne_f32_e32 v107, v48
	v_rndne_f32_e32 v113, v49
	v_dual_fmac_f32 v62, 0x32a5705f, v23 :: v_dual_sub_f32 v47, v47, v105
	v_dual_fmac_f32 v84, 0x32a5705f, v26 :: v_dual_add_f32 v37, v37, v60
	v_exp_f32_e32 v36, v36
	v_fma_f32 v112, 0x3fb8aa3b, v32, -v49
	v_cvt_i32_f32_e32 v59, v59
	v_ldexp_f32 v35, v35, v57
	v_cndmask_b32_e32 v34, 0, v34, vcc_lo
	v_cmp_ngt_f32_e32 vcc_lo, 0xc2ce8ed0, v20
	v_fma_f32 v106, 0x3fb8aa3b, v31, -v48
	v_dual_fmac_f32 v64, 0x32a5705f, v24 :: v_dual_add_f32 v41, v41, v82
	v_dual_sub_f32 v49, v49, v113 :: v_dual_sub_f32 v48, v48, v107
	v_add_f32_e32 v38, v38, v62
	v_exp_f32_e32 v37, v37
	v_cvt_i32_f32_e32 v61, v61
	v_dual_fmac_f32 v102, 0x32a5705f, v29 :: v_dual_add_f32 v45, v45, v100
	v_dual_fmac_f32 v112, 0x32a5705f, v32 :: v_dual_cndmask_b32 v35, 0, v35
	v_ldexp_f32 v36, v36, v59
	v_cmp_ngt_f32_e32 vcc_lo, 0xc2ce8ed0, v21
	v_dual_fmac_f32 v86, 0x32a5705f, v27 :: v_dual_add_f32 v39, v39, v64
	v_exp_f32_e32 v38, v38
	v_cvt_i32_f32_e32 v63, v63
	v_dual_fmac_f32 v104, 0x32a5705f, v30 :: v_dual_add_f32 v49, v49, v112
	v_fmac_f32_e32 v106, 0x32a5705f, v31
	v_dual_add_f32 v46, v46, v102 :: v_dual_cndmask_b32 v36, 0, v36, vcc_lo
	v_ldexp_f32 v37, v37, v61
	v_cmp_ngt_f32_e32 vcc_lo, 0xc2ce8ed0, v22
	v_exp_f32_e32 v39, v39
	v_cvt_i32_f32_e32 v65, v65
	v_dual_add_f32 v47, v47, v104 :: v_dual_add_f32 v48, v48, v106
	v_cndmask_b32_e32 v37, 0, v37, vcc_lo
	v_ldexp_f32 v38, v38, v63
	v_cmp_ngt_f32_e32 vcc_lo, 0xc2ce8ed0, v23
	v_dual_add_f32 v42, v42, v84 :: v_dual_add_f32 v44, v44, v86
	v_exp_f32_e32 v41, v41
	v_cvt_i32_f32_e32 v83, v83
	v_ldexp_f32 v39, v39, v65
	v_cndmask_b32_e32 v38, 0, v38, vcc_lo
	v_cmp_ngt_f32_e32 vcc_lo, 0xc2ce8ed0, v24
	v_exp_f32_e32 v42, v42
	v_cvt_i32_f32_e32 v85, v85
	v_ldexp_f32 v41, v41, v83
	v_exp_f32_e32 v44, v44
	v_cndmask_b32_e32 v39, 0, v39, vcc_lo
	v_cmp_ngt_f32_e32 vcc_lo, 0xc2ce8ed0, v25
	v_cvt_i32_f32_e32 v99, v99
	v_ldexp_f32 v42, v42, v85
	v_exp_f32_e32 v45, v45
	v_cvt_i32_f32_e32 v101, v101
	v_cndmask_b32_e32 v41, 0, v41, vcc_lo
	v_cmp_ngt_f32_e32 vcc_lo, 0xc2ce8ed0, v26
	v_ldexp_f32 v44, v44, v99
	v_exp_f32_e32 v46, v46
	v_cvt_i32_f32_e32 v103, v103
	v_ldexp_f32 v45, v45, v101
	v_cndmask_b32_e32 v42, 0, v42, vcc_lo
	v_cmp_ngt_f32_e32 vcc_lo, 0xc2ce8ed0, v27
	v_exp_f32_e32 v47, v47
	v_cvt_i32_f32_e32 v105, v105
	v_ldexp_f32 v46, v46, v103
	v_exp_f32_e32 v48, v48
	v_cndmask_b32_e32 v44, 0, v44, vcc_lo
	v_cmp_ngt_f32_e32 vcc_lo, 0xc2ce8ed0, v28
	v_cvt_i32_f32_e32 v107, v107
	v_ldexp_f32 v47, v47, v105
	v_exp_f32_e32 v49, v49
	v_cvt_i32_f32_e32 v113, v113
	v_cndmask_b32_e32 v45, 0, v45, vcc_lo
	v_cmp_ngt_f32_e32 vcc_lo, 0xc2ce8ed0, v29
	v_ldexp_f32 v48, v48, v107
	s_delay_alu instid0(TRANS32_DEP_1) | instid1(VALU_DEP_4)
	v_ldexp_f32 v49, v49, v113
	v_cndmask_b32_e32 v46, 0, v46, vcc_lo
	v_cmp_ngt_f32_e32 vcc_lo, 0xc2ce8ed0, v30
	v_cndmask_b32_e32 v47, 0, v47, vcc_lo
	v_cmp_ngt_f32_e32 vcc_lo, 0xc2ce8ed0, v31
	;; [unrolled: 2-line block ×3, first 2 shown]
	v_cndmask_b32_e32 v49, 0, v49, vcc_lo
	v_cmp_nlt_f32_e32 vcc_lo, 0x42b17218, v17
	v_cndmask_b32_e32 v16, 0x7f800000, v16, vcc_lo
	v_cmp_nlt_f32_e32 vcc_lo, 0x42b17218, v18
	;; [unrolled: 2-line block ×4, first 2 shown]
	s_delay_alu instid0(VALU_DEP_2) | instskip(SKIP_2) | instid1(VALU_DEP_2)
	v_cvt_f16_f32_e32 v33, v17
	v_cndmask_b32_e32 v19, 0x7f800000, v35, vcc_lo
	v_cmp_nlt_f32_e32 vcc_lo, 0x42b17218, v21
	v_pk_fma_f32 v[14:15], v[14:15], v[16:17], v[18:19]
	v_cndmask_b32_e32 v20, 0x7f800000, v36, vcc_lo
	v_cmp_nlt_f32_e32 vcc_lo, 0x42b17218, v22
	v_and_b32_e32 v17, 0xffff, v33
	s_delay_alu instid0(VALU_DEP_3) | instskip(SKIP_2) | instid1(VALU_DEP_4)
	v_cvt_f16_f32_e32 v34, v20
	v_cndmask_b32_e32 v22, 0x7f800000, v37, vcc_lo
	v_cmp_nlt_f32_e32 vcc_lo, 0x42b17218, v23
	v_mul_u32_u24_e32 v17, 0x10001, v17
	s_delay_alu instid0(VALU_DEP_4) | instskip(SKIP_2) | instid1(VALU_DEP_4)
	v_and_b32_e32 v18, 0xffff, v34
	v_cndmask_b32_e32 v21, 0x7f800000, v38, vcc_lo
	v_cmp_nlt_f32_e32 vcc_lo, 0x42b17218, v24
	v_pk_mul_f16 v108, v108, v17
	s_delay_alu instid0(VALU_DEP_4)
	v_mul_u32_u24_e32 v18, 0x10001, v18
	v_pk_mul_f16 v109, v109, v17
	v_cvt_f16_f32_e32 v35, v21
	v_cndmask_b32_e32 v23, 0x7f800000, v39, vcc_lo
	v_cmp_nlt_f32_e32 vcc_lo, 0x42b17218, v25
	v_pk_mul_f16 v98, v98, v18
	v_pk_mul_f16 v97, v97, v18
	v_and_b32_e32 v19, 0xffff, v35
	v_pk_fma_f32 v[12:13], v[12:13], v[20:21], v[22:23]
	v_cndmask_b32_e32 v24, 0x7f800000, v41, vcc_lo
	v_cmp_nlt_f32_e32 vcc_lo, 0x42b17218, v26
	s_delay_alu instid0(VALU_DEP_4) | instskip(NEXT) | instid1(VALU_DEP_3)
	v_mul_u32_u24_e32 v19, 0x10001, v19
	v_cvt_f16_f32_e32 v36, v24
	v_cndmask_b32_e32 v26, 0x7f800000, v42, vcc_lo
	v_cmp_nlt_f32_e32 vcc_lo, 0x42b17218, v27
	s_delay_alu instid0(VALU_DEP_4) | instskip(SKIP_4) | instid1(VALU_DEP_3)
	v_pk_mul_f16 v95, v95, v19
	v_pk_mul_f16 v96, v96, v19
	v_and_b32_e32 v20, 0xffff, v36
	v_cndmask_b32_e32 v25, 0x7f800000, v44, vcc_lo
	v_cmp_nlt_f32_e32 vcc_lo, 0x42b17218, v28
	v_mul_u32_u24_e32 v20, 0x10001, v20
	s_delay_alu instid0(VALU_DEP_3) | instskip(SKIP_2) | instid1(VALU_DEP_4)
	v_cvt_f16_f32_e32 v37, v25
	v_cndmask_b32_e32 v27, 0x7f800000, v45, vcc_lo
	v_cmp_nlt_f32_e32 vcc_lo, 0x42b17218, v29
	v_pk_mul_f16 v93, v93, v20
	v_pk_mul_f16 v94, v94, v20
	v_and_b32_e32 v21, 0xffff, v37
	v_pk_fma_f32 v[10:11], v[10:11], v[24:25], v[26:27]
	v_cndmask_b32_e32 v28, 0x7f800000, v46, vcc_lo
	v_cmp_nlt_f32_e32 vcc_lo, 0x42b17218, v30
	s_delay_alu instid0(VALU_DEP_4) | instskip(NEXT) | instid1(VALU_DEP_3)
	v_mul_u32_u24_e32 v21, 0x10001, v21
	v_cvt_f16_f32_e32 v38, v28
	v_cndmask_b32_e32 v30, 0x7f800000, v47, vcc_lo
	v_cmp_nlt_f32_e32 vcc_lo, 0x42b17218, v31
	s_delay_alu instid0(VALU_DEP_4)
	v_pk_mul_f16 v91, v91, v21
	v_pk_mul_f16 v92, v92, v21
	v_and_b32_e32 v22, 0xffff, v38
	v_cndmask_b32_e32 v29, 0x7f800000, v48, vcc_lo
	v_cmp_nlt_f32_e32 vcc_lo, 0x42b17218, v32
	v_cvt_f16_f32_e32 v32, v16
	s_delay_alu instid0(VALU_DEP_4) | instskip(NEXT) | instid1(VALU_DEP_4)
	v_mul_u32_u24_e32 v22, 0x10001, v22
	v_cvt_f16_f32_e32 v39, v29
	v_cndmask_b32_e32 v31, 0x7f800000, v49, vcc_lo
	s_delay_alu instid0(VALU_DEP_4) | instskip(NEXT) | instid1(VALU_DEP_4)
	v_and_b32_e32 v16, 0xffff, v32
	v_pk_mul_f16 v89, v89, v22
	v_pk_mul_f16 v90, v90, v22
	v_and_b32_e32 v23, 0xffff, v39
	v_pk_fma_f32 v[8:9], v[8:9], v[28:29], v[30:31]
	v_mul_u32_u24_e32 v16, 0x10001, v16
	v_mov_b64_e32 v[30:31], v[6:7]
	v_mov_b64_e32 v[28:29], v[4:5]
	v_mul_u32_u24_e32 v23, 0x10001, v23
	v_mov_b64_e32 v[26:27], v[2:3]
	v_mov_b64_e32 v[24:25], v[0:1]
	v_pk_mul_f16 v110, v110, v16
	v_pk_mul_f16 v111, v111, v16
	;; [unrolled: 1-line block ×4, first 2 shown]
.LBB52_123:
	s_mov_b32 s2, exec_lo
	v_cmpx_gt_i32_e64 s22, v81
	s_cbranch_execz .LBB52_163
; %bb.124:
	s_load_b32 s0, s[0:1], 0xd4
	v_mov_b32_e32 v0, 1.0
	s_wait_kmcnt 0x0
	s_cmp_lg_u32 s0, 1
	s_cselect_b32 s2, -1, 0
	s_cmp_eq_u32 s0, 1
	s_cselect_b32 s3, -1, 0
	s_and_b32 vcc_lo, exec_lo, s2
	s_cbranch_vccnz .LBB52_126
; %bb.125:
	v_div_scale_f32 v0, null, v14, v14, 1.0
	s_delay_alu instid0(VALU_DEP_1) | instskip(SKIP_1) | instid1(TRANS32_DEP_1)
	v_rcp_f32_e32 v1, v0
	v_nop
	v_fma_f32 v2, -v0, v1, 1.0
	s_delay_alu instid0(VALU_DEP_1) | instskip(SKIP_1) | instid1(VALU_DEP_1)
	v_fmac_f32_e32 v1, v2, v1
	v_div_scale_f32 v2, vcc_lo, 1.0, v14, 1.0
	v_mul_f32_e32 v3, v2, v1
	s_delay_alu instid0(VALU_DEP_1) | instskip(NEXT) | instid1(VALU_DEP_1)
	v_fma_f32 v4, -v0, v3, v2
	v_fmac_f32_e32 v3, v4, v1
	s_delay_alu instid0(VALU_DEP_1) | instskip(NEXT) | instid1(VALU_DEP_1)
	v_fma_f32 v0, -v0, v3, v2
	v_div_fmas_f32 v0, v0, v1, v3
	s_delay_alu instid0(VALU_DEP_1)
	v_div_fixup_f32 v0, v0, v14, 1.0
.LBB52_126:
	s_mul_i32 s1, s34, s22
	v_dual_lshrrev_b32 v3, 16, v110 :: v_dual_lshrrev_b32 v7, 16, v111
	s_add_co_i32 s1, s1, s42
	s_delay_alu instid0(SALU_CYCLE_1)
	v_dual_mov_b32 v5, 0 :: v_dual_add_nc_u32 v1, s1, v78
	v_cvt_f32_f16_e32 v2, v110
	v_cvt_f32_f16_e32 v6, v111
	;; [unrolled: 1-line block ×4, first 2 shown]
	v_mad_u32 v1, v1, s23, s33
	v_cmp_eq_u32_e32 vcc_lo, 0, v40
	s_and_b32 s2, vcc_lo, s2
	s_delay_alu instid0(VALU_DEP_2) | instskip(NEXT) | instid1(VALU_DEP_1)
	v_mad_u32 v1, s0, v1, s20
	v_lshl_add_u32 v4, v1, 7, v77
	v_pk_mul_f32 v[2:3], v[0:1], v[2:3] op_sel_hi:[0,1]
	s_delay_alu instid0(VALU_DEP_2)
	v_lshl_add_u64 v[16:17], v[4:5], 2, s[16:17]
	v_pk_mul_f32 v[4:5], v[0:1], v[6:7] op_sel_hi:[0,1]
	global_store_b128 v[16:17], v[2:5], off
	s_wait_xcnt 0x0
	s_and_saveexec_b32 s4, s2
	s_cbranch_execz .LBB52_128
; %bb.127:
	v_dual_mov_b32 v2, v24 :: v_dual_mov_b32 v3, v14
	global_store_b64 v1, v[2:3], s[18:19] scale_offset
.LBB52_128:
	s_wait_xcnt 0x0
	s_or_b32 exec_lo, exec_lo, s4
	v_cmp_gt_i32_e32 vcc_lo, s22, v80
	s_and_b32 exec_lo, exec_lo, vcc_lo
	s_cbranch_execz .LBB52_163
; %bb.129:
	v_cndmask_b32_e64 v1, 0, 1, s3
	v_mov_b32_e32 v0, 1.0
	s_and_not1_b32 vcc_lo, exec_lo, s3
	s_cbranch_vccnz .LBB52_131
; %bb.130:
	v_div_scale_f32 v0, null, v15, v15, 1.0
	s_delay_alu instid0(VALU_DEP_1) | instskip(SKIP_1) | instid1(TRANS32_DEP_1)
	v_rcp_f32_e32 v2, v0
	v_nop
	v_fma_f32 v3, -v0, v2, 1.0
	s_delay_alu instid0(VALU_DEP_1) | instskip(SKIP_1) | instid1(VALU_DEP_1)
	v_fmac_f32_e32 v2, v3, v2
	v_div_scale_f32 v3, vcc_lo, 1.0, v15, 1.0
	v_mul_f32_e32 v4, v3, v2
	s_delay_alu instid0(VALU_DEP_1) | instskip(NEXT) | instid1(VALU_DEP_1)
	v_fma_f32 v5, -v0, v4, v3
	v_fmac_f32_e32 v4, v5, v2
	s_delay_alu instid0(VALU_DEP_1) | instskip(NEXT) | instid1(VALU_DEP_1)
	v_fma_f32 v0, -v0, v4, v3
	v_div_fmas_f32 v0, v0, v2, v4
	s_delay_alu instid0(VALU_DEP_1)
	v_div_fixup_f32 v0, v0, v15, 1.0
.LBB52_131:
	v_dual_mov_b32 v7, 0 :: v_dual_add_nc_u32 v2, s1, v76
	v_dual_lshrrev_b32 v3, 16, v108 :: v_dual_lshrrev_b32 v14, 16, v109
	v_cvt_f32_f16_e32 v4, v108
	s_delay_alu instid0(VALU_DEP_3) | instskip(SKIP_1) | instid1(VALU_DEP_4)
	v_mad_u32 v2, v2, s23, s33
	v_cvt_f32_f16_e32 v16, v109
	v_cvt_f32_f16_e32 v5, v3
	;; [unrolled: 1-line block ×3, first 2 shown]
	s_delay_alu instid0(VALU_DEP_2) | instskip(SKIP_1) | instid1(VALU_DEP_1)
	v_pk_mul_f32 v[4:5], v[0:1], v[4:5] op_sel_hi:[0,1]
	v_mad_u32 v2, s0, v2, s20
	v_lshl_add_u32 v6, v2, 7, v77
	s_delay_alu instid0(VALU_DEP_1)
	v_lshl_add_u64 v[18:19], v[6:7], 2, s[16:17]
	v_pk_mul_f32 v[6:7], v[0:1], v[16:17] op_sel_hi:[0,1]
	global_store_b128 v[18:19], v[4:7], off
	s_wait_xcnt 0x0
	s_and_saveexec_b32 s3, s2
	s_cbranch_execz .LBB52_133
; %bb.132:
	v_mov_b32_e32 v14, v25
	global_store_b64 v2, v[14:15], s[18:19] scale_offset
.LBB52_133:
	s_wait_xcnt 0x0
	s_or_b32 exec_lo, exec_lo, s3
	v_cmp_gt_i32_e32 vcc_lo, s22, v79
	s_and_b32 exec_lo, exec_lo, vcc_lo
	s_cbranch_execz .LBB52_163
; %bb.134:
	v_cmp_ne_u32_e32 vcc_lo, 1, v1
	v_mov_b32_e32 v0, 1.0
	s_cbranch_vccnz .LBB52_136
; %bb.135:
	v_div_scale_f32 v0, null, v12, v12, 1.0
	s_delay_alu instid0(VALU_DEP_1) | instskip(SKIP_1) | instid1(TRANS32_DEP_1)
	v_rcp_f32_e32 v2, v0
	v_nop
	v_fma_f32 v3, -v0, v2, 1.0
	s_delay_alu instid0(VALU_DEP_1) | instskip(SKIP_1) | instid1(VALU_DEP_1)
	v_fmac_f32_e32 v2, v3, v2
	v_div_scale_f32 v3, vcc_lo, 1.0, v12, 1.0
	v_mul_f32_e32 v4, v3, v2
	s_delay_alu instid0(VALU_DEP_1) | instskip(NEXT) | instid1(VALU_DEP_1)
	v_fma_f32 v5, -v0, v4, v3
	v_fmac_f32_e32 v4, v5, v2
	s_delay_alu instid0(VALU_DEP_1) | instskip(NEXT) | instid1(VALU_DEP_1)
	v_fma_f32 v0, -v0, v4, v3
	v_div_fmas_f32 v0, v0, v2, v4
	s_delay_alu instid0(VALU_DEP_1)
	v_div_fixup_f32 v0, v0, v12, 1.0
.LBB52_136:
	v_dual_mov_b32 v7, 0 :: v_dual_add_nc_u32 v2, s1, v74
	v_dual_lshrrev_b32 v3, 16, v98 :: v_dual_lshrrev_b32 v15, 16, v97
	v_cvt_f32_f16_e32 v4, v98
	s_delay_alu instid0(VALU_DEP_3) | instskip(SKIP_1) | instid1(VALU_DEP_4)
	v_mad_u32 v2, v2, s23, s33
	v_cvt_f32_f16_e32 v14, v97
	v_cvt_f32_f16_e32 v5, v3
	;; [unrolled: 1-line block ×3, first 2 shown]
	s_delay_alu instid0(VALU_DEP_2) | instskip(SKIP_1) | instid1(VALU_DEP_1)
	v_pk_mul_f32 v[4:5], v[0:1], v[4:5] op_sel_hi:[0,1]
	v_mad_u32 v2, s0, v2, s20
	v_lshl_add_u32 v6, v2, 7, v77
	s_delay_alu instid0(VALU_DEP_1)
	v_lshl_add_u64 v[16:17], v[6:7], 2, s[16:17]
	v_pk_mul_f32 v[6:7], v[0:1], v[14:15] op_sel_hi:[0,1]
	global_store_b128 v[16:17], v[4:7], off
	s_wait_xcnt 0x0
	s_and_saveexec_b32 s3, s2
	s_cbranch_execz .LBB52_138
; %bb.137:
	v_dual_mov_b32 v4, v26 :: v_dual_mov_b32 v5, v12
	global_store_b64 v2, v[4:5], s[18:19] scale_offset
.LBB52_138:
	s_wait_xcnt 0x0
	s_or_b32 exec_lo, exec_lo, s3
	v_cmp_gt_i32_e32 vcc_lo, s22, v75
	s_and_b32 exec_lo, exec_lo, vcc_lo
	s_cbranch_execz .LBB52_163
; %bb.139:
	v_cmp_ne_u32_e32 vcc_lo, 1, v1
	v_mov_b32_e32 v0, 1.0
	s_cbranch_vccnz .LBB52_141
; %bb.140:
	v_div_scale_f32 v0, null, v13, v13, 1.0
	s_delay_alu instid0(VALU_DEP_1) | instskip(SKIP_1) | instid1(TRANS32_DEP_1)
	v_rcp_f32_e32 v2, v0
	v_nop
	v_fma_f32 v3, -v0, v2, 1.0
	s_delay_alu instid0(VALU_DEP_1) | instskip(SKIP_1) | instid1(VALU_DEP_1)
	v_fmac_f32_e32 v2, v3, v2
	v_div_scale_f32 v3, vcc_lo, 1.0, v13, 1.0
	v_mul_f32_e32 v4, v3, v2
	s_delay_alu instid0(VALU_DEP_1) | instskip(NEXT) | instid1(VALU_DEP_1)
	v_fma_f32 v5, -v0, v4, v3
	v_fmac_f32_e32 v4, v5, v2
	s_delay_alu instid0(VALU_DEP_1) | instskip(NEXT) | instid1(VALU_DEP_1)
	v_fma_f32 v0, -v0, v4, v3
	v_div_fmas_f32 v0, v0, v2, v4
	s_delay_alu instid0(VALU_DEP_1)
	v_div_fixup_f32 v0, v0, v13, 1.0
.LBB52_141:
	v_dual_add_nc_u32 v2, s1, v72 :: v_dual_lshrrev_b32 v3, 16, v95
	v_dual_mov_b32 v7, 0 :: v_dual_lshrrev_b32 v12, 16, v96
	v_cvt_f32_f16_e32 v4, v95
	s_delay_alu instid0(VALU_DEP_3) | instskip(SKIP_3) | instid1(VALU_DEP_2)
	v_mad_u32 v2, v2, s23, s33
	v_cvt_f32_f16_e32 v14, v96
	v_cvt_f32_f16_e32 v5, v3
	;; [unrolled: 1-line block ×3, first 2 shown]
	v_pk_mul_f32 v[4:5], v[0:1], v[4:5] op_sel_hi:[0,1]
	v_mad_u32 v2, s0, v2, s20
	s_delay_alu instid0(VALU_DEP_1) | instskip(NEXT) | instid1(VALU_DEP_1)
	v_lshl_add_u32 v6, v2, 7, v77
	v_lshl_add_u64 v[16:17], v[6:7], 2, s[16:17]
	v_pk_mul_f32 v[6:7], v[0:1], v[14:15] op_sel_hi:[0,1]
	global_store_b128 v[16:17], v[4:7], off
	s_wait_xcnt 0x0
	s_and_saveexec_b32 s3, s2
	s_cbranch_execz .LBB52_143
; %bb.142:
	v_mov_b32_e32 v12, v27
	global_store_b64 v2, v[12:13], s[18:19] scale_offset
.LBB52_143:
	s_wait_xcnt 0x0
	s_or_b32 exec_lo, exec_lo, s3
	v_cmp_gt_i32_e32 vcc_lo, s22, v73
	s_and_b32 exec_lo, exec_lo, vcc_lo
	s_cbranch_execz .LBB52_163
; %bb.144:
	v_cmp_ne_u32_e32 vcc_lo, 1, v1
	v_mov_b32_e32 v0, 1.0
	s_cbranch_vccnz .LBB52_146
; %bb.145:
	v_div_scale_f32 v0, null, v10, v10, 1.0
	s_delay_alu instid0(VALU_DEP_1) | instskip(SKIP_1) | instid1(TRANS32_DEP_1)
	v_rcp_f32_e32 v2, v0
	v_nop
	v_fma_f32 v3, -v0, v2, 1.0
	s_delay_alu instid0(VALU_DEP_1) | instskip(SKIP_1) | instid1(VALU_DEP_1)
	v_fmac_f32_e32 v2, v3, v2
	v_div_scale_f32 v3, vcc_lo, 1.0, v10, 1.0
	v_mul_f32_e32 v4, v3, v2
	s_delay_alu instid0(VALU_DEP_1) | instskip(NEXT) | instid1(VALU_DEP_1)
	v_fma_f32 v5, -v0, v4, v3
	v_fmac_f32_e32 v4, v5, v2
	s_delay_alu instid0(VALU_DEP_1) | instskip(NEXT) | instid1(VALU_DEP_1)
	v_fma_f32 v0, -v0, v4, v3
	v_div_fmas_f32 v0, v0, v2, v4
	s_delay_alu instid0(VALU_DEP_1)
	v_div_fixup_f32 v0, v0, v10, 1.0
.LBB52_146:
	v_dual_add_nc_u32 v2, s1, v70 :: v_dual_lshrrev_b32 v3, 16, v93
	v_dual_mov_b32 v7, 0 :: v_dual_lshrrev_b32 v13, 16, v94
	v_cvt_f32_f16_e32 v4, v93
	s_delay_alu instid0(VALU_DEP_3) | instskip(SKIP_3) | instid1(VALU_DEP_2)
	v_mad_u32 v2, v2, s23, s33
	v_cvt_f32_f16_e32 v12, v94
	v_cvt_f32_f16_e32 v5, v3
	;; [unrolled: 1-line block ×3, first 2 shown]
	v_pk_mul_f32 v[4:5], v[0:1], v[4:5] op_sel_hi:[0,1]
	v_mad_u32 v2, s0, v2, s20
	s_delay_alu instid0(VALU_DEP_1) | instskip(NEXT) | instid1(VALU_DEP_1)
	v_lshl_add_u32 v6, v2, 7, v77
	v_lshl_add_u64 v[14:15], v[6:7], 2, s[16:17]
	v_pk_mul_f32 v[6:7], v[0:1], v[12:13] op_sel_hi:[0,1]
	global_store_b128 v[14:15], v[4:7], off
	s_wait_xcnt 0x0
	s_and_saveexec_b32 s3, s2
	s_cbranch_execz .LBB52_148
; %bb.147:
	v_dual_mov_b32 v4, v28 :: v_dual_mov_b32 v5, v10
	global_store_b64 v2, v[4:5], s[18:19] scale_offset
.LBB52_148:
	s_wait_xcnt 0x0
	s_or_b32 exec_lo, exec_lo, s3
	v_cmp_gt_i32_e32 vcc_lo, s22, v69
	s_and_b32 exec_lo, exec_lo, vcc_lo
	s_cbranch_execz .LBB52_163
; %bb.149:
	v_cmp_ne_u32_e32 vcc_lo, 1, v1
	v_mov_b32_e32 v0, 1.0
	s_cbranch_vccnz .LBB52_151
; %bb.150:
	v_div_scale_f32 v0, null, v11, v11, 1.0
	s_delay_alu instid0(VALU_DEP_1) | instskip(SKIP_1) | instid1(TRANS32_DEP_1)
	v_rcp_f32_e32 v2, v0
	v_nop
	v_fma_f32 v3, -v0, v2, 1.0
	s_delay_alu instid0(VALU_DEP_1) | instskip(SKIP_1) | instid1(VALU_DEP_1)
	v_fmac_f32_e32 v2, v3, v2
	v_div_scale_f32 v3, vcc_lo, 1.0, v11, 1.0
	v_mul_f32_e32 v4, v3, v2
	s_delay_alu instid0(VALU_DEP_1) | instskip(NEXT) | instid1(VALU_DEP_1)
	v_fma_f32 v5, -v0, v4, v3
	v_fmac_f32_e32 v4, v5, v2
	s_delay_alu instid0(VALU_DEP_1) | instskip(NEXT) | instid1(VALU_DEP_1)
	v_fma_f32 v0, -v0, v4, v3
	v_div_fmas_f32 v0, v0, v2, v4
	s_delay_alu instid0(VALU_DEP_1)
	v_div_fixup_f32 v0, v0, v11, 1.0
.LBB52_151:
	v_dual_mov_b32 v7, 0 :: v_dual_add_nc_u32 v2, s1, v67
	v_dual_lshrrev_b32 v3, 16, v91 :: v_dual_lshrrev_b32 v10, 16, v92
	v_cvt_f32_f16_e32 v4, v91
	s_delay_alu instid0(VALU_DEP_3) | instskip(SKIP_1) | instid1(VALU_DEP_4)
	v_mad_u32 v2, v2, s23, s33
	v_cvt_f32_f16_e32 v12, v92
	v_cvt_f32_f16_e32 v5, v3
	;; [unrolled: 1-line block ×3, first 2 shown]
	s_delay_alu instid0(VALU_DEP_2) | instskip(SKIP_1) | instid1(VALU_DEP_1)
	v_pk_mul_f32 v[4:5], v[0:1], v[4:5] op_sel_hi:[0,1]
	v_mad_u32 v2, s0, v2, s20
	v_lshl_add_u32 v6, v2, 7, v77
	s_delay_alu instid0(VALU_DEP_1)
	v_lshl_add_u64 v[14:15], v[6:7], 2, s[16:17]
	v_pk_mul_f32 v[6:7], v[0:1], v[12:13] op_sel_hi:[0,1]
	global_store_b128 v[14:15], v[4:7], off
	s_wait_xcnt 0x0
	s_and_saveexec_b32 s3, s2
	s_cbranch_execz .LBB52_153
; %bb.152:
	v_mov_b32_e32 v10, v29
	global_store_b64 v2, v[10:11], s[18:19] scale_offset
.LBB52_153:
	s_wait_xcnt 0x0
	s_or_b32 exec_lo, exec_lo, s3
	v_cmp_gt_i32_e32 vcc_lo, s22, v71
	s_and_b32 exec_lo, exec_lo, vcc_lo
	s_cbranch_execz .LBB52_163
; %bb.154:
	v_cmp_ne_u32_e32 vcc_lo, 1, v1
	v_mov_b32_e32 v0, 1.0
	s_cbranch_vccnz .LBB52_156
; %bb.155:
	v_div_scale_f32 v0, null, v8, v8, 1.0
	s_delay_alu instid0(VALU_DEP_1) | instskip(SKIP_1) | instid1(TRANS32_DEP_1)
	v_rcp_f32_e32 v2, v0
	v_nop
	v_fma_f32 v3, -v0, v2, 1.0
	s_delay_alu instid0(VALU_DEP_1) | instskip(SKIP_1) | instid1(VALU_DEP_1)
	v_fmac_f32_e32 v2, v3, v2
	v_div_scale_f32 v3, vcc_lo, 1.0, v8, 1.0
	v_mul_f32_e32 v4, v3, v2
	s_delay_alu instid0(VALU_DEP_1) | instskip(NEXT) | instid1(VALU_DEP_1)
	v_fma_f32 v5, -v0, v4, v3
	v_fmac_f32_e32 v4, v5, v2
	s_delay_alu instid0(VALU_DEP_1) | instskip(NEXT) | instid1(VALU_DEP_1)
	v_fma_f32 v0, -v0, v4, v3
	v_div_fmas_f32 v0, v0, v2, v4
	s_delay_alu instid0(VALU_DEP_1)
	v_div_fixup_f32 v0, v0, v8, 1.0
.LBB52_156:
	v_dual_add_nc_u32 v2, s1, v68 :: v_dual_lshrrev_b32 v3, 16, v89
	v_dual_mov_b32 v7, 0 :: v_dual_lshrrev_b32 v11, 16, v90
	v_cvt_f32_f16_e32 v4, v89
	s_delay_alu instid0(VALU_DEP_3) | instskip(SKIP_3) | instid1(VALU_DEP_2)
	v_mad_u32 v2, v2, s23, s33
	v_cvt_f32_f16_e32 v10, v90
	v_cvt_f32_f16_e32 v5, v3
	;; [unrolled: 1-line block ×3, first 2 shown]
	v_pk_mul_f32 v[4:5], v[0:1], v[4:5] op_sel_hi:[0,1]
	v_mad_u32 v2, s0, v2, s20
	s_delay_alu instid0(VALU_DEP_1) | instskip(NEXT) | instid1(VALU_DEP_1)
	v_lshl_add_u32 v6, v2, 7, v77
	v_lshl_add_u64 v[12:13], v[6:7], 2, s[16:17]
	v_pk_mul_f32 v[6:7], v[0:1], v[10:11] op_sel_hi:[0,1]
	global_store_b128 v[12:13], v[4:7], off
	s_wait_xcnt 0x0
	s_and_saveexec_b32 s3, s2
	s_cbranch_execz .LBB52_158
; %bb.157:
	v_dual_mov_b32 v4, v30 :: v_dual_mov_b32 v5, v8
	global_store_b64 v2, v[4:5], s[18:19] scale_offset
.LBB52_158:
	s_wait_xcnt 0x0
	s_or_b32 exec_lo, exec_lo, s3
	v_cmp_gt_i32_e32 vcc_lo, s22, v66
	s_and_b32 exec_lo, exec_lo, vcc_lo
	s_cbranch_execz .LBB52_163
; %bb.159:
	v_cmp_ne_u32_e32 vcc_lo, 1, v1
	v_mov_b32_e32 v0, 1.0
	s_cbranch_vccnz .LBB52_161
; %bb.160:
	v_div_scale_f32 v0, null, v9, v9, 1.0
	s_delay_alu instid0(VALU_DEP_1) | instskip(SKIP_1) | instid1(TRANS32_DEP_1)
	v_rcp_f32_e32 v1, v0
	v_nop
	v_fma_f32 v2, -v0, v1, 1.0
	s_delay_alu instid0(VALU_DEP_1) | instskip(SKIP_1) | instid1(VALU_DEP_1)
	v_fmac_f32_e32 v1, v2, v1
	v_div_scale_f32 v2, vcc_lo, 1.0, v9, 1.0
	v_mul_f32_e32 v3, v2, v1
	s_delay_alu instid0(VALU_DEP_1) | instskip(NEXT) | instid1(VALU_DEP_1)
	v_fma_f32 v4, -v0, v3, v2
	v_fmac_f32_e32 v3, v4, v1
	s_delay_alu instid0(VALU_DEP_1) | instskip(NEXT) | instid1(VALU_DEP_1)
	v_fma_f32 v0, -v0, v3, v2
	v_div_fmas_f32 v0, v0, v1, v3
	s_delay_alu instid0(VALU_DEP_1)
	v_div_fixup_f32 v0, v0, v9, 1.0
.LBB52_161:
	v_dual_add_nc_u32 v1, s1, v43 :: v_dual_mov_b32 v5, 0
	v_dual_lshrrev_b32 v3, 16, v87 :: v_dual_lshrrev_b32 v7, 16, v88
	v_cvt_f32_f16_e32 v2, v87
	s_delay_alu instid0(VALU_DEP_3) | instskip(SKIP_1) | instid1(VALU_DEP_4)
	v_mad_u32 v1, v1, s23, s33
	v_cvt_f32_f16_e32 v6, v88
	v_cvt_f32_f16_e32 v3, v3
	;; [unrolled: 1-line block ×3, first 2 shown]
	s_delay_alu instid0(VALU_DEP_4) | instskip(NEXT) | instid1(VALU_DEP_1)
	v_mad_u32 v1, s0, v1, s20
	v_lshl_add_u32 v4, v1, 7, v77
	s_delay_alu instid0(VALU_DEP_4) | instskip(NEXT) | instid1(VALU_DEP_2)
	v_pk_mul_f32 v[2:3], v[0:1], v[2:3] op_sel_hi:[0,1]
	v_lshl_add_u64 v[10:11], v[4:5], 2, s[16:17]
	v_pk_mul_f32 v[4:5], v[0:1], v[6:7] op_sel_hi:[0,1]
	global_store_b128 v[10:11], v[2:5], off
	s_wait_xcnt 0x0
	s_and_b32 exec_lo, exec_lo, s2
	s_cbranch_execz .LBB52_163
; %bb.162:
	v_mov_b32_e32 v8, v31
	global_store_b64 v1, v[8:9], s[18:19] scale_offset
.LBB52_163:
	s_sendmsg sendmsg(MSG_DEALLOC_VGPRS)
	s_endpgm
	.section	.rodata,"a",@progbits
	.p2align	6, 0x0
	.amdhsa_kernel _ZL15flash_attn_tileILi128ELi128ELi64ELi1ELb0EEvPKcS1_S1_S1_S1_PKiPfP15HIP_vector_typeIfLj2EEffffjfiS5_IjLj3EEiiiiiiiiiiiliiliiiiil
		.amdhsa_group_segment_fixed_size 33792
		.amdhsa_private_segment_fixed_size 32
		.amdhsa_kernarg_size 464
		.amdhsa_user_sgpr_count 2
		.amdhsa_user_sgpr_dispatch_ptr 0
		.amdhsa_user_sgpr_queue_ptr 0
		.amdhsa_user_sgpr_kernarg_segment_ptr 1
		.amdhsa_user_sgpr_dispatch_id 0
		.amdhsa_user_sgpr_kernarg_preload_length 0
		.amdhsa_user_sgpr_kernarg_preload_offset 0
		.amdhsa_user_sgpr_private_segment_size 0
		.amdhsa_wavefront_size32 1
		.amdhsa_uses_dynamic_stack 0
		.amdhsa_enable_private_segment 1
		.amdhsa_system_sgpr_workgroup_id_x 1
		.amdhsa_system_sgpr_workgroup_id_y 1
		.amdhsa_system_sgpr_workgroup_id_z 1
		.amdhsa_system_sgpr_workgroup_info 0
		.amdhsa_system_vgpr_workitem_id 1
		.amdhsa_next_free_vgpr 162
		.amdhsa_next_free_sgpr 46
		.amdhsa_named_barrier_count 0
		.amdhsa_reserve_vcc 1
		.amdhsa_float_round_mode_32 0
		.amdhsa_float_round_mode_16_64 0
		.amdhsa_float_denorm_mode_32 3
		.amdhsa_float_denorm_mode_16_64 3
		.amdhsa_fp16_overflow 0
		.amdhsa_memory_ordered 1
		.amdhsa_forward_progress 1
		.amdhsa_inst_pref_size 255
		.amdhsa_round_robin_scheduling 0
		.amdhsa_exception_fp_ieee_invalid_op 0
		.amdhsa_exception_fp_denorm_src 0
		.amdhsa_exception_fp_ieee_div_zero 0
		.amdhsa_exception_fp_ieee_overflow 0
		.amdhsa_exception_fp_ieee_underflow 0
		.amdhsa_exception_fp_ieee_inexact 0
		.amdhsa_exception_int_div_zero 0
	.end_amdhsa_kernel
	.section	.text._ZL15flash_attn_tileILi128ELi128ELi64ELi1ELb0EEvPKcS1_S1_S1_S1_PKiPfP15HIP_vector_typeIfLj2EEffffjfiS5_IjLj3EEiiiiiiiiiiiliiliiiiil,"axG",@progbits,_ZL15flash_attn_tileILi128ELi128ELi64ELi1ELb0EEvPKcS1_S1_S1_S1_PKiPfP15HIP_vector_typeIfLj2EEffffjfiS5_IjLj3EEiiiiiiiiiiiliiliiiiil,comdat
.Lfunc_end52:
	.size	_ZL15flash_attn_tileILi128ELi128ELi64ELi1ELb0EEvPKcS1_S1_S1_S1_PKiPfP15HIP_vector_typeIfLj2EEffffjfiS5_IjLj3EEiiiiiiiiiiiliiliiiiil, .Lfunc_end52-_ZL15flash_attn_tileILi128ELi128ELi64ELi1ELb0EEvPKcS1_S1_S1_S1_PKiPfP15HIP_vector_typeIfLj2EEffffjfiS5_IjLj3EEiiiiiiiiiiiliiliiiiil
                                        ; -- End function
	.set _ZL15flash_attn_tileILi128ELi128ELi64ELi1ELb0EEvPKcS1_S1_S1_S1_PKiPfP15HIP_vector_typeIfLj2EEffffjfiS5_IjLj3EEiiiiiiiiiiiliiliiiiil.num_vgpr, 162
	.set _ZL15flash_attn_tileILi128ELi128ELi64ELi1ELb0EEvPKcS1_S1_S1_S1_PKiPfP15HIP_vector_typeIfLj2EEffffjfiS5_IjLj3EEiiiiiiiiiiiliiliiiiil.num_agpr, 0
	.set _ZL15flash_attn_tileILi128ELi128ELi64ELi1ELb0EEvPKcS1_S1_S1_S1_PKiPfP15HIP_vector_typeIfLj2EEffffjfiS5_IjLj3EEiiiiiiiiiiiliiliiiiil.numbered_sgpr, 46
	.set _ZL15flash_attn_tileILi128ELi128ELi64ELi1ELb0EEvPKcS1_S1_S1_S1_PKiPfP15HIP_vector_typeIfLj2EEffffjfiS5_IjLj3EEiiiiiiiiiiiliiliiiiil.num_named_barrier, 0
	.set _ZL15flash_attn_tileILi128ELi128ELi64ELi1ELb0EEvPKcS1_S1_S1_S1_PKiPfP15HIP_vector_typeIfLj2EEffffjfiS5_IjLj3EEiiiiiiiiiiiliiliiiiil.private_seg_size, 32
	.set _ZL15flash_attn_tileILi128ELi128ELi64ELi1ELb0EEvPKcS1_S1_S1_S1_PKiPfP15HIP_vector_typeIfLj2EEffffjfiS5_IjLj3EEiiiiiiiiiiiliiliiiiil.uses_vcc, 1
	.set _ZL15flash_attn_tileILi128ELi128ELi64ELi1ELb0EEvPKcS1_S1_S1_S1_PKiPfP15HIP_vector_typeIfLj2EEffffjfiS5_IjLj3EEiiiiiiiiiiiliiliiiiil.uses_flat_scratch, 1
	.set _ZL15flash_attn_tileILi128ELi128ELi64ELi1ELb0EEvPKcS1_S1_S1_S1_PKiPfP15HIP_vector_typeIfLj2EEffffjfiS5_IjLj3EEiiiiiiiiiiiliiliiiiil.has_dyn_sized_stack, 0
	.set _ZL15flash_attn_tileILi128ELi128ELi64ELi1ELb0EEvPKcS1_S1_S1_S1_PKiPfP15HIP_vector_typeIfLj2EEffffjfiS5_IjLj3EEiiiiiiiiiiiliiliiiiil.has_recursion, 0
	.set _ZL15flash_attn_tileILi128ELi128ELi64ELi1ELb0EEvPKcS1_S1_S1_S1_PKiPfP15HIP_vector_typeIfLj2EEffffjfiS5_IjLj3EEiiiiiiiiiiiliiliiiiil.has_indirect_call, 0
	.section	.AMDGPU.csdata,"",@progbits
; Kernel info:
; codeLenInByte = 60548
; TotalNumSgprs: 48
; NumVgprs: 162
; ScratchSize: 32
; MemoryBound: 0
; FloatMode: 240
; IeeeMode: 1
; LDSByteSize: 33792 bytes/workgroup (compile time only)
; SGPRBlocks: 0
; VGPRBlocks: 10
; NumSGPRsForWavesPerEU: 48
; NumVGPRsForWavesPerEU: 162
; NamedBarCnt: 0
; Occupancy: 5
; WaveLimiterHint : 0
; COMPUTE_PGM_RSRC2:SCRATCH_EN: 1
; COMPUTE_PGM_RSRC2:USER_SGPR: 2
; COMPUTE_PGM_RSRC2:TRAP_HANDLER: 0
; COMPUTE_PGM_RSRC2:TGID_X_EN: 1
; COMPUTE_PGM_RSRC2:TGID_Y_EN: 1
; COMPUTE_PGM_RSRC2:TGID_Z_EN: 1
; COMPUTE_PGM_RSRC2:TIDIG_COMP_CNT: 1
	.section	.text._ZL25flash_attn_mask_to_KV_maxILi64EEvPK7__half2Piiii,"axG",@progbits,_ZL25flash_attn_mask_to_KV_maxILi64EEvPK7__half2Piiii,comdat
	.globl	_ZL25flash_attn_mask_to_KV_maxILi64EEvPK7__half2Piiii ; -- Begin function _ZL25flash_attn_mask_to_KV_maxILi64EEvPK7__half2Piiii
	.p2align	8
	.type	_ZL25flash_attn_mask_to_KV_maxILi64EEvPK7__half2Piiii,@function
_ZL25flash_attn_mask_to_KV_maxILi64EEvPK7__half2Piiii: ; @_ZL25flash_attn_mask_to_KV_maxILi64EEvPK7__half2Piiii
; %bb.0:
	s_load_b128 s[4:7], s[0:1], 0x0
	s_mov_b32 s2, exec_lo
	v_cmpx_gt_u32_e32 32, v0
; %bb.1:
	v_dual_mov_b32 v2, 1 :: v_dual_lshlrev_b32 v1, 2, v0
	ds_store_b32 v1, v2
; %bb.2:
	s_or_b32 exec_lo, exec_lo, s2
	s_clause 0x1
	s_load_b96 s[8:10], s[0:1], 0x10
	s_load_b32 s11, s[0:1], 0x20
	s_wait_xcnt 0x0
	s_bfe_u32 s1, ttmp6, 0x4000c
	s_bfe_u32 s2, ttmp6, 0x40010
	s_add_co_i32 s1, s1, 1
	s_add_co_i32 s2, s2, 1
	s_and_b32 s0, ttmp6, 15
	s_bfe_u32 s3, ttmp6, 0x40004
	s_mul_i32 s1, ttmp9, s1
	s_mul_i32 s2, ttmp7, s2
	s_getreg_b32 s12, hwreg(HW_REG_IB_STS2, 6, 4)
	s_add_co_i32 s0, s0, s1
	s_add_co_i32 s3, s3, s2
	s_cmp_eq_u32 s12, 0
	v_dual_lshrrev_b32 v1, 3, v0 :: v_dual_bitop2_b32 v2, 31, v0 bitop3:0x40
	s_cselect_b32 s1, ttmp9, s0
	s_cselect_b32 s12, ttmp7, s3
	s_wait_dscnt 0x0
	s_barrier_signal -1
	s_wait_kmcnt 0x0
	s_mul_i32 s0, s1, s9
	s_mul_i32 s2, s10, s12
	s_lshl_b32 s0, s0, 6
	s_barrier_wait -1
	s_add_co_i32 s2, s2, s0
	v_cmp_eq_u32_e64 s0, 0, v2
	s_ashr_i32 s3, s2, 31
	v_lshlrev_b32_e32 v2, 2, v2
	s_lshl_b64 s[2:3], s[2:3], 2
	s_delay_alu instid0(SALU_CYCLE_1)
	s_add_nc_u64 s[2:3], s[4:5], s[2:3]
	s_lshl_b32 s5, s8, 8
	s_branch .LBB53_4
.LBB53_3:                               ;   in Loop: Header=BB53_4 Depth=1
	s_or_b32 exec_lo, exec_lo, s8
	s_wait_dscnt 0x0
	s_barrier_signal -1
	s_barrier_wait -1
	ds_load_b32 v3, v2
	s_wait_dscnt 0x0
	s_barrier_signal -1
	s_barrier_wait -1
	v_cmp_ne_u32_e32 vcc_lo, 0, v3
	s_cmp_lg_u32 vcc_lo, exec_lo
	s_cselect_b32 s8, -1, 0
	s_delay_alu instid0(SALU_CYCLE_1)
	s_and_b32 vcc_lo, exec_lo, s8
	s_cbranch_vccnz .LBB53_260
.LBB53_4:                               ; =>This Inner Loop Header: Depth=1
	s_mov_b32 s4, s5
	s_addk_co_i32 s5, 0xff00
	s_delay_alu instid0(SALU_CYCLE_1)
	s_cmp_lt_i32 s5, 0
	s_cbranch_scc1 .LBB53_259
; %bb.5:                                ;   in Loop: Header=BB53_4 Depth=1
	s_lshr_b32 s8, s5, 1
	s_delay_alu instid0(SALU_CYCLE_1) | instskip(SKIP_4) | instid1(VALU_DEP_2)
	v_add_nc_u32_e32 v3, s8, v0
	global_load_b32 v4, v3, s[2:3] scale_offset
	s_wait_loadcnt 0x0
	v_lshrrev_b32_e32 v5, 16, v4
	v_cmp_class_f16_e64 s8, v4, 0x204
	v_cmp_class_f16_e64 s10, v5, 0x204
	s_and_b32 s13, s8, s10
	s_mov_b32 s10, 0
	s_and_saveexec_b32 s8, s13
	s_cbranch_execz .LBB53_257
; %bb.6:                                ;   in Loop: Header=BB53_4 Depth=1
	v_add_nc_u32_e32 v3, s9, v3
	s_mov_b32 s13, 0
	global_load_b32 v4, v3, s[2:3] scale_offset
	s_wait_loadcnt 0x0
	v_cmp_class_f16_e64 s14, v4, 0x204
	s_and_saveexec_b32 s10, s14
	s_cbranch_execz .LBB53_256
; %bb.7:                                ;   in Loop: Header=BB53_4 Depth=1
	v_lshrrev_b32_e32 v4, 16, v4
	s_mov_b32 s14, 0
	s_delay_alu instid0(VALU_DEP_1)
	v_cmp_class_f16_e64 s15, v4, 0x204
	s_and_saveexec_b32 s13, s15
	s_cbranch_execz .LBB53_255
; %bb.8:                                ;   in Loop: Header=BB53_4 Depth=1
	v_add_nc_u32_e32 v3, s9, v3
	s_mov_b32 s15, 0
	global_load_b32 v4, v3, s[2:3] scale_offset
	s_wait_loadcnt 0x0
	v_cmp_class_f16_e64 s16, v4, 0x204
	s_and_saveexec_b32 s14, s16
	s_cbranch_execz .LBB53_254
; %bb.9:                                ;   in Loop: Header=BB53_4 Depth=1
	v_lshrrev_b32_e32 v4, 16, v4
	s_mov_b32 s16, 0
	s_delay_alu instid0(VALU_DEP_1)
	v_cmp_class_f16_e64 s17, v4, 0x204
	s_and_saveexec_b32 s15, s17
	s_cbranch_execz .LBB53_253
; %bb.10:                               ;   in Loop: Header=BB53_4 Depth=1
	v_add_nc_u32_e32 v3, s9, v3
	s_mov_b32 s17, 0
	global_load_b32 v4, v3, s[2:3] scale_offset
	s_wait_loadcnt 0x0
	v_cmp_class_f16_e64 s18, v4, 0x204
	s_and_saveexec_b32 s16, s18
	s_cbranch_execz .LBB53_252
; %bb.11:                               ;   in Loop: Header=BB53_4 Depth=1
	v_lshrrev_b32_e32 v4, 16, v4
	s_mov_b32 s18, 0
	s_delay_alu instid0(VALU_DEP_1)
	v_cmp_class_f16_e64 s19, v4, 0x204
	s_and_saveexec_b32 s17, s19
	s_cbranch_execz .LBB53_251
; %bb.12:                               ;   in Loop: Header=BB53_4 Depth=1
	v_add_nc_u32_e32 v3, s9, v3
	s_mov_b32 s19, 0
	global_load_b32 v4, v3, s[2:3] scale_offset
	s_wait_loadcnt 0x0
	v_cmp_class_f16_e64 s20, v4, 0x204
	s_and_saveexec_b32 s18, s20
	s_cbranch_execz .LBB53_250
; %bb.13:                               ;   in Loop: Header=BB53_4 Depth=1
	v_lshrrev_b32_e32 v4, 16, v4
	s_mov_b32 s20, 0
	s_delay_alu instid0(VALU_DEP_1)
	v_cmp_class_f16_e64 s21, v4, 0x204
	s_and_saveexec_b32 s19, s21
	s_cbranch_execz .LBB53_249
; %bb.14:                               ;   in Loop: Header=BB53_4 Depth=1
	v_add_nc_u32_e32 v3, s9, v3
	s_mov_b32 s21, 0
	global_load_b32 v4, v3, s[2:3] scale_offset
	s_wait_loadcnt 0x0
	v_cmp_class_f16_e64 s22, v4, 0x204
	s_and_saveexec_b32 s20, s22
	s_cbranch_execz .LBB53_248
; %bb.15:                               ;   in Loop: Header=BB53_4 Depth=1
	v_lshrrev_b32_e32 v4, 16, v4
	s_mov_b32 s22, 0
	s_delay_alu instid0(VALU_DEP_1)
	v_cmp_class_f16_e64 s23, v4, 0x204
	s_and_saveexec_b32 s21, s23
	s_cbranch_execz .LBB53_247
; %bb.16:                               ;   in Loop: Header=BB53_4 Depth=1
	v_add_nc_u32_e32 v3, s9, v3
	s_mov_b32 s23, 0
	global_load_b32 v4, v3, s[2:3] scale_offset
	s_wait_loadcnt 0x0
	v_cmp_class_f16_e64 s24, v4, 0x204
	s_and_saveexec_b32 s22, s24
	s_cbranch_execz .LBB53_246
; %bb.17:                               ;   in Loop: Header=BB53_4 Depth=1
	v_lshrrev_b32_e32 v4, 16, v4
	s_mov_b32 s24, 0
	s_delay_alu instid0(VALU_DEP_1)
	v_cmp_class_f16_e64 s25, v4, 0x204
	s_and_saveexec_b32 s23, s25
	s_cbranch_execz .LBB53_245
; %bb.18:                               ;   in Loop: Header=BB53_4 Depth=1
	v_add_nc_u32_e32 v3, s9, v3
	s_mov_b32 s25, 0
	global_load_b32 v4, v3, s[2:3] scale_offset
	s_wait_loadcnt 0x0
	v_cmp_class_f16_e64 s26, v4, 0x204
	s_and_saveexec_b32 s24, s26
	s_cbranch_execz .LBB53_244
; %bb.19:                               ;   in Loop: Header=BB53_4 Depth=1
	v_lshrrev_b32_e32 v4, 16, v4
	s_mov_b32 s26, 0
	s_delay_alu instid0(VALU_DEP_1)
	v_cmp_class_f16_e64 s27, v4, 0x204
	s_and_saveexec_b32 s25, s27
	s_cbranch_execz .LBB53_243
; %bb.20:                               ;   in Loop: Header=BB53_4 Depth=1
	v_add_nc_u32_e32 v3, s9, v3
	s_mov_b32 s27, 0
	global_load_b32 v4, v3, s[2:3] scale_offset
	s_wait_loadcnt 0x0
	v_cmp_class_f16_e64 s28, v4, 0x204
	s_and_saveexec_b32 s26, s28
	s_cbranch_execz .LBB53_242
; %bb.21:                               ;   in Loop: Header=BB53_4 Depth=1
	v_lshrrev_b32_e32 v4, 16, v4
	s_mov_b32 s28, 0
	s_delay_alu instid0(VALU_DEP_1)
	v_cmp_class_f16_e64 s29, v4, 0x204
	s_and_saveexec_b32 s27, s29
	s_cbranch_execz .LBB53_241
; %bb.22:                               ;   in Loop: Header=BB53_4 Depth=1
	v_add_nc_u32_e32 v3, s9, v3
	s_mov_b32 s29, 0
	global_load_b32 v4, v3, s[2:3] scale_offset
	s_wait_loadcnt 0x0
	v_cmp_class_f16_e64 s30, v4, 0x204
	s_and_saveexec_b32 s28, s30
	s_cbranch_execz .LBB53_240
; %bb.23:                               ;   in Loop: Header=BB53_4 Depth=1
	v_lshrrev_b32_e32 v4, 16, v4
	s_mov_b32 s30, 0
	s_delay_alu instid0(VALU_DEP_1)
	v_cmp_class_f16_e64 s31, v4, 0x204
	s_and_saveexec_b32 s29, s31
	s_cbranch_execz .LBB53_239
; %bb.24:                               ;   in Loop: Header=BB53_4 Depth=1
	v_add_nc_u32_e32 v3, s9, v3
	s_mov_b32 s31, 0
	global_load_b32 v4, v3, s[2:3] scale_offset
	s_wait_loadcnt 0x0
	v_cmp_class_f16_e64 s33, v4, 0x204
	s_and_saveexec_b32 s30, s33
	s_cbranch_execz .LBB53_238
; %bb.25:                               ;   in Loop: Header=BB53_4 Depth=1
	v_lshrrev_b32_e32 v4, 16, v4
	s_mov_b32 s33, 0
	s_delay_alu instid0(VALU_DEP_1)
	v_cmp_class_f16_e64 s34, v4, 0x204
	s_and_saveexec_b32 s31, s34
	s_cbranch_execz .LBB53_237
; %bb.26:                               ;   in Loop: Header=BB53_4 Depth=1
	v_add_nc_u32_e32 v3, s9, v3
	s_mov_b32 s34, 0
	global_load_b32 v4, v3, s[2:3] scale_offset
	s_wait_loadcnt 0x0
	v_cmp_class_f16_e64 s35, v4, 0x204
	s_and_saveexec_b32 s33, s35
	s_cbranch_execz .LBB53_236
; %bb.27:                               ;   in Loop: Header=BB53_4 Depth=1
	v_lshrrev_b32_e32 v4, 16, v4
	s_mov_b32 s35, 0
	s_delay_alu instid0(VALU_DEP_1)
	v_cmp_class_f16_e64 s36, v4, 0x204
	s_and_saveexec_b32 s34, s36
	s_cbranch_execz .LBB53_235
; %bb.28:                               ;   in Loop: Header=BB53_4 Depth=1
	v_add_nc_u32_e32 v3, s9, v3
	s_mov_b32 s36, 0
	global_load_b32 v4, v3, s[2:3] scale_offset
	s_wait_loadcnt 0x0
	v_cmp_class_f16_e64 s37, v4, 0x204
	s_and_saveexec_b32 s35, s37
	s_cbranch_execz .LBB53_234
; %bb.29:                               ;   in Loop: Header=BB53_4 Depth=1
	v_lshrrev_b32_e32 v4, 16, v4
	s_mov_b32 s37, 0
	s_delay_alu instid0(VALU_DEP_1)
	v_cmp_class_f16_e64 s38, v4, 0x204
	s_and_saveexec_b32 s36, s38
	s_cbranch_execz .LBB53_233
; %bb.30:                               ;   in Loop: Header=BB53_4 Depth=1
	v_add_nc_u32_e32 v3, s9, v3
	s_mov_b32 s38, 0
	global_load_b32 v4, v3, s[2:3] scale_offset
	s_wait_loadcnt 0x0
	v_cmp_class_f16_e64 s39, v4, 0x204
	s_and_saveexec_b32 s37, s39
	s_cbranch_execz .LBB53_232
; %bb.31:                               ;   in Loop: Header=BB53_4 Depth=1
	v_lshrrev_b32_e32 v4, 16, v4
	s_mov_b32 s39, 0
	s_delay_alu instid0(VALU_DEP_1)
	v_cmp_class_f16_e64 s40, v4, 0x204
	s_and_saveexec_b32 s38, s40
	s_cbranch_execz .LBB53_231
; %bb.32:                               ;   in Loop: Header=BB53_4 Depth=1
	v_add_nc_u32_e32 v3, s9, v3
	s_mov_b32 s40, 0
	global_load_b32 v4, v3, s[2:3] scale_offset
	s_wait_loadcnt 0x0
	v_cmp_class_f16_e64 s41, v4, 0x204
	s_and_saveexec_b32 s39, s41
	s_cbranch_execz .LBB53_230
; %bb.33:                               ;   in Loop: Header=BB53_4 Depth=1
	v_lshrrev_b32_e32 v4, 16, v4
	s_mov_b32 s41, 0
	s_delay_alu instid0(VALU_DEP_1)
	v_cmp_class_f16_e64 s42, v4, 0x204
	s_and_saveexec_b32 s40, s42
	s_cbranch_execz .LBB53_229
; %bb.34:                               ;   in Loop: Header=BB53_4 Depth=1
	v_add_nc_u32_e32 v3, s9, v3
	s_mov_b32 s42, 0
	global_load_b32 v4, v3, s[2:3] scale_offset
	s_wait_loadcnt 0x0
	v_cmp_class_f16_e64 s43, v4, 0x204
	s_and_saveexec_b32 s41, s43
	s_cbranch_execz .LBB53_228
; %bb.35:                               ;   in Loop: Header=BB53_4 Depth=1
	v_lshrrev_b32_e32 v4, 16, v4
	s_mov_b32 s43, 0
	s_delay_alu instid0(VALU_DEP_1)
	v_cmp_class_f16_e64 s44, v4, 0x204
	s_and_saveexec_b32 s42, s44
	s_cbranch_execz .LBB53_227
; %bb.36:                               ;   in Loop: Header=BB53_4 Depth=1
	v_add_nc_u32_e32 v3, s9, v3
	s_mov_b32 s44, 0
	global_load_b32 v4, v3, s[2:3] scale_offset
	s_wait_loadcnt 0x0
	v_cmp_class_f16_e64 s45, v4, 0x204
	s_and_saveexec_b32 s43, s45
	s_cbranch_execz .LBB53_226
; %bb.37:                               ;   in Loop: Header=BB53_4 Depth=1
	v_lshrrev_b32_e32 v4, 16, v4
	s_mov_b32 s45, 0
	s_delay_alu instid0(VALU_DEP_1)
	v_cmp_class_f16_e64 s46, v4, 0x204
	s_and_saveexec_b32 s44, s46
	s_cbranch_execz .LBB53_225
; %bb.38:                               ;   in Loop: Header=BB53_4 Depth=1
	v_add_nc_u32_e32 v3, s9, v3
	s_mov_b32 s46, 0
	global_load_b32 v4, v3, s[2:3] scale_offset
	s_wait_loadcnt 0x0
	v_cmp_class_f16_e64 s47, v4, 0x204
	s_and_saveexec_b32 s45, s47
	s_cbranch_execz .LBB53_224
; %bb.39:                               ;   in Loop: Header=BB53_4 Depth=1
	v_lshrrev_b32_e32 v4, 16, v4
	s_mov_b32 s47, 0
	s_delay_alu instid0(VALU_DEP_1)
	v_cmp_class_f16_e64 s48, v4, 0x204
	s_and_saveexec_b32 s46, s48
	s_cbranch_execz .LBB53_223
; %bb.40:                               ;   in Loop: Header=BB53_4 Depth=1
	v_add_nc_u32_e32 v3, s9, v3
	s_mov_b32 s48, 0
	global_load_b32 v4, v3, s[2:3] scale_offset
	s_wait_loadcnt 0x0
	v_cmp_class_f16_e64 s49, v4, 0x204
	s_and_saveexec_b32 s47, s49
	s_cbranch_execz .LBB53_222
; %bb.41:                               ;   in Loop: Header=BB53_4 Depth=1
	v_lshrrev_b32_e32 v4, 16, v4
	s_mov_b32 s49, 0
	s_delay_alu instid0(VALU_DEP_1)
	v_cmp_class_f16_e64 s50, v4, 0x204
	s_and_saveexec_b32 s48, s50
	s_cbranch_execz .LBB53_221
; %bb.42:                               ;   in Loop: Header=BB53_4 Depth=1
	v_add_nc_u32_e32 v3, s9, v3
	s_mov_b32 s50, 0
	global_load_b32 v4, v3, s[2:3] scale_offset
	s_wait_loadcnt 0x0
	v_cmp_class_f16_e64 s51, v4, 0x204
	s_and_saveexec_b32 s49, s51
	s_cbranch_execz .LBB53_220
; %bb.43:                               ;   in Loop: Header=BB53_4 Depth=1
	v_lshrrev_b32_e32 v4, 16, v4
	s_mov_b32 s51, 0
	s_delay_alu instid0(VALU_DEP_1)
	v_cmp_class_f16_e64 s52, v4, 0x204
	s_and_saveexec_b32 s50, s52
	s_cbranch_execz .LBB53_219
; %bb.44:                               ;   in Loop: Header=BB53_4 Depth=1
	v_add_nc_u32_e32 v3, s9, v3
	s_mov_b32 s52, 0
	global_load_b32 v4, v3, s[2:3] scale_offset
	s_wait_loadcnt 0x0
	v_cmp_class_f16_e64 s53, v4, 0x204
	s_and_saveexec_b32 s51, s53
	s_cbranch_execz .LBB53_218
; %bb.45:                               ;   in Loop: Header=BB53_4 Depth=1
	v_lshrrev_b32_e32 v4, 16, v4
	s_mov_b32 s53, 0
	s_delay_alu instid0(VALU_DEP_1)
	v_cmp_class_f16_e64 s54, v4, 0x204
	s_and_saveexec_b32 s52, s54
	s_cbranch_execz .LBB53_217
; %bb.46:                               ;   in Loop: Header=BB53_4 Depth=1
	v_add_nc_u32_e32 v3, s9, v3
	s_mov_b32 s54, 0
	global_load_b32 v4, v3, s[2:3] scale_offset
	s_wait_loadcnt 0x0
	v_cmp_class_f16_e64 s55, v4, 0x204
	s_and_saveexec_b32 s53, s55
	s_cbranch_execz .LBB53_216
; %bb.47:                               ;   in Loop: Header=BB53_4 Depth=1
	v_lshrrev_b32_e32 v4, 16, v4
	s_mov_b32 s55, 0
	s_delay_alu instid0(VALU_DEP_1)
	v_cmp_class_f16_e64 s56, v4, 0x204
	s_and_saveexec_b32 s54, s56
	s_cbranch_execz .LBB53_215
; %bb.48:                               ;   in Loop: Header=BB53_4 Depth=1
	v_add_nc_u32_e32 v3, s9, v3
	s_mov_b32 s56, 0
	global_load_b32 v4, v3, s[2:3] scale_offset
	s_wait_loadcnt 0x0
	v_cmp_class_f16_e64 s57, v4, 0x204
	s_and_saveexec_b32 s55, s57
	s_cbranch_execz .LBB53_214
; %bb.49:                               ;   in Loop: Header=BB53_4 Depth=1
	v_lshrrev_b32_e32 v4, 16, v4
	s_mov_b32 s57, 0
	s_delay_alu instid0(VALU_DEP_1)
	v_cmp_class_f16_e64 s58, v4, 0x204
	s_and_saveexec_b32 s56, s58
	s_cbranch_execz .LBB53_213
; %bb.50:                               ;   in Loop: Header=BB53_4 Depth=1
	v_add_nc_u32_e32 v3, s9, v3
	s_mov_b32 s58, 0
	global_load_b32 v4, v3, s[2:3] scale_offset
	s_wait_loadcnt 0x0
	v_cmp_class_f16_e64 s59, v4, 0x204
	s_and_saveexec_b32 s57, s59
	s_cbranch_execz .LBB53_212
; %bb.51:                               ;   in Loop: Header=BB53_4 Depth=1
	v_lshrrev_b32_e32 v4, 16, v4
	s_mov_b32 s59, 0
	s_delay_alu instid0(VALU_DEP_1)
	v_cmp_class_f16_e64 s60, v4, 0x204
	s_and_saveexec_b32 s58, s60
	s_cbranch_execz .LBB53_211
; %bb.52:                               ;   in Loop: Header=BB53_4 Depth=1
	v_add_nc_u32_e32 v3, s9, v3
	s_mov_b32 s60, 0
	global_load_b32 v4, v3, s[2:3] scale_offset
	s_wait_loadcnt 0x0
	v_cmp_class_f16_e64 s61, v4, 0x204
	s_and_saveexec_b32 s59, s61
	s_cbranch_execz .LBB53_210
; %bb.53:                               ;   in Loop: Header=BB53_4 Depth=1
	v_lshrrev_b32_e32 v4, 16, v4
	s_mov_b32 s61, 0
	s_delay_alu instid0(VALU_DEP_1)
	v_cmp_class_f16_e64 s62, v4, 0x204
	s_and_saveexec_b32 s60, s62
	s_cbranch_execz .LBB53_209
; %bb.54:                               ;   in Loop: Header=BB53_4 Depth=1
	v_add_nc_u32_e32 v3, s9, v3
	s_mov_b32 s62, 0
	global_load_b32 v4, v3, s[2:3] scale_offset
	s_wait_loadcnt 0x0
	v_cmp_class_f16_e64 s63, v4, 0x204
	s_and_saveexec_b32 s61, s63
	s_cbranch_execz .LBB53_208
; %bb.55:                               ;   in Loop: Header=BB53_4 Depth=1
	v_lshrrev_b32_e32 v4, 16, v4
	s_mov_b32 s63, 0
	s_delay_alu instid0(VALU_DEP_1)
	v_cmp_class_f16_e64 s64, v4, 0x204
	s_and_saveexec_b32 s62, s64
	s_cbranch_execz .LBB53_207
; %bb.56:                               ;   in Loop: Header=BB53_4 Depth=1
	v_add_nc_u32_e32 v3, s9, v3
	s_mov_b32 s64, 0
	global_load_b32 v4, v3, s[2:3] scale_offset
	s_wait_loadcnt 0x0
	v_cmp_class_f16_e64 s65, v4, 0x204
	s_and_saveexec_b32 s63, s65
	s_cbranch_execz .LBB53_206
; %bb.57:                               ;   in Loop: Header=BB53_4 Depth=1
	v_lshrrev_b32_e32 v4, 16, v4
	s_mov_b32 s65, 0
	s_delay_alu instid0(VALU_DEP_1)
	v_cmp_class_f16_e64 s66, v4, 0x204
	s_and_saveexec_b32 s64, s66
	s_cbranch_execz .LBB53_205
; %bb.58:                               ;   in Loop: Header=BB53_4 Depth=1
	v_add_nc_u32_e32 v3, s9, v3
	global_load_b32 v4, v3, s[2:3] scale_offset
	s_wait_loadcnt 0x0
	v_cmp_class_f16_e64 s66, v4, 0x204
	s_mov_b32 s67, exec_lo
	s_delay_alu instid0(SALU_CYCLE_1)
	s_and_b32 s66, s67, s66
                                        ; implicit-def: $vgpr7 : SGPR spill to VGPR lane
	v_writelane_b32 v7, s67, 0
	s_mov_b32 exec_lo, s66
	s_cbranch_execz .LBB53_204
; %bb.59:                               ;   in Loop: Header=BB53_4 Depth=1
	v_lshrrev_b32_e32 v4, 16, v4
	s_delay_alu instid0(VALU_DEP_1) | instskip(SKIP_1) | instid1(SALU_CYCLE_1)
	v_cmp_class_f16_e64 s66, v4, 0x204
	s_mov_b32 s67, exec_lo
	s_and_b32 s66, s67, s66
	v_writelane_b32 v7, s67, 1
	s_mov_b32 exec_lo, s66
	s_cbranch_execz .LBB53_203
; %bb.60:                               ;   in Loop: Header=BB53_4 Depth=1
	v_add_nc_u32_e32 v3, s9, v3
	global_load_b32 v4, v3, s[2:3] scale_offset
	s_wait_loadcnt 0x0
	v_cmp_class_f16_e64 s66, v4, 0x204
	s_mov_b32 s67, exec_lo
	s_delay_alu instid0(SALU_CYCLE_1)
	s_and_b32 s66, s67, s66
	v_writelane_b32 v7, s67, 2
	s_mov_b32 exec_lo, s66
	s_cbranch_execz .LBB53_202
; %bb.61:                               ;   in Loop: Header=BB53_4 Depth=1
	v_lshrrev_b32_e32 v4, 16, v4
	s_delay_alu instid0(VALU_DEP_1) | instskip(SKIP_1) | instid1(SALU_CYCLE_1)
	v_cmp_class_f16_e64 s66, v4, 0x204
	s_mov_b32 s67, exec_lo
	s_and_b32 s66, s67, s66
	v_writelane_b32 v7, s67, 3
	s_mov_b32 exec_lo, s66
	s_cbranch_execz .LBB53_201
; %bb.62:                               ;   in Loop: Header=BB53_4 Depth=1
	v_add_nc_u32_e32 v3, s9, v3
	global_load_b32 v4, v3, s[2:3] scale_offset
	s_wait_loadcnt 0x0
	v_cmp_class_f16_e64 s66, v4, 0x204
	s_mov_b32 s67, exec_lo
	s_delay_alu instid0(SALU_CYCLE_1)
	s_and_b32 s66, s67, s66
	;; [unrolled: 20-line block ×16, first 2 shown]
                                        ; implicit-def: $vgpr6 : SGPR spill to VGPR lane
	v_writelane_b32 v6, s67, 0
	s_mov_b32 exec_lo, s66
	s_cbranch_execz .LBB53_172
; %bb.91:                               ;   in Loop: Header=BB53_4 Depth=1
	v_lshrrev_b32_e32 v4, 16, v4
	s_delay_alu instid0(VALU_DEP_1)
	v_cmp_class_f16_e64 s66, v4, 0x204
	s_and_saveexec_b32 s98, s66
	s_cbranch_execz .LBB53_171
; %bb.92:                               ;   in Loop: Header=BB53_4 Depth=1
	v_add_nc_u32_e32 v3, s9, v3
	global_load_b32 v4, v3, s[2:3] scale_offset
	s_wait_loadcnt 0x0
	v_cmp_class_f16_e64 s66, v4, 0x204
	s_and_saveexec_b32 s99, s66
	s_cbranch_execz .LBB53_170
; %bb.93:                               ;   in Loop: Header=BB53_4 Depth=1
	v_lshrrev_b32_e32 v4, 16, v4
	s_delay_alu instid0(VALU_DEP_1)
	v_cmp_class_f16_e64 s66, v4, 0x204
	s_and_saveexec_b32 s100, s66
	s_cbranch_execz .LBB53_169
; %bb.94:                               ;   in Loop: Header=BB53_4 Depth=1
	v_add_nc_u32_e32 v3, s9, v3
	global_load_b32 v4, v3, s[2:3] scale_offset
	s_wait_loadcnt 0x0
	v_cmp_class_f16_e64 s66, v4, 0x204
	s_and_saveexec_b32 s101, s66
	;; [unrolled: 13-line block ×3, first 2 shown]
	s_cbranch_execz .LBB53_166
; %bb.97:                               ;   in Loop: Header=BB53_4 Depth=1
	v_lshrrev_b32_e32 v4, 16, v4
	s_delay_alu instid0(VALU_DEP_1)
	v_cmp_class_f16_e64 s66, v4, 0x204
	s_and_saveexec_b32 s104, s66
	s_cbranch_execz .LBB53_165
; %bb.98:                               ;   in Loop: Header=BB53_4 Depth=1
	v_add_nc_u32_e32 v3, s9, v3
	global_load_b32 v4, v3, s[2:3] scale_offset
	s_wait_loadcnt 0x0
	v_cmp_class_f16_e64 s66, v4, 0x204
	s_and_saveexec_b32 vcc_lo, s66
	s_cbranch_execz .LBB53_164
; %bb.99:                               ;   in Loop: Header=BB53_4 Depth=1
	v_lshrrev_b32_e32 v4, 16, v4
	s_delay_alu instid0(VALU_DEP_1)
	v_cmp_class_f16_e64 s66, v4, 0x204
	s_and_saveexec_b32 vcc_hi, s66
	s_cbranch_execz .LBB53_163
; %bb.100:                              ;   in Loop: Header=BB53_4 Depth=1
	v_add_nc_u32_e32 v3, s9, v3
	s_mov_b32 s66, 0
	global_load_b32 v4, v3, s[2:3] scale_offset
	s_wait_loadcnt 0x0
	v_cmp_class_f16_e64 s67, v4, 0x204
	s_and_saveexec_b32 s65, s67
	s_cbranch_execz .LBB53_162
; %bb.101:                              ;   in Loop: Header=BB53_4 Depth=1
	v_lshrrev_b32_e32 v4, 16, v4
	s_mov_b32 s67, 0
	s_delay_alu instid0(VALU_DEP_1)
	v_cmp_class_f16_e64 s68, v4, 0x204
	s_and_saveexec_b32 s66, s68
	s_cbranch_execz .LBB53_161
; %bb.102:                              ;   in Loop: Header=BB53_4 Depth=1
	v_add_nc_u32_e32 v3, s9, v3
	s_mov_b32 s68, 0
	global_load_b32 v4, v3, s[2:3] scale_offset
	s_wait_loadcnt 0x0
	v_cmp_class_f16_e64 s69, v4, 0x204
	s_and_saveexec_b32 s67, s69
	s_cbranch_execz .LBB53_160
; %bb.103:                              ;   in Loop: Header=BB53_4 Depth=1
	v_lshrrev_b32_e32 v4, 16, v4
	s_mov_b32 s69, 0
	s_delay_alu instid0(VALU_DEP_1)
	v_cmp_class_f16_e64 s70, v4, 0x204
	s_and_saveexec_b32 s68, s70
	;; [unrolled: 15-line block ×15, first 2 shown]
	s_cbranch_execz .LBB53_133
; %bb.130:                              ;   in Loop: Header=BB53_4 Depth=1
	v_add_nc_u32_e32 v3, s9, v3
	global_load_b32 v3, v3, s[2:3] scale_offset
	s_wait_loadcnt 0x0
	v_cmp_class_f16_e64 s97, v3, 0x204
	s_and_saveexec_b32 s96, s97
; %bb.131:                              ;   in Loop: Header=BB53_4 Depth=1
	v_lshrrev_b32_e32 v3, 16, v3
	s_delay_alu instid0(VALU_DEP_1)
	v_cmp_class_f16_e64 s95, v3, 0x204
	s_and_b32 s95, s95, exec_lo
; %bb.132:                              ;   in Loop: Header=BB53_4 Depth=1
	s_or_b32 exec_lo, exec_lo, s96
	s_delay_alu instid0(SALU_CYCLE_1)
	s_and_b32 s95, s95, exec_lo
.LBB53_133:                             ;   in Loop: Header=BB53_4 Depth=1
	s_or_b32 exec_lo, exec_lo, s94
	s_delay_alu instid0(SALU_CYCLE_1)
	s_and_b32 s94, s95, exec_lo
.LBB53_134:                             ;   in Loop: Header=BB53_4 Depth=1
	s_or_b32 exec_lo, exec_lo, s93
	s_delay_alu instid0(SALU_CYCLE_1)
	s_and_b32 s93, s94, exec_lo
.LBB53_135:                             ;   in Loop: Header=BB53_4 Depth=1
	s_or_b32 exec_lo, exec_lo, s92
	s_delay_alu instid0(SALU_CYCLE_1)
	s_and_b32 s92, s93, exec_lo
.LBB53_136:                             ;   in Loop: Header=BB53_4 Depth=1
	s_or_b32 exec_lo, exec_lo, s91
	s_delay_alu instid0(SALU_CYCLE_1)
	s_and_b32 s91, s92, exec_lo
.LBB53_137:                             ;   in Loop: Header=BB53_4 Depth=1
	s_or_b32 exec_lo, exec_lo, s90
	s_delay_alu instid0(SALU_CYCLE_1)
	s_and_b32 s90, s91, exec_lo
.LBB53_138:                             ;   in Loop: Header=BB53_4 Depth=1
	s_or_b32 exec_lo, exec_lo, s89
	s_delay_alu instid0(SALU_CYCLE_1)
	s_and_b32 s89, s90, exec_lo
.LBB53_139:                             ;   in Loop: Header=BB53_4 Depth=1
	s_or_b32 exec_lo, exec_lo, s88
	s_delay_alu instid0(SALU_CYCLE_1)
	s_and_b32 s88, s89, exec_lo
.LBB53_140:                             ;   in Loop: Header=BB53_4 Depth=1
	s_or_b32 exec_lo, exec_lo, s87
	s_delay_alu instid0(SALU_CYCLE_1)
	s_and_b32 s87, s88, exec_lo
.LBB53_141:                             ;   in Loop: Header=BB53_4 Depth=1
	s_or_b32 exec_lo, exec_lo, s86
	s_delay_alu instid0(SALU_CYCLE_1)
	s_and_b32 s86, s87, exec_lo
.LBB53_142:                             ;   in Loop: Header=BB53_4 Depth=1
	s_or_b32 exec_lo, exec_lo, s85
	s_delay_alu instid0(SALU_CYCLE_1)
	s_and_b32 s85, s86, exec_lo
.LBB53_143:                             ;   in Loop: Header=BB53_4 Depth=1
	s_or_b32 exec_lo, exec_lo, s84
	s_delay_alu instid0(SALU_CYCLE_1)
	s_and_b32 s84, s85, exec_lo
.LBB53_144:                             ;   in Loop: Header=BB53_4 Depth=1
	s_or_b32 exec_lo, exec_lo, s83
	s_delay_alu instid0(SALU_CYCLE_1)
	s_and_b32 s83, s84, exec_lo
.LBB53_145:                             ;   in Loop: Header=BB53_4 Depth=1
	s_or_b32 exec_lo, exec_lo, s82
	s_delay_alu instid0(SALU_CYCLE_1)
	s_and_b32 s82, s83, exec_lo
.LBB53_146:                             ;   in Loop: Header=BB53_4 Depth=1
	s_or_b32 exec_lo, exec_lo, s81
	s_delay_alu instid0(SALU_CYCLE_1)
	s_and_b32 s81, s82, exec_lo
.LBB53_147:                             ;   in Loop: Header=BB53_4 Depth=1
	s_or_b32 exec_lo, exec_lo, s80
	s_delay_alu instid0(SALU_CYCLE_1)
	s_and_b32 s80, s81, exec_lo
.LBB53_148:                             ;   in Loop: Header=BB53_4 Depth=1
	s_or_b32 exec_lo, exec_lo, s79
	s_delay_alu instid0(SALU_CYCLE_1)
	s_and_b32 s79, s80, exec_lo
.LBB53_149:                             ;   in Loop: Header=BB53_4 Depth=1
	s_or_b32 exec_lo, exec_lo, s78
	s_delay_alu instid0(SALU_CYCLE_1)
	s_and_b32 s78, s79, exec_lo
.LBB53_150:                             ;   in Loop: Header=BB53_4 Depth=1
	s_or_b32 exec_lo, exec_lo, s77
	s_delay_alu instid0(SALU_CYCLE_1)
	s_and_b32 s77, s78, exec_lo
.LBB53_151:                             ;   in Loop: Header=BB53_4 Depth=1
	s_or_b32 exec_lo, exec_lo, s76
	s_delay_alu instid0(SALU_CYCLE_1)
	s_and_b32 s76, s77, exec_lo
.LBB53_152:                             ;   in Loop: Header=BB53_4 Depth=1
	s_or_b32 exec_lo, exec_lo, s75
	s_delay_alu instid0(SALU_CYCLE_1)
	s_and_b32 s75, s76, exec_lo
.LBB53_153:                             ;   in Loop: Header=BB53_4 Depth=1
	s_or_b32 exec_lo, exec_lo, s74
	s_delay_alu instid0(SALU_CYCLE_1)
	s_and_b32 s74, s75, exec_lo
.LBB53_154:                             ;   in Loop: Header=BB53_4 Depth=1
	s_or_b32 exec_lo, exec_lo, s73
	s_delay_alu instid0(SALU_CYCLE_1)
	s_and_b32 s73, s74, exec_lo
.LBB53_155:                             ;   in Loop: Header=BB53_4 Depth=1
	s_or_b32 exec_lo, exec_lo, s72
	s_delay_alu instid0(SALU_CYCLE_1)
	s_and_b32 s72, s73, exec_lo
.LBB53_156:                             ;   in Loop: Header=BB53_4 Depth=1
	s_or_b32 exec_lo, exec_lo, s71
	s_delay_alu instid0(SALU_CYCLE_1)
	s_and_b32 s71, s72, exec_lo
.LBB53_157:                             ;   in Loop: Header=BB53_4 Depth=1
	s_or_b32 exec_lo, exec_lo, s70
	s_delay_alu instid0(SALU_CYCLE_1)
	s_and_b32 s70, s71, exec_lo
.LBB53_158:                             ;   in Loop: Header=BB53_4 Depth=1
	s_or_b32 exec_lo, exec_lo, s69
	s_delay_alu instid0(SALU_CYCLE_1)
	s_and_b32 s69, s70, exec_lo
.LBB53_159:                             ;   in Loop: Header=BB53_4 Depth=1
	s_or_b32 exec_lo, exec_lo, s68
	s_delay_alu instid0(SALU_CYCLE_1)
	s_and_b32 s68, s69, exec_lo
.LBB53_160:                             ;   in Loop: Header=BB53_4 Depth=1
	s_or_b32 exec_lo, exec_lo, s67
	s_delay_alu instid0(SALU_CYCLE_1)
	s_and_b32 s67, s68, exec_lo
.LBB53_161:                             ;   in Loop: Header=BB53_4 Depth=1
	s_or_b32 exec_lo, exec_lo, s66
	s_delay_alu instid0(SALU_CYCLE_1)
	s_and_b32 s66, s67, exec_lo
.LBB53_162:                             ;   in Loop: Header=BB53_4 Depth=1
	s_or_b32 exec_lo, exec_lo, s65
	s_delay_alu instid0(SALU_CYCLE_1)
	s_and_b32 s65, s66, exec_lo
.LBB53_163:                             ;   in Loop: Header=BB53_4 Depth=1
	s_or_b32 exec_lo, exec_lo, vcc_hi
	s_delay_alu instid0(SALU_CYCLE_1)
	s_and_b32 s65, s65, exec_lo
.LBB53_164:                             ;   in Loop: Header=BB53_4 Depth=1
	s_or_b32 exec_lo, exec_lo, vcc_lo
	s_delay_alu instid0(SALU_CYCLE_1)
	s_and_b32 s65, s65, exec_lo
.LBB53_165:                             ;   in Loop: Header=BB53_4 Depth=1
	s_or_b32 exec_lo, exec_lo, s104
	s_delay_alu instid0(SALU_CYCLE_1)
	s_and_b32 s65, s65, exec_lo
.LBB53_166:                             ;   in Loop: Header=BB53_4 Depth=1
	s_or_b32 exec_lo, exec_lo, s103
	s_delay_alu instid0(SALU_CYCLE_1)
	s_and_b32 s65, s65, exec_lo
.LBB53_167:                             ;   in Loop: Header=BB53_4 Depth=1
	s_or_b32 exec_lo, exec_lo, s102
	s_delay_alu instid0(SALU_CYCLE_1)
	s_and_b32 s65, s65, exec_lo
.LBB53_168:                             ;   in Loop: Header=BB53_4 Depth=1
	s_or_b32 exec_lo, exec_lo, s101
	s_delay_alu instid0(SALU_CYCLE_1)
	s_and_b32 s65, s65, exec_lo
.LBB53_169:                             ;   in Loop: Header=BB53_4 Depth=1
	s_or_b32 exec_lo, exec_lo, s100
	s_delay_alu instid0(SALU_CYCLE_1)
	s_and_b32 s65, s65, exec_lo
.LBB53_170:                             ;   in Loop: Header=BB53_4 Depth=1
	s_or_b32 exec_lo, exec_lo, s99
	s_delay_alu instid0(SALU_CYCLE_1)
	s_and_b32 s65, s65, exec_lo
.LBB53_171:                             ;   in Loop: Header=BB53_4 Depth=1
	s_or_b32 exec_lo, exec_lo, s98
	s_delay_alu instid0(SALU_CYCLE_1)
	s_and_b32 s65, s65, exec_lo
.LBB53_172:                             ;   in Loop: Header=BB53_4 Depth=1
	s_delay_alu instid0(VALU_DEP_1) | instskip(SKIP_1) | instid1(SALU_CYCLE_1)
	v_readlane_b32 s66, v6, 0
	s_or_b32 exec_lo, exec_lo, s66
	s_and_b32 s65, s65, exec_lo
.LBB53_173:                             ;   in Loop: Header=BB53_4 Depth=1
	s_delay_alu instid0(VALU_DEP_1) | instskip(SKIP_1) | instid1(SALU_CYCLE_1)
	v_readlane_b32 s66, v7, 31
	s_or_b32 exec_lo, exec_lo, s66
	s_and_b32 s65, s65, exec_lo
.LBB53_174:                             ;   in Loop: Header=BB53_4 Depth=1
	s_delay_alu instid0(VALU_DEP_1) | instskip(SKIP_1) | instid1(SALU_CYCLE_1)
	v_readlane_b32 s66, v7, 30
	s_or_b32 exec_lo, exec_lo, s66
	s_and_b32 s65, s65, exec_lo
.LBB53_175:                             ;   in Loop: Header=BB53_4 Depth=1
	s_delay_alu instid0(VALU_DEP_1) | instskip(SKIP_1) | instid1(SALU_CYCLE_1)
	v_readlane_b32 s66, v7, 29
	s_or_b32 exec_lo, exec_lo, s66
	s_and_b32 s65, s65, exec_lo
.LBB53_176:                             ;   in Loop: Header=BB53_4 Depth=1
	s_delay_alu instid0(VALU_DEP_1) | instskip(SKIP_1) | instid1(SALU_CYCLE_1)
	v_readlane_b32 s66, v7, 28
	s_or_b32 exec_lo, exec_lo, s66
	s_and_b32 s65, s65, exec_lo
.LBB53_177:                             ;   in Loop: Header=BB53_4 Depth=1
	s_delay_alu instid0(VALU_DEP_1) | instskip(SKIP_1) | instid1(SALU_CYCLE_1)
	v_readlane_b32 s66, v7, 27
	s_or_b32 exec_lo, exec_lo, s66
	s_and_b32 s65, s65, exec_lo
.LBB53_178:                             ;   in Loop: Header=BB53_4 Depth=1
	s_delay_alu instid0(VALU_DEP_1) | instskip(SKIP_1) | instid1(SALU_CYCLE_1)
	v_readlane_b32 s66, v7, 26
	s_or_b32 exec_lo, exec_lo, s66
	s_and_b32 s65, s65, exec_lo
.LBB53_179:                             ;   in Loop: Header=BB53_4 Depth=1
	s_delay_alu instid0(VALU_DEP_1) | instskip(SKIP_1) | instid1(SALU_CYCLE_1)
	v_readlane_b32 s66, v7, 25
	s_or_b32 exec_lo, exec_lo, s66
	s_and_b32 s65, s65, exec_lo
.LBB53_180:                             ;   in Loop: Header=BB53_4 Depth=1
	s_delay_alu instid0(VALU_DEP_1) | instskip(SKIP_1) | instid1(SALU_CYCLE_1)
	v_readlane_b32 s66, v7, 24
	s_or_b32 exec_lo, exec_lo, s66
	s_and_b32 s65, s65, exec_lo
.LBB53_181:                             ;   in Loop: Header=BB53_4 Depth=1
	s_delay_alu instid0(VALU_DEP_1) | instskip(SKIP_1) | instid1(SALU_CYCLE_1)
	v_readlane_b32 s66, v7, 23
	s_or_b32 exec_lo, exec_lo, s66
	s_and_b32 s65, s65, exec_lo
.LBB53_182:                             ;   in Loop: Header=BB53_4 Depth=1
	s_delay_alu instid0(VALU_DEP_1) | instskip(SKIP_1) | instid1(SALU_CYCLE_1)
	v_readlane_b32 s66, v7, 22
	s_or_b32 exec_lo, exec_lo, s66
	s_and_b32 s65, s65, exec_lo
.LBB53_183:                             ;   in Loop: Header=BB53_4 Depth=1
	s_delay_alu instid0(VALU_DEP_1) | instskip(SKIP_1) | instid1(SALU_CYCLE_1)
	v_readlane_b32 s66, v7, 21
	s_or_b32 exec_lo, exec_lo, s66
	s_and_b32 s65, s65, exec_lo
.LBB53_184:                             ;   in Loop: Header=BB53_4 Depth=1
	s_delay_alu instid0(VALU_DEP_1) | instskip(SKIP_1) | instid1(SALU_CYCLE_1)
	v_readlane_b32 s66, v7, 20
	s_or_b32 exec_lo, exec_lo, s66
	s_and_b32 s65, s65, exec_lo
.LBB53_185:                             ;   in Loop: Header=BB53_4 Depth=1
	s_delay_alu instid0(VALU_DEP_1) | instskip(SKIP_1) | instid1(SALU_CYCLE_1)
	v_readlane_b32 s66, v7, 19
	s_or_b32 exec_lo, exec_lo, s66
	s_and_b32 s65, s65, exec_lo
.LBB53_186:                             ;   in Loop: Header=BB53_4 Depth=1
	s_delay_alu instid0(VALU_DEP_1) | instskip(SKIP_1) | instid1(SALU_CYCLE_1)
	v_readlane_b32 s66, v7, 18
	s_or_b32 exec_lo, exec_lo, s66
	s_and_b32 s65, s65, exec_lo
.LBB53_187:                             ;   in Loop: Header=BB53_4 Depth=1
	s_delay_alu instid0(VALU_DEP_1) | instskip(SKIP_1) | instid1(SALU_CYCLE_1)
	v_readlane_b32 s66, v7, 17
	s_or_b32 exec_lo, exec_lo, s66
	s_and_b32 s65, s65, exec_lo
.LBB53_188:                             ;   in Loop: Header=BB53_4 Depth=1
	s_delay_alu instid0(VALU_DEP_1) | instskip(SKIP_1) | instid1(SALU_CYCLE_1)
	v_readlane_b32 s66, v7, 16
	s_or_b32 exec_lo, exec_lo, s66
	s_and_b32 s65, s65, exec_lo
.LBB53_189:                             ;   in Loop: Header=BB53_4 Depth=1
	s_delay_alu instid0(VALU_DEP_1) | instskip(SKIP_1) | instid1(SALU_CYCLE_1)
	v_readlane_b32 s66, v7, 15
	s_or_b32 exec_lo, exec_lo, s66
	s_and_b32 s65, s65, exec_lo
.LBB53_190:                             ;   in Loop: Header=BB53_4 Depth=1
	s_delay_alu instid0(VALU_DEP_1) | instskip(SKIP_1) | instid1(SALU_CYCLE_1)
	v_readlane_b32 s66, v7, 14
	s_or_b32 exec_lo, exec_lo, s66
	s_and_b32 s65, s65, exec_lo
.LBB53_191:                             ;   in Loop: Header=BB53_4 Depth=1
	s_delay_alu instid0(VALU_DEP_1) | instskip(SKIP_1) | instid1(SALU_CYCLE_1)
	v_readlane_b32 s66, v7, 13
	s_or_b32 exec_lo, exec_lo, s66
	s_and_b32 s65, s65, exec_lo
.LBB53_192:                             ;   in Loop: Header=BB53_4 Depth=1
	s_delay_alu instid0(VALU_DEP_1) | instskip(SKIP_1) | instid1(SALU_CYCLE_1)
	v_readlane_b32 s66, v7, 12
	s_or_b32 exec_lo, exec_lo, s66
	s_and_b32 s65, s65, exec_lo
.LBB53_193:                             ;   in Loop: Header=BB53_4 Depth=1
	s_delay_alu instid0(VALU_DEP_1) | instskip(SKIP_1) | instid1(SALU_CYCLE_1)
	v_readlane_b32 s66, v7, 11
	s_or_b32 exec_lo, exec_lo, s66
	s_and_b32 s65, s65, exec_lo
.LBB53_194:                             ;   in Loop: Header=BB53_4 Depth=1
	s_delay_alu instid0(VALU_DEP_1) | instskip(SKIP_1) | instid1(SALU_CYCLE_1)
	v_readlane_b32 s66, v7, 10
	s_or_b32 exec_lo, exec_lo, s66
	s_and_b32 s65, s65, exec_lo
.LBB53_195:                             ;   in Loop: Header=BB53_4 Depth=1
	s_delay_alu instid0(VALU_DEP_1) | instskip(SKIP_1) | instid1(SALU_CYCLE_1)
	v_readlane_b32 s66, v7, 9
	s_or_b32 exec_lo, exec_lo, s66
	s_and_b32 s65, s65, exec_lo
.LBB53_196:                             ;   in Loop: Header=BB53_4 Depth=1
	s_delay_alu instid0(VALU_DEP_1) | instskip(SKIP_1) | instid1(SALU_CYCLE_1)
	v_readlane_b32 s66, v7, 8
	s_or_b32 exec_lo, exec_lo, s66
	s_and_b32 s65, s65, exec_lo
.LBB53_197:                             ;   in Loop: Header=BB53_4 Depth=1
	s_delay_alu instid0(VALU_DEP_1) | instskip(SKIP_1) | instid1(SALU_CYCLE_1)
	v_readlane_b32 s66, v7, 7
	s_or_b32 exec_lo, exec_lo, s66
	s_and_b32 s65, s65, exec_lo
.LBB53_198:                             ;   in Loop: Header=BB53_4 Depth=1
	s_delay_alu instid0(VALU_DEP_1) | instskip(SKIP_1) | instid1(SALU_CYCLE_1)
	v_readlane_b32 s66, v7, 6
	s_or_b32 exec_lo, exec_lo, s66
	s_and_b32 s65, s65, exec_lo
.LBB53_199:                             ;   in Loop: Header=BB53_4 Depth=1
	s_delay_alu instid0(VALU_DEP_1) | instskip(SKIP_1) | instid1(SALU_CYCLE_1)
	v_readlane_b32 s66, v7, 5
	s_or_b32 exec_lo, exec_lo, s66
	s_and_b32 s65, s65, exec_lo
.LBB53_200:                             ;   in Loop: Header=BB53_4 Depth=1
	s_delay_alu instid0(VALU_DEP_1) | instskip(SKIP_1) | instid1(SALU_CYCLE_1)
	v_readlane_b32 s66, v7, 4
	s_or_b32 exec_lo, exec_lo, s66
	s_and_b32 s65, s65, exec_lo
.LBB53_201:                             ;   in Loop: Header=BB53_4 Depth=1
	s_delay_alu instid0(VALU_DEP_1) | instskip(SKIP_1) | instid1(SALU_CYCLE_1)
	v_readlane_b32 s66, v7, 3
	s_or_b32 exec_lo, exec_lo, s66
	s_and_b32 s65, s65, exec_lo
.LBB53_202:                             ;   in Loop: Header=BB53_4 Depth=1
	s_delay_alu instid0(VALU_DEP_1) | instskip(SKIP_1) | instid1(SALU_CYCLE_1)
	v_readlane_b32 s66, v7, 2
	s_or_b32 exec_lo, exec_lo, s66
	s_and_b32 s65, s65, exec_lo
.LBB53_203:                             ;   in Loop: Header=BB53_4 Depth=1
	s_delay_alu instid0(VALU_DEP_1) | instskip(SKIP_1) | instid1(SALU_CYCLE_1)
	v_readlane_b32 s66, v7, 1
	s_or_b32 exec_lo, exec_lo, s66
	s_and_b32 s65, s65, exec_lo
.LBB53_204:                             ;   in Loop: Header=BB53_4 Depth=1
	s_delay_alu instid0(VALU_DEP_1) | instskip(SKIP_1) | instid1(SALU_CYCLE_1)
	v_readlane_b32 s66, v7, 0
	s_or_b32 exec_lo, exec_lo, s66
	s_and_b32 s65, s65, exec_lo
.LBB53_205:                             ;   in Loop: Header=BB53_4 Depth=1
	s_or_b32 exec_lo, exec_lo, s64
	s_delay_alu instid0(SALU_CYCLE_1)
	s_and_b32 s64, s65, exec_lo
.LBB53_206:                             ;   in Loop: Header=BB53_4 Depth=1
	s_or_b32 exec_lo, exec_lo, s63
	s_delay_alu instid0(SALU_CYCLE_1)
	s_and_b32 s63, s64, exec_lo
.LBB53_207:                             ;   in Loop: Header=BB53_4 Depth=1
	s_or_b32 exec_lo, exec_lo, s62
	s_delay_alu instid0(SALU_CYCLE_1)
	s_and_b32 s62, s63, exec_lo
.LBB53_208:                             ;   in Loop: Header=BB53_4 Depth=1
	s_or_b32 exec_lo, exec_lo, s61
	s_delay_alu instid0(SALU_CYCLE_1)
	s_and_b32 s61, s62, exec_lo
.LBB53_209:                             ;   in Loop: Header=BB53_4 Depth=1
	s_or_b32 exec_lo, exec_lo, s60
	s_delay_alu instid0(SALU_CYCLE_1)
	s_and_b32 s60, s61, exec_lo
.LBB53_210:                             ;   in Loop: Header=BB53_4 Depth=1
	s_or_b32 exec_lo, exec_lo, s59
	s_delay_alu instid0(SALU_CYCLE_1)
	s_and_b32 s59, s60, exec_lo
.LBB53_211:                             ;   in Loop: Header=BB53_4 Depth=1
	s_or_b32 exec_lo, exec_lo, s58
	s_delay_alu instid0(SALU_CYCLE_1)
	s_and_b32 s58, s59, exec_lo
.LBB53_212:                             ;   in Loop: Header=BB53_4 Depth=1
	s_or_b32 exec_lo, exec_lo, s57
	s_delay_alu instid0(SALU_CYCLE_1)
	s_and_b32 s57, s58, exec_lo
.LBB53_213:                             ;   in Loop: Header=BB53_4 Depth=1
	s_or_b32 exec_lo, exec_lo, s56
	s_delay_alu instid0(SALU_CYCLE_1)
	s_and_b32 s56, s57, exec_lo
.LBB53_214:                             ;   in Loop: Header=BB53_4 Depth=1
	s_or_b32 exec_lo, exec_lo, s55
	s_delay_alu instid0(SALU_CYCLE_1)
	s_and_b32 s55, s56, exec_lo
.LBB53_215:                             ;   in Loop: Header=BB53_4 Depth=1
	s_or_b32 exec_lo, exec_lo, s54
	s_delay_alu instid0(SALU_CYCLE_1)
	s_and_b32 s54, s55, exec_lo
.LBB53_216:                             ;   in Loop: Header=BB53_4 Depth=1
	s_or_b32 exec_lo, exec_lo, s53
	s_delay_alu instid0(SALU_CYCLE_1)
	s_and_b32 s53, s54, exec_lo
.LBB53_217:                             ;   in Loop: Header=BB53_4 Depth=1
	s_or_b32 exec_lo, exec_lo, s52
	s_delay_alu instid0(SALU_CYCLE_1)
	s_and_b32 s52, s53, exec_lo
.LBB53_218:                             ;   in Loop: Header=BB53_4 Depth=1
	s_or_b32 exec_lo, exec_lo, s51
	s_delay_alu instid0(SALU_CYCLE_1)
	s_and_b32 s51, s52, exec_lo
.LBB53_219:                             ;   in Loop: Header=BB53_4 Depth=1
	s_or_b32 exec_lo, exec_lo, s50
	s_delay_alu instid0(SALU_CYCLE_1)
	s_and_b32 s50, s51, exec_lo
.LBB53_220:                             ;   in Loop: Header=BB53_4 Depth=1
	s_or_b32 exec_lo, exec_lo, s49
	s_delay_alu instid0(SALU_CYCLE_1)
	s_and_b32 s49, s50, exec_lo
.LBB53_221:                             ;   in Loop: Header=BB53_4 Depth=1
	s_or_b32 exec_lo, exec_lo, s48
	s_delay_alu instid0(SALU_CYCLE_1)
	s_and_b32 s48, s49, exec_lo
.LBB53_222:                             ;   in Loop: Header=BB53_4 Depth=1
	s_or_b32 exec_lo, exec_lo, s47
	s_delay_alu instid0(SALU_CYCLE_1)
	s_and_b32 s47, s48, exec_lo
.LBB53_223:                             ;   in Loop: Header=BB53_4 Depth=1
	s_or_b32 exec_lo, exec_lo, s46
	s_delay_alu instid0(SALU_CYCLE_1)
	s_and_b32 s46, s47, exec_lo
.LBB53_224:                             ;   in Loop: Header=BB53_4 Depth=1
	s_or_b32 exec_lo, exec_lo, s45
	s_delay_alu instid0(SALU_CYCLE_1)
	s_and_b32 s45, s46, exec_lo
.LBB53_225:                             ;   in Loop: Header=BB53_4 Depth=1
	s_or_b32 exec_lo, exec_lo, s44
	s_delay_alu instid0(SALU_CYCLE_1)
	s_and_b32 s44, s45, exec_lo
.LBB53_226:                             ;   in Loop: Header=BB53_4 Depth=1
	s_or_b32 exec_lo, exec_lo, s43
	s_delay_alu instid0(SALU_CYCLE_1)
	s_and_b32 s43, s44, exec_lo
.LBB53_227:                             ;   in Loop: Header=BB53_4 Depth=1
	s_or_b32 exec_lo, exec_lo, s42
	s_delay_alu instid0(SALU_CYCLE_1)
	s_and_b32 s42, s43, exec_lo
.LBB53_228:                             ;   in Loop: Header=BB53_4 Depth=1
	s_or_b32 exec_lo, exec_lo, s41
	s_delay_alu instid0(SALU_CYCLE_1)
	s_and_b32 s41, s42, exec_lo
.LBB53_229:                             ;   in Loop: Header=BB53_4 Depth=1
	s_or_b32 exec_lo, exec_lo, s40
	s_delay_alu instid0(SALU_CYCLE_1)
	s_and_b32 s40, s41, exec_lo
.LBB53_230:                             ;   in Loop: Header=BB53_4 Depth=1
	s_or_b32 exec_lo, exec_lo, s39
	s_delay_alu instid0(SALU_CYCLE_1)
	s_and_b32 s39, s40, exec_lo
.LBB53_231:                             ;   in Loop: Header=BB53_4 Depth=1
	s_or_b32 exec_lo, exec_lo, s38
	s_delay_alu instid0(SALU_CYCLE_1)
	s_and_b32 s38, s39, exec_lo
.LBB53_232:                             ;   in Loop: Header=BB53_4 Depth=1
	s_or_b32 exec_lo, exec_lo, s37
	s_delay_alu instid0(SALU_CYCLE_1)
	s_and_b32 s37, s38, exec_lo
.LBB53_233:                             ;   in Loop: Header=BB53_4 Depth=1
	s_or_b32 exec_lo, exec_lo, s36
	s_delay_alu instid0(SALU_CYCLE_1)
	s_and_b32 s36, s37, exec_lo
.LBB53_234:                             ;   in Loop: Header=BB53_4 Depth=1
	s_or_b32 exec_lo, exec_lo, s35
	s_delay_alu instid0(SALU_CYCLE_1)
	s_and_b32 s35, s36, exec_lo
.LBB53_235:                             ;   in Loop: Header=BB53_4 Depth=1
	s_or_b32 exec_lo, exec_lo, s34
	s_delay_alu instid0(SALU_CYCLE_1)
	s_and_b32 s34, s35, exec_lo
.LBB53_236:                             ;   in Loop: Header=BB53_4 Depth=1
	s_or_b32 exec_lo, exec_lo, s33
	s_delay_alu instid0(SALU_CYCLE_1)
	s_and_b32 s33, s34, exec_lo
.LBB53_237:                             ;   in Loop: Header=BB53_4 Depth=1
	s_or_b32 exec_lo, exec_lo, s31
	s_delay_alu instid0(SALU_CYCLE_1)
	s_and_b32 s31, s33, exec_lo
.LBB53_238:                             ;   in Loop: Header=BB53_4 Depth=1
	s_or_b32 exec_lo, exec_lo, s30
	s_delay_alu instid0(SALU_CYCLE_1)
	s_and_b32 s30, s31, exec_lo
.LBB53_239:                             ;   in Loop: Header=BB53_4 Depth=1
	s_or_b32 exec_lo, exec_lo, s29
	s_delay_alu instid0(SALU_CYCLE_1)
	s_and_b32 s29, s30, exec_lo
.LBB53_240:                             ;   in Loop: Header=BB53_4 Depth=1
	s_or_b32 exec_lo, exec_lo, s28
	s_delay_alu instid0(SALU_CYCLE_1)
	s_and_b32 s28, s29, exec_lo
.LBB53_241:                             ;   in Loop: Header=BB53_4 Depth=1
	s_or_b32 exec_lo, exec_lo, s27
	s_delay_alu instid0(SALU_CYCLE_1)
	s_and_b32 s27, s28, exec_lo
.LBB53_242:                             ;   in Loop: Header=BB53_4 Depth=1
	s_or_b32 exec_lo, exec_lo, s26
	s_delay_alu instid0(SALU_CYCLE_1)
	s_and_b32 s26, s27, exec_lo
.LBB53_243:                             ;   in Loop: Header=BB53_4 Depth=1
	s_or_b32 exec_lo, exec_lo, s25
	s_delay_alu instid0(SALU_CYCLE_1)
	s_and_b32 s25, s26, exec_lo
.LBB53_244:                             ;   in Loop: Header=BB53_4 Depth=1
	s_or_b32 exec_lo, exec_lo, s24
	s_delay_alu instid0(SALU_CYCLE_1)
	s_and_b32 s24, s25, exec_lo
.LBB53_245:                             ;   in Loop: Header=BB53_4 Depth=1
	s_or_b32 exec_lo, exec_lo, s23
	s_delay_alu instid0(SALU_CYCLE_1)
	s_and_b32 s23, s24, exec_lo
.LBB53_246:                             ;   in Loop: Header=BB53_4 Depth=1
	s_or_b32 exec_lo, exec_lo, s22
	s_delay_alu instid0(SALU_CYCLE_1)
	s_and_b32 s22, s23, exec_lo
.LBB53_247:                             ;   in Loop: Header=BB53_4 Depth=1
	s_or_b32 exec_lo, exec_lo, s21
	s_delay_alu instid0(SALU_CYCLE_1)
	s_and_b32 s21, s22, exec_lo
.LBB53_248:                             ;   in Loop: Header=BB53_4 Depth=1
	s_or_b32 exec_lo, exec_lo, s20
	s_delay_alu instid0(SALU_CYCLE_1)
	s_and_b32 s20, s21, exec_lo
.LBB53_249:                             ;   in Loop: Header=BB53_4 Depth=1
	s_or_b32 exec_lo, exec_lo, s19
	s_delay_alu instid0(SALU_CYCLE_1)
	s_and_b32 s19, s20, exec_lo
.LBB53_250:                             ;   in Loop: Header=BB53_4 Depth=1
	s_or_b32 exec_lo, exec_lo, s18
	s_delay_alu instid0(SALU_CYCLE_1)
	s_and_b32 s18, s19, exec_lo
.LBB53_251:                             ;   in Loop: Header=BB53_4 Depth=1
	s_or_b32 exec_lo, exec_lo, s17
	s_delay_alu instid0(SALU_CYCLE_1)
	s_and_b32 s17, s18, exec_lo
.LBB53_252:                             ;   in Loop: Header=BB53_4 Depth=1
	s_or_b32 exec_lo, exec_lo, s16
	s_delay_alu instid0(SALU_CYCLE_1)
	s_and_b32 s16, s17, exec_lo
.LBB53_253:                             ;   in Loop: Header=BB53_4 Depth=1
	s_or_b32 exec_lo, exec_lo, s15
	s_delay_alu instid0(SALU_CYCLE_1)
	s_and_b32 s15, s16, exec_lo
.LBB53_254:                             ;   in Loop: Header=BB53_4 Depth=1
	s_or_b32 exec_lo, exec_lo, s14
	s_delay_alu instid0(SALU_CYCLE_1)
	s_and_b32 s14, s15, exec_lo
.LBB53_255:                             ;   in Loop: Header=BB53_4 Depth=1
	s_or_b32 exec_lo, exec_lo, s13
	s_delay_alu instid0(SALU_CYCLE_1)
	s_and_b32 s13, s14, exec_lo
.LBB53_256:                             ;   in Loop: Header=BB53_4 Depth=1
	s_or_b32 exec_lo, exec_lo, s10
	s_delay_alu instid0(SALU_CYCLE_1)
	s_and_b32 s10, s13, exec_lo
.LBB53_257:                             ;   in Loop: Header=BB53_4 Depth=1
	s_or_b32 exec_lo, exec_lo, s8
	v_cndmask_b32_e64 v3, 0, 1, s10
	s_mov_b32 s13, exec_lo
	s_delay_alu instid0(VALU_DEP_1)
	v_cmp_ne_u32_e32 vcc_lo, 0, v3
	s_and_saveexec_b32 s8, s0
	s_cbranch_execz .LBB53_3
; %bb.258:                              ;   in Loop: Header=BB53_4 Depth=1
	s_cmp_eq_u32 vcc_lo, s13
	s_cselect_b32 s10, -1, 0
	s_delay_alu instid0(SALU_CYCLE_1)
	v_cndmask_b32_e64 v3, 0, 1, s10
	ds_store_b32 v1, v3
	s_branch .LBB53_3
.LBB53_259:                             ;   in Loop: Header=BB53_4 Depth=1
	s_cbranch_execz .LBB53_4
.LBB53_260:
	s_mov_b32 s0, exec_lo
	v_cmpx_eq_u32_e32 0, v0
	s_cbranch_execz .LBB53_262
; %bb.261:
	s_mul_i32 s0, s11, s12
	v_mov_b32_e32 v1, s4
	s_add_co_i32 s0, s0, s1
	s_delay_alu instid0(SALU_CYCLE_1)
	v_mov_b32_e32 v0, s0
	global_store_b32 v0, v1, s[6:7] scale_offset
.LBB53_262:
	s_endpgm
	.section	.rodata,"a",@progbits
	.p2align	6, 0x0
	.amdhsa_kernel _ZL25flash_attn_mask_to_KV_maxILi64EEvPK7__half2Piiii
		.amdhsa_group_segment_fixed_size 128
		.amdhsa_private_segment_fixed_size 0
		.amdhsa_kernarg_size 288
		.amdhsa_user_sgpr_count 2
		.amdhsa_user_sgpr_dispatch_ptr 0
		.amdhsa_user_sgpr_queue_ptr 0
		.amdhsa_user_sgpr_kernarg_segment_ptr 1
		.amdhsa_user_sgpr_dispatch_id 0
		.amdhsa_user_sgpr_kernarg_preload_length 0
		.amdhsa_user_sgpr_kernarg_preload_offset 0
		.amdhsa_user_sgpr_private_segment_size 0
		.amdhsa_wavefront_size32 1
		.amdhsa_uses_dynamic_stack 0
		.amdhsa_enable_private_segment 0
		.amdhsa_system_sgpr_workgroup_id_x 1
		.amdhsa_system_sgpr_workgroup_id_y 1
		.amdhsa_system_sgpr_workgroup_id_z 0
		.amdhsa_system_sgpr_workgroup_info 0
		.amdhsa_system_vgpr_workitem_id 0
		.amdhsa_next_free_vgpr 8
		.amdhsa_next_free_sgpr 105
		.amdhsa_named_barrier_count 0
		.amdhsa_reserve_vcc 1
		.amdhsa_float_round_mode_32 0
		.amdhsa_float_round_mode_16_64 0
		.amdhsa_float_denorm_mode_32 3
		.amdhsa_float_denorm_mode_16_64 3
		.amdhsa_fp16_overflow 0
		.amdhsa_memory_ordered 1
		.amdhsa_forward_progress 1
		.amdhsa_inst_pref_size 59
		.amdhsa_round_robin_scheduling 0
		.amdhsa_exception_fp_ieee_invalid_op 0
		.amdhsa_exception_fp_denorm_src 0
		.amdhsa_exception_fp_ieee_div_zero 0
		.amdhsa_exception_fp_ieee_overflow 0
		.amdhsa_exception_fp_ieee_underflow 0
		.amdhsa_exception_fp_ieee_inexact 0
		.amdhsa_exception_int_div_zero 0
	.end_amdhsa_kernel
	.section	.text._ZL25flash_attn_mask_to_KV_maxILi64EEvPK7__half2Piiii,"axG",@progbits,_ZL25flash_attn_mask_to_KV_maxILi64EEvPK7__half2Piiii,comdat
.Lfunc_end53:
	.size	_ZL25flash_attn_mask_to_KV_maxILi64EEvPK7__half2Piiii, .Lfunc_end53-_ZL25flash_attn_mask_to_KV_maxILi64EEvPK7__half2Piiii
                                        ; -- End function
	.set _ZL25flash_attn_mask_to_KV_maxILi64EEvPK7__half2Piiii.num_vgpr, 8
	.set _ZL25flash_attn_mask_to_KV_maxILi64EEvPK7__half2Piiii.num_agpr, 0
	.set _ZL25flash_attn_mask_to_KV_maxILi64EEvPK7__half2Piiii.numbered_sgpr, 105
	.set _ZL25flash_attn_mask_to_KV_maxILi64EEvPK7__half2Piiii.num_named_barrier, 0
	.set _ZL25flash_attn_mask_to_KV_maxILi64EEvPK7__half2Piiii.private_seg_size, 0
	.set _ZL25flash_attn_mask_to_KV_maxILi64EEvPK7__half2Piiii.uses_vcc, 1
	.set _ZL25flash_attn_mask_to_KV_maxILi64EEvPK7__half2Piiii.uses_flat_scratch, 0
	.set _ZL25flash_attn_mask_to_KV_maxILi64EEvPK7__half2Piiii.has_dyn_sized_stack, 0
	.set _ZL25flash_attn_mask_to_KV_maxILi64EEvPK7__half2Piiii.has_recursion, 0
	.set _ZL25flash_attn_mask_to_KV_maxILi64EEvPK7__half2Piiii.has_indirect_call, 0
	.section	.AMDGPU.csdata,"",@progbits
; Kernel info:
; codeLenInByte = 7440
; TotalNumSgprs: 107
; NumVgprs: 8
; ScratchSize: 0
; MemoryBound: 0
; FloatMode: 240
; IeeeMode: 1
; LDSByteSize: 128 bytes/workgroup (compile time only)
; SGPRBlocks: 0
; VGPRBlocks: 0
; NumSGPRsForWavesPerEU: 107
; NumVGPRsForWavesPerEU: 8
; NamedBarCnt: 0
; Occupancy: 16
; WaveLimiterHint : 0
; COMPUTE_PGM_RSRC2:SCRATCH_EN: 0
; COMPUTE_PGM_RSRC2:USER_SGPR: 2
; COMPUTE_PGM_RSRC2:TRAP_HANDLER: 0
; COMPUTE_PGM_RSRC2:TGID_X_EN: 1
; COMPUTE_PGM_RSRC2:TGID_Y_EN: 1
; COMPUTE_PGM_RSRC2:TGID_Z_EN: 0
; COMPUTE_PGM_RSRC2:TIDIG_COMP_CNT: 0
	.section	.text._ZL33flash_attn_stream_k_fixup_uniformILi128ELi64ELi1EEvPfPK15HIP_vector_typeIfLj2EEiiiiiiS1_IjLj3EES5_S5_,"axG",@progbits,_ZL33flash_attn_stream_k_fixup_uniformILi128ELi64ELi1EEvPfPK15HIP_vector_typeIfLj2EEiiiiiiS1_IjLj3EES5_S5_,comdat
	.globl	_ZL33flash_attn_stream_k_fixup_uniformILi128ELi64ELi1EEvPfPK15HIP_vector_typeIfLj2EEiiiiiiS1_IjLj3EES5_S5_ ; -- Begin function _ZL33flash_attn_stream_k_fixup_uniformILi128ELi64ELi1EEvPfPK15HIP_vector_typeIfLj2EEiiiiiiS1_IjLj3EES5_S5_
	.p2align	8
	.type	_ZL33flash_attn_stream_k_fixup_uniformILi128ELi64ELi1EEvPfPK15HIP_vector_typeIfLj2EEiiiiiiS1_IjLj3EES5_S5_,@function
_ZL33flash_attn_stream_k_fixup_uniformILi128ELi64ELi1EEvPfPK15HIP_vector_typeIfLj2EEiiiiiiS1_IjLj3EES5_S5_: ; @_ZL33flash_attn_stream_k_fixup_uniformILi128ELi64ELi1EEvPfPK15HIP_vector_typeIfLj2EEiiiiiiS1_IjLj3EES5_S5_
; %bb.0:
	s_load_b256 s[4:11], s[0:1], 0x1c
	s_bfe_u32 s2, ttmp6, 0x40014
	s_lshr_b32 s3, ttmp7, 16
	s_add_co_i32 s2, s2, 1
	s_bfe_u32 s13, ttmp6, 0x40010
	s_mul_i32 s2, s3, s2
	s_bfe_u32 s12, ttmp6, 0x40008
	s_and_b32 s14, ttmp7, 0xffff
	s_add_co_i32 s13, s13, 1
	s_bfe_u32 s15, ttmp6, 0x4000c
	s_add_co_i32 s2, s12, s2
	s_mul_i32 s12, s14, s13
	s_bfe_u32 s13, ttmp6, 0x40004
	s_add_co_i32 s15, s15, 1
	s_add_co_i32 s13, s13, s12
	s_and_b32 s12, ttmp6, 15
	s_mul_i32 s15, ttmp9, s15
	s_getreg_b32 s20, hwreg(HW_REG_IB_STS2, 6, 4)
	s_add_co_i32 s12, s12, s15
	s_load_b128 s[16:19], s[0:1], 0x3c
	s_cmp_eq_u32 s20, 0
	s_cselect_b32 s12, ttmp9, s12
	s_cselect_b32 s13, s14, s13
	s_wait_kmcnt 0x0
	s_mul_hi_u32 s7, s7, s12
	s_cselect_b32 s14, s3, s2
	s_add_co_i32 s2, s12, s7
	s_delay_alu instid0(SALU_CYCLE_1) | instskip(NEXT) | instid1(SALU_CYCLE_1)
	s_lshr_b32 s7, s2, s8
	s_mul_i32 s2, s7, s9
	s_delay_alu instid0(SALU_CYCLE_1) | instskip(NEXT) | instid1(SALU_CYCLE_1)
	s_sub_co_i32 s8, s12, s2
	s_mul_hi_u32 s2, s8, s10
	s_delay_alu instid0(SALU_CYCLE_1) | instskip(SKIP_2) | instid1(SALU_CYCLE_1)
	s_add_co_i32 s9, s8, s2
	s_load_b64 s[2:3], s[0:1], 0x10
	s_lshr_b32 s15, s9, s11
	s_mul_i32 s9, s15, s16
	s_delay_alu instid0(SALU_CYCLE_1) | instskip(NEXT) | instid1(SALU_CYCLE_1)
	s_sub_co_i32 s8, s8, s9
	s_mul_hi_u32 s9, s8, s17
	s_delay_alu instid0(SALU_CYCLE_1) | instskip(NEXT) | instid1(SALU_CYCLE_1)
	s_add_co_i32 s9, s8, s9
	s_lshr_b32 s16, s9, s18
	s_delay_alu instid0(SALU_CYCLE_1) | instskip(NEXT) | instid1(SALU_CYCLE_1)
	s_mul_i32 s9, s16, s19
	s_sub_co_i32 s17, s8, s9
	s_delay_alu instid0(SALU_CYCLE_1) | instskip(NEXT) | instid1(SALU_CYCLE_1)
	s_lshl_b32 s8, s17, 6
	s_add_co_i32 s8, s8, s13
	s_wait_kmcnt 0x0
	s_cmp_lt_i32 s8, s2
	s_cselect_b32 s8, -1, 0
	s_add_co_i32 s9, s16, s14
	s_delay_alu instid0(SALU_CYCLE_1) | instskip(SKIP_1) | instid1(SALU_CYCLE_1)
	s_cmp_lt_i32 s9, s5
	s_cselect_b32 s9, -1, 0
	s_and_b32 s8, s8, s9
	s_delay_alu instid0(SALU_CYCLE_1)
	s_and_not1_b32 vcc_lo, exec_lo, s8
	s_cbranch_vccnz .LBB54_6
; %bb.1:
	s_mul_i32 s2, s7, s2
	s_load_b128 s[8:11], s[0:1], 0x0
	s_wait_xcnt 0x0
	s_add_co_i32 s0, s2, s13
	s_mul_i32 s15, s15, s5
	s_mul_i32 s0, s0, s3
	;; [unrolled: 1-line block ×3, first 2 shown]
	s_add_co_i32 s0, s0, s14
	s_lshl_b32 s1, s1, 13
	s_add_co_i32 s0, s0, s15
	s_mul_i32 s7, s6, s12
	s_add_co_i32 s0, s0, s16
	s_add_co_i32 s5, s7, s6
	s_lshl_b32 s0, s0, 7
	s_add_co_i32 s13, s13, s14
	s_add_co_i32 s1, s1, s0
	s_lshl_b32 s0, s5, 6
	v_or_b32_e32 v4, s1, v0
	s_add_co_i32 s0, s13, s0
	s_add_co_i32 s2, s5, -2
	s_sub_co_i32 s0, s0, 64
	s_delay_alu instid0(SALU_CYCLE_1)
	s_ashr_i32 s1, s0, 31
	s_wait_kmcnt 0x0
	global_load_b32 v3, v4, s[8:9] scale_offset
	s_lshl_b64 s[0:1], s[0:1], 3
	v_ashrrev_i32_e32 v5, 31, v4
	s_add_nc_u64 s[0:1], s[10:11], s[0:1]
	s_cmp_lt_i32 s2, s7
	s_load_b32 s14, s[0:1], 0x4
	s_cbranch_scc1 .LBB54_4
; %bb.2:
	s_wait_xcnt 0x0
	s_load_b32 s0, s[0:1], 0x0
	s_add_co_i32 s12, s12, 1
	s_lshl_b32 s3, s13, 7
	s_wait_xcnt 0x0
	s_mul_i32 s1, s6, s12
	s_lshl_b32 s2, s4, 8
	s_lshl_b32 s6, s1, 13
	s_lshl_b32 s1, s1, 6
	s_add_co_i32 s6, s3, s6
	s_ashr_i32 s3, s2, 31
	s_wait_kmcnt 0x0
	v_dual_mov_b32 v2, s14 :: v_dual_bitop2_b32 v0, s6, v0 bitop3:0x54
	s_add_co_i32 s1, s13, s1
	s_lshl_b32 s4, s4, 6
	s_lshl_b64 s[2:3], s[2:3], 2
	s_delay_alu instid0(VALU_DEP_1)
	v_add_nc_u32_e32 v0, 0xffffc000, v0
	s_add_co_i32 s4, s1, s4
	s_add_nc_u64 s[2:3], s[10:11], s[2:3]
	s_add_co_i32 s1, s5, -1
	s_addk_co_i32 s4, 0xff80
.LBB54_3:                               ; =>This Inner Loop Header: Depth=1
	global_load_b32 v7, v0, s[2:3] scale_offset
	s_ashr_i32 s5, s4, 31
	v_max_num_f32_e64 v1, s0, s0
	s_lshl_b64 s[12:13], s[4:5], 3
	s_delay_alu instid0(SALU_CYCLE_1) | instskip(SKIP_1) | instid1(VALU_DEP_1)
	s_add_nc_u64 s[12:13], s[10:11], s[12:13]
	s_load_b64 s[12:13], s[12:13], 0x0
	v_readfirstlane_b32 s5, v1
	v_add_nc_u32_e32 v0, 0xffffe000, v0
	s_wait_kmcnt 0x0
	v_max_num_f32_e64 v1, s12, s12
	s_delay_alu instid0(VALU_DEP_1) | instskip(SKIP_1) | instid1(SALU_CYCLE_3)
	v_readfirstlane_b32 s6, v1
	s_max_num_f32 s5, s5, s6
	s_sub_f32 s0, s0, s5
	s_sub_f32 s6, s12, s5
	s_delay_alu instid0(SALU_CYCLE_2) | instskip(NEXT) | instid1(SALU_CYCLE_2)
	s_mul_f32 s12, s0, 0x3fb8aa3b
	s_mul_f32 s14, s6, 0x3fb8aa3b
	s_delay_alu instid0(SALU_CYCLE_2)
	s_xor_b32 s15, s12, 0x80000000
	s_rndne_f32 s16, s12
	s_fmamk_f32 s15, s0, 0x3fb8aa3b, s15
	s_cmp_nlt_f32 s0, 0xc2ce8ed0
	s_rndne_f32 s17, s14
	s_sub_f32 s12, s12, s16
	s_fmamk_f32 s15, s0, 0x32a5705f, s15
	s_cselect_b32 vcc_lo, -1, 0
	s_cmp_ngt_f32 s0, 0x42b17218
	s_delay_alu instid0(SALU_CYCLE_1) | instskip(SKIP_2) | instid1(SALU_CYCLE_1)
	s_add_f32 s12, s12, s15
	s_cvt_i32_f32 s15, s16
	s_sub_f32 s16, s14, s17
	v_s_exp_f32 s12, s12
	v_nop
	s_delay_alu instid0(TRANS32_DEP_1) | instskip(SKIP_1) | instid1(VALU_DEP_1)
	v_ldexp_f32 v1, s12, s15
	s_cvt_i32_f32 s12, s17
	v_cndmask_b32_e32 v1, 0, v1, vcc_lo
	s_cselect_b32 vcc_lo, -1, 0
	s_cmp_ge_f32 s0, 0xc1a00000
	s_delay_alu instid0(VALU_DEP_1)
	v_cndmask_b32_e32 v1, 0x7f800000, v1, vcc_lo
	s_cselect_b32 vcc_lo, -1, 0
	s_xor_b32 s0, s14, 0x80000000
	s_cmp_nlt_f32 s6, 0xc2ce8ed0
	s_fmamk_f32 s0, s6, 0x3fb8aa3b, s0
	v_cndmask_b32_e32 v10, 0, v1, vcc_lo
	s_delay_alu instid0(SALU_CYCLE_2) | instskip(NEXT) | instid1(SALU_CYCLE_3)
	s_fmamk_f32 s0, s6, 0x32a5705f, s0
	s_add_f32 s0, s16, s0
	s_delay_alu instid0(SALU_CYCLE_3) | instskip(SKIP_1) | instid1(TRANS32_DEP_1)
	v_s_exp_f32 s0, s0
	v_nop
	v_ldexp_f32 v6, s0, s12
	s_cselect_b32 s0, -1, 0
	s_cmp_ngt_f32 s6, 0x42b17218
	s_delay_alu instid0(VALU_DEP_1) | instskip(SKIP_2) | instid1(VALU_DEP_1)
	v_cndmask_b32_e64 v6, 0, v6, s0
	s_cselect_b32 s0, -1, 0
	s_cmp_ge_f32 s6, 0xc1a00000
	v_cndmask_b32_e64 v8, 0x7f800000, v6, s0
	s_cselect_b32 s0, -1, 0
	v_mov_b32_e32 v6, s13
	s_add_co_i32 s1, s1, -1
	s_sub_co_i32 s4, s4, 64
	v_cndmask_b32_e64 v8, 0, v8, s0
	s_cmp_le_i32 s1, s7
	s_mov_b32 s0, s5
	s_wait_loadcnt 0x0
	s_delay_alu instid0(VALU_DEP_1) | instskip(NEXT) | instid1(VALU_DEP_1)
	v_pk_mul_f32 v[6:7], v[6:7], v[8:9] op_sel_hi:[1,0]
	v_pk_fma_f32 v[2:3], v[2:3], v[10:11], v[6:7] op_sel_hi:[1,0,1]
	s_cbranch_scc0 .LBB54_3
	s_branch .LBB54_5
.LBB54_4:
	s_wait_kmcnt 0x0
	v_mov_b32_e32 v2, s14
.LBB54_5:
	v_lshl_add_u64 v[0:1], v[4:5], 2, s[8:9]
	s_wait_loadcnt 0x0
	s_delay_alu instid0(VALU_DEP_2) | instskip(NEXT) | instid1(VALU_DEP_1)
	v_div_scale_f32 v4, null, v2, v2, v3
	v_rcp_f32_e32 v5, v4
	v_nop
	s_delay_alu instid0(TRANS32_DEP_1) | instskip(NEXT) | instid1(VALU_DEP_1)
	v_fma_f32 v6, -v4, v5, 1.0
	v_fmac_f32_e32 v5, v6, v5
	v_div_scale_f32 v6, vcc_lo, v3, v2, v3
	s_delay_alu instid0(VALU_DEP_1) | instskip(NEXT) | instid1(VALU_DEP_1)
	v_mul_f32_e32 v7, v6, v5
	v_fma_f32 v8, -v4, v7, v6
	s_delay_alu instid0(VALU_DEP_1) | instskip(NEXT) | instid1(VALU_DEP_1)
	v_fmac_f32_e32 v7, v8, v5
	v_fma_f32 v4, -v4, v7, v6
	s_delay_alu instid0(VALU_DEP_1) | instskip(NEXT) | instid1(VALU_DEP_1)
	v_div_fmas_f32 v4, v4, v5, v7
	v_div_fixup_f32 v2, v4, v2, v3
	global_store_b32 v[0:1], v2, off
.LBB54_6:
	s_endpgm
	.section	.rodata,"a",@progbits
	.p2align	6, 0x0
	.amdhsa_kernel _ZL33flash_attn_stream_k_fixup_uniformILi128ELi64ELi1EEvPfPK15HIP_vector_typeIfLj2EEiiiiiiS1_IjLj3EES5_S5_
		.amdhsa_group_segment_fixed_size 0
		.amdhsa_private_segment_fixed_size 0
		.amdhsa_kernarg_size 76
		.amdhsa_user_sgpr_count 2
		.amdhsa_user_sgpr_dispatch_ptr 0
		.amdhsa_user_sgpr_queue_ptr 0
		.amdhsa_user_sgpr_kernarg_segment_ptr 1
		.amdhsa_user_sgpr_dispatch_id 0
		.amdhsa_user_sgpr_kernarg_preload_length 0
		.amdhsa_user_sgpr_kernarg_preload_offset 0
		.amdhsa_user_sgpr_private_segment_size 0
		.amdhsa_wavefront_size32 1
		.amdhsa_uses_dynamic_stack 0
		.amdhsa_enable_private_segment 0
		.amdhsa_system_sgpr_workgroup_id_x 1
		.amdhsa_system_sgpr_workgroup_id_y 1
		.amdhsa_system_sgpr_workgroup_id_z 1
		.amdhsa_system_sgpr_workgroup_info 0
		.amdhsa_system_vgpr_workitem_id 0
		.amdhsa_next_free_vgpr 12
		.amdhsa_next_free_sgpr 21
		.amdhsa_named_barrier_count 0
		.amdhsa_reserve_vcc 1
		.amdhsa_float_round_mode_32 0
		.amdhsa_float_round_mode_16_64 0
		.amdhsa_float_denorm_mode_32 3
		.amdhsa_float_denorm_mode_16_64 3
		.amdhsa_fp16_overflow 0
		.amdhsa_memory_ordered 1
		.amdhsa_forward_progress 1
		.amdhsa_inst_pref_size 9
		.amdhsa_round_robin_scheduling 0
		.amdhsa_exception_fp_ieee_invalid_op 0
		.amdhsa_exception_fp_denorm_src 0
		.amdhsa_exception_fp_ieee_div_zero 0
		.amdhsa_exception_fp_ieee_overflow 0
		.amdhsa_exception_fp_ieee_underflow 0
		.amdhsa_exception_fp_ieee_inexact 0
		.amdhsa_exception_int_div_zero 0
	.end_amdhsa_kernel
	.section	.text._ZL33flash_attn_stream_k_fixup_uniformILi128ELi64ELi1EEvPfPK15HIP_vector_typeIfLj2EEiiiiiiS1_IjLj3EES5_S5_,"axG",@progbits,_ZL33flash_attn_stream_k_fixup_uniformILi128ELi64ELi1EEvPfPK15HIP_vector_typeIfLj2EEiiiiiiS1_IjLj3EES5_S5_,comdat
.Lfunc_end54:
	.size	_ZL33flash_attn_stream_k_fixup_uniformILi128ELi64ELi1EEvPfPK15HIP_vector_typeIfLj2EEiiiiiiS1_IjLj3EES5_S5_, .Lfunc_end54-_ZL33flash_attn_stream_k_fixup_uniformILi128ELi64ELi1EEvPfPK15HIP_vector_typeIfLj2EEiiiiiiS1_IjLj3EES5_S5_
                                        ; -- End function
	.set _ZL33flash_attn_stream_k_fixup_uniformILi128ELi64ELi1EEvPfPK15HIP_vector_typeIfLj2EEiiiiiiS1_IjLj3EES5_S5_.num_vgpr, 12
	.set _ZL33flash_attn_stream_k_fixup_uniformILi128ELi64ELi1EEvPfPK15HIP_vector_typeIfLj2EEiiiiiiS1_IjLj3EES5_S5_.num_agpr, 0
	.set _ZL33flash_attn_stream_k_fixup_uniformILi128ELi64ELi1EEvPfPK15HIP_vector_typeIfLj2EEiiiiiiS1_IjLj3EES5_S5_.numbered_sgpr, 21
	.set _ZL33flash_attn_stream_k_fixup_uniformILi128ELi64ELi1EEvPfPK15HIP_vector_typeIfLj2EEiiiiiiS1_IjLj3EES5_S5_.num_named_barrier, 0
	.set _ZL33flash_attn_stream_k_fixup_uniformILi128ELi64ELi1EEvPfPK15HIP_vector_typeIfLj2EEiiiiiiS1_IjLj3EES5_S5_.private_seg_size, 0
	.set _ZL33flash_attn_stream_k_fixup_uniformILi128ELi64ELi1EEvPfPK15HIP_vector_typeIfLj2EEiiiiiiS1_IjLj3EES5_S5_.uses_vcc, 1
	.set _ZL33flash_attn_stream_k_fixup_uniformILi128ELi64ELi1EEvPfPK15HIP_vector_typeIfLj2EEiiiiiiS1_IjLj3EES5_S5_.uses_flat_scratch, 0
	.set _ZL33flash_attn_stream_k_fixup_uniformILi128ELi64ELi1EEvPfPK15HIP_vector_typeIfLj2EEiiiiiiS1_IjLj3EES5_S5_.has_dyn_sized_stack, 0
	.set _ZL33flash_attn_stream_k_fixup_uniformILi128ELi64ELi1EEvPfPK15HIP_vector_typeIfLj2EEiiiiiiS1_IjLj3EES5_S5_.has_recursion, 0
	.set _ZL33flash_attn_stream_k_fixup_uniformILi128ELi64ELi1EEvPfPK15HIP_vector_typeIfLj2EEiiiiiiS1_IjLj3EES5_S5_.has_indirect_call, 0
	.section	.AMDGPU.csdata,"",@progbits
; Kernel info:
; codeLenInByte = 1080
; TotalNumSgprs: 23
; NumVgprs: 12
; ScratchSize: 0
; MemoryBound: 0
; FloatMode: 240
; IeeeMode: 1
; LDSByteSize: 0 bytes/workgroup (compile time only)
; SGPRBlocks: 0
; VGPRBlocks: 0
; NumSGPRsForWavesPerEU: 23
; NumVGPRsForWavesPerEU: 12
; NamedBarCnt: 0
; Occupancy: 16
; WaveLimiterHint : 0
; COMPUTE_PGM_RSRC2:SCRATCH_EN: 0
; COMPUTE_PGM_RSRC2:USER_SGPR: 2
; COMPUTE_PGM_RSRC2:TRAP_HANDLER: 0
; COMPUTE_PGM_RSRC2:TGID_X_EN: 1
; COMPUTE_PGM_RSRC2:TGID_Y_EN: 1
; COMPUTE_PGM_RSRC2:TGID_Z_EN: 1
; COMPUTE_PGM_RSRC2:TIDIG_COMP_CNT: 0
	.section	.text._ZL33flash_attn_stream_k_fixup_generalILi128ELi64ELi1EEvPfPK15HIP_vector_typeIfLj2EEiiiiS1_IjLj3EES5_S5_S5_,"axG",@progbits,_ZL33flash_attn_stream_k_fixup_generalILi128ELi64ELi1EEvPfPK15HIP_vector_typeIfLj2EEiiiiS1_IjLj3EES5_S5_S5_,comdat
	.globl	_ZL33flash_attn_stream_k_fixup_generalILi128ELi64ELi1EEvPfPK15HIP_vector_typeIfLj2EEiiiiS1_IjLj3EES5_S5_S5_ ; -- Begin function _ZL33flash_attn_stream_k_fixup_generalILi128ELi64ELi1EEvPfPK15HIP_vector_typeIfLj2EEiiiiS1_IjLj3EES5_S5_S5_
	.p2align	8
	.type	_ZL33flash_attn_stream_k_fixup_generalILi128ELi64ELi1EEvPfPK15HIP_vector_typeIfLj2EEiiiiS1_IjLj3EES5_S5_S5_,@function
_ZL33flash_attn_stream_k_fixup_generalILi128ELi64ELi1EEvPfPK15HIP_vector_typeIfLj2EEiiiiS1_IjLj3EES5_S5_S5_: ; @_ZL33flash_attn_stream_k_fixup_generalILi128ELi64ELi1EEvPfPK15HIP_vector_typeIfLj2EEiiiiS1_IjLj3EES5_S5_S5_
; %bb.0:
	s_clause 0x1
	s_load_b128 s[4:7], s[0:1], 0x10
	s_load_b32 s16, s[0:1], 0x50
	s_bfe_u32 s2, ttmp6, 0x4000c
	s_and_b32 s3, ttmp6, 15
	s_add_co_i32 s2, s2, 1
	s_getreg_b32 s15, hwreg(HW_REG_IB_STS2, 6, 4)
	s_mul_i32 s2, ttmp9, s2
	s_mov_b32 s17, 0
	s_add_co_i32 s3, s3, s2
	s_cmp_eq_u32 s15, 0
	s_cselect_b32 s2, ttmp9, s3
	s_delay_alu instid0(SALU_CYCLE_1) | instskip(SKIP_3) | instid1(SALU_CYCLE_1)
	s_ashr_i32 s3, s2, 31
	s_wait_kmcnt 0x0
	s_ashr_i32 s19, s7, 31
	s_mov_b32 s18, s7
	s_mul_u64 s[8:9], s[18:19], s[2:3]
	s_delay_alu instid0(SALU_CYCLE_1) | instskip(NEXT) | instid1(SALU_CYCLE_1)
	s_and_b64 s[10:11], s[8:9], 0xffffffff00000000
	s_cmp_lg_u64 s[10:11], 0
	s_cbranch_scc0 .LBB55_21
; %bb.1:
	s_add_nc_u64 s[10:11], s[16:17], 0
	s_mov_b32 s23, s17
	s_xor_b64 s[10:11], s[10:11], 0
	s_mov_b32 s27, s17
	s_cvt_f32_u32 s3, s10
	s_cvt_f32_u32 s7, s11
	s_sub_nc_u64 s[20:21], 0, s[10:11]
	s_delay_alu instid0(SALU_CYCLE_2) | instskip(NEXT) | instid1(SALU_CYCLE_3)
	s_fmamk_f32 s3, s7, 0x4f800000, s3
	v_s_rcp_f32 s3, s3
	s_delay_alu instid0(TRANS32_DEP_1) | instskip(NEXT) | instid1(SALU_CYCLE_3)
	s_mul_f32 s3, s3, 0x5f7ffffc
	s_mul_f32 s7, s3, 0x2f800000
	s_delay_alu instid0(SALU_CYCLE_3) | instskip(NEXT) | instid1(SALU_CYCLE_3)
	s_trunc_f32 s7, s7
	s_fmamk_f32 s3, s7, 0xcf800000, s3
	s_cvt_u32_f32 s13, s7
	s_delay_alu instid0(SALU_CYCLE_2) | instskip(NEXT) | instid1(SALU_CYCLE_3)
	s_cvt_u32_f32 s12, s3
	s_mul_u64 s[24:25], s[20:21], s[12:13]
	s_delay_alu instid0(SALU_CYCLE_1)
	s_mul_hi_u32 s29, s12, s25
	s_mul_i32 s28, s12, s25
	s_mul_hi_u32 s22, s12, s24
	s_mul_i32 s7, s13, s24
	s_add_nc_u64 s[22:23], s[22:23], s[28:29]
	s_mul_hi_u32 s3, s13, s24
	s_mul_hi_u32 s14, s13, s25
	s_add_co_u32 s7, s22, s7
	s_add_co_ci_u32 s26, s23, s3
	s_mul_i32 s24, s13, s25
	s_add_co_ci_u32 s25, s14, 0
	s_delay_alu instid0(SALU_CYCLE_1) | instskip(SKIP_3) | instid1(SALU_CYCLE_1)
	s_add_nc_u64 s[22:23], s[26:27], s[24:25]
	s_mov_b32 s25, s17
	s_add_co_u32 s12, s12, s22
	s_cselect_b32 s3, -1, 0
	s_cmp_lg_u32 s3, 0
	s_add_co_ci_u32 s13, s13, s23
	s_mov_b32 s23, s17
	s_mul_u64 s[20:21], s[20:21], s[12:13]
	s_delay_alu instid0(SALU_CYCLE_1)
	s_mul_hi_u32 s27, s12, s21
	s_mul_i32 s26, s12, s21
	s_mul_hi_u32 s22, s12, s20
	s_mul_i32 s7, s13, s20
	s_add_nc_u64 s[22:23], s[22:23], s[26:27]
	s_mul_hi_u32 s3, s13, s20
	s_mul_hi_u32 s14, s13, s21
	s_add_co_u32 s7, s22, s7
	s_add_co_ci_u32 s24, s23, s3
	s_mul_i32 s20, s13, s21
	s_add_co_ci_u32 s21, s14, 0
	s_mov_b32 s23, s17
	s_add_nc_u64 s[20:21], s[24:25], s[20:21]
	s_delay_alu instid0(SALU_CYCLE_1) | instskip(SKIP_1) | instid1(SALU_CYCLE_1)
	s_add_co_u32 s3, s12, s20
	s_cselect_b32 s7, -1, 0
	s_cmp_lg_u32 s7, 0
	s_add_co_ci_u32 s7, s13, s21
	s_ashr_i32 s12, s9, 31
	s_delay_alu instid0(SALU_CYCLE_1) | instskip(NEXT) | instid1(SALU_CYCLE_1)
	s_mov_b32 s13, s12
	s_add_nc_u64 s[20:21], s[8:9], s[12:13]
	s_delay_alu instid0(SALU_CYCLE_1) | instskip(NEXT) | instid1(SALU_CYCLE_1)
	s_xor_b64 s[20:21], s[20:21], s[12:13]
	s_mul_hi_u32 s27, s20, s7
	s_mul_i32 s26, s20, s7
	s_mul_hi_u32 s22, s20, s3
	s_mul_hi_u32 s14, s21, s3
	s_mul_i32 s3, s21, s3
	s_add_nc_u64 s[22:23], s[22:23], s[26:27]
	s_mul_hi_u32 s9, s21, s7
	s_add_co_u32 s3, s22, s3
	s_add_co_ci_u32 s24, s23, s14
	s_mul_i32 s26, s21, s7
	s_add_co_ci_u32 s27, s9, 0
	s_delay_alu instid0(SALU_CYCLE_1) | instskip(NEXT) | instid1(SALU_CYCLE_1)
	s_add_nc_u64 s[22:23], s[24:25], s[26:27]
	s_and_b64 s[24:25], s[22:23], 0xffffffff00000000
	s_delay_alu instid0(SALU_CYCLE_1) | instskip(NEXT) | instid1(SALU_CYCLE_1)
	s_or_b32 s24, s24, s22
	s_mul_u64 s[22:23], s[10:11], s[24:25]
	s_add_nc_u64 s[26:27], s[24:25], 1
	s_sub_co_u32 s3, s20, s22
	s_cselect_b32 s7, -1, 0
	s_sub_co_i32 s9, s21, s23
	s_cmp_lg_u32 s7, 0
	s_add_nc_u64 s[28:29], s[24:25], 2
	s_sub_co_ci_u32 s9, s9, s11
	s_sub_co_u32 s14, s3, s10
	s_cselect_b32 s20, -1, 0
	s_delay_alu instid0(SALU_CYCLE_1) | instskip(SKIP_1) | instid1(SALU_CYCLE_1)
	s_cmp_lg_u32 s20, 0
	s_sub_co_ci_u32 s9, s9, 0
	s_cmp_ge_u32 s9, s11
	s_cselect_b32 s20, -1, 0
	s_cmp_ge_u32 s14, s10
	s_cselect_b32 s14, -1, 0
	s_cmp_eq_u32 s9, s11
	s_cselect_b32 s9, s14, s20
	s_delay_alu instid0(SALU_CYCLE_1) | instskip(SKIP_4) | instid1(SALU_CYCLE_1)
	s_cmp_lg_u32 s9, 0
	s_cselect_b32 s9, s28, s26
	s_cselect_b32 s14, s29, s27
	s_cmp_lg_u32 s7, 0
	s_sub_co_ci_u32 s7, s21, s23
	s_cmp_ge_u32 s7, s11
	s_cselect_b32 s20, -1, 0
	s_cmp_ge_u32 s3, s10
	s_cselect_b32 s3, -1, 0
	s_cmp_eq_u32 s7, s11
	s_cselect_b32 s3, s3, s20
	s_delay_alu instid0(SALU_CYCLE_1) | instskip(SKIP_4) | instid1(SALU_CYCLE_1)
	s_cmp_lg_u32 s3, 0
	s_mov_b32 s3, s17
	s_cselect_b32 s11, s14, s25
	s_cselect_b32 s10, s9, s24
	s_xor_b64 s[12:13], s[12:13], 0
	s_xor_b64 s[10:11], s[10:11], s[12:13]
	s_delay_alu instid0(SALU_CYCLE_1)
	s_sub_nc_u64 s[20:21], s[10:11], s[12:13]
	s_and_not1_b32 vcc_lo, exec_lo, s3
	s_cbranch_vccnz .LBB55_3
.LBB55_2:
	v_cvt_f32_u32_e32 v1, s16
	s_sub_co_i32 s7, 0, s16
	s_mov_b32 s21, 0
	s_delay_alu instid0(VALU_DEP_1) | instskip(SKIP_1) | instid1(TRANS32_DEP_1)
	v_rcp_iflag_f32_e32 v1, v1
	v_nop
	v_mul_f32_e32 v1, 0x4f7ffffe, v1
	s_delay_alu instid0(VALU_DEP_1) | instskip(NEXT) | instid1(VALU_DEP_1)
	v_cvt_u32_f32_e32 v1, v1
	v_readfirstlane_b32 s3, v1
	s_mul_i32 s7, s7, s3
	s_delay_alu instid0(SALU_CYCLE_1) | instskip(NEXT) | instid1(SALU_CYCLE_1)
	s_mul_hi_u32 s7, s3, s7
	s_add_co_i32 s3, s3, s7
	s_delay_alu instid0(SALU_CYCLE_1) | instskip(NEXT) | instid1(SALU_CYCLE_1)
	s_mul_hi_u32 s3, s8, s3
	s_mul_i32 s7, s3, s16
	s_delay_alu instid0(SALU_CYCLE_1)
	s_sub_co_i32 s7, s8, s7
	s_add_co_i32 s8, s3, 1
	s_sub_co_i32 s9, s7, s16
	s_cmp_ge_u32 s7, s16
	s_cselect_b32 s3, s8, s3
	s_cselect_b32 s7, s9, s7
	s_add_co_i32 s8, s3, 1
	s_cmp_ge_u32 s7, s16
	s_cselect_b32 s20, s8, s3
.LBB55_3:
	s_add_co_i32 s8, s2, 1
	s_delay_alu instid0(SALU_CYCLE_1) | instskip(NEXT) | instid1(SALU_CYCLE_1)
	s_ashr_i32 s9, s8, 31
	s_mul_u64 s[8:9], s[18:19], s[8:9]
	s_delay_alu instid0(SALU_CYCLE_1) | instskip(NEXT) | instid1(SALU_CYCLE_1)
	s_and_b64 s[10:11], s[8:9], 0xffffffff00000000
	s_cmp_lg_u64 s[10:11], 0
	s_cbranch_scc0 .LBB55_22
; %bb.4:
	s_add_nc_u64 s[10:11], s[16:17], 0
	s_delay_alu instid0(SALU_CYCLE_1) | instskip(SKIP_4) | instid1(SALU_CYCLE_2)
	s_xor_b64 s[12:13], s[10:11], 0
	s_mov_b32 s11, 0
	s_cvt_f32_u32 s3, s12
	s_cvt_f32_u32 s7, s13
	s_sub_nc_u64 s[24:25], 0, s[12:13]
	s_fmamk_f32 s3, s7, 0x4f800000, s3
	s_delay_alu instid0(SALU_CYCLE_3) | instskip(NEXT) | instid1(TRANS32_DEP_1)
	v_s_rcp_f32 s3, s3
	s_mul_f32 s3, s3, 0x5f7ffffc
	s_delay_alu instid0(SALU_CYCLE_3) | instskip(NEXT) | instid1(SALU_CYCLE_3)
	s_mul_f32 s7, s3, 0x2f800000
	s_trunc_f32 s7, s7
	s_delay_alu instid0(SALU_CYCLE_3) | instskip(SKIP_1) | instid1(SALU_CYCLE_2)
	s_fmamk_f32 s3, s7, 0xcf800000, s3
	s_cvt_u32_f32 s23, s7
	s_cvt_u32_f32 s22, s3
	s_delay_alu instid0(SALU_CYCLE_3) | instskip(NEXT) | instid1(SALU_CYCLE_1)
	s_mul_u64 s[26:27], s[24:25], s[22:23]
	s_mul_hi_u32 s29, s22, s27
	s_mul_i32 s28, s22, s27
	s_mul_hi_u32 s10, s22, s26
	s_mul_i32 s7, s23, s26
	s_add_nc_u64 s[28:29], s[10:11], s[28:29]
	s_mul_hi_u32 s3, s23, s26
	s_mul_hi_u32 s14, s23, s27
	s_add_co_u32 s7, s28, s7
	s_add_co_ci_u32 s10, s29, s3
	s_mul_i32 s26, s23, s27
	s_add_co_ci_u32 s27, s14, 0
	s_delay_alu instid0(SALU_CYCLE_1) | instskip(NEXT) | instid1(SALU_CYCLE_1)
	s_add_nc_u64 s[26:27], s[10:11], s[26:27]
	s_add_co_u32 s22, s22, s26
	s_cselect_b32 s3, -1, 0
	s_delay_alu instid0(SALU_CYCLE_1) | instskip(SKIP_1) | instid1(SALU_CYCLE_1)
	s_cmp_lg_u32 s3, 0
	s_add_co_ci_u32 s23, s23, s27
	s_mul_u64 s[24:25], s[24:25], s[22:23]
	s_delay_alu instid0(SALU_CYCLE_1)
	s_mul_hi_u32 s27, s22, s25
	s_mul_i32 s26, s22, s25
	s_mul_hi_u32 s10, s22, s24
	s_mul_i32 s7, s23, s24
	s_add_nc_u64 s[26:27], s[10:11], s[26:27]
	s_mul_hi_u32 s3, s23, s24
	s_mul_hi_u32 s14, s23, s25
	s_add_co_u32 s7, s26, s7
	s_add_co_ci_u32 s10, s27, s3
	s_mul_i32 s24, s23, s25
	s_add_co_ci_u32 s25, s14, 0
	s_delay_alu instid0(SALU_CYCLE_1) | instskip(NEXT) | instid1(SALU_CYCLE_1)
	s_add_nc_u64 s[24:25], s[10:11], s[24:25]
	s_add_co_u32 s3, s22, s24
	s_cselect_b32 s7, -1, 0
	s_delay_alu instid0(SALU_CYCLE_1) | instskip(SKIP_2) | instid1(SALU_CYCLE_1)
	s_cmp_lg_u32 s7, 0
	s_add_co_ci_u32 s7, s23, s25
	s_ashr_i32 s22, s9, 31
	s_mov_b32 s23, s22
	s_delay_alu instid0(SALU_CYCLE_1) | instskip(NEXT) | instid1(SALU_CYCLE_1)
	s_add_nc_u64 s[24:25], s[8:9], s[22:23]
	s_xor_b64 s[24:25], s[24:25], s[22:23]
	s_delay_alu instid0(SALU_CYCLE_1)
	s_mul_hi_u32 s27, s24, s7
	s_mul_i32 s26, s24, s7
	s_mul_hi_u32 s10, s24, s3
	s_mul_hi_u32 s14, s25, s3
	s_mul_i32 s3, s25, s3
	s_add_nc_u64 s[26:27], s[10:11], s[26:27]
	s_mul_hi_u32 s9, s25, s7
	s_add_co_u32 s3, s26, s3
	s_add_co_ci_u32 s10, s27, s14
	s_mul_i32 s28, s25, s7
	s_add_co_ci_u32 s29, s9, 0
	s_delay_alu instid0(SALU_CYCLE_1) | instskip(NEXT) | instid1(SALU_CYCLE_1)
	s_add_nc_u64 s[26:27], s[10:11], s[28:29]
	s_and_b64 s[28:29], s[26:27], 0xffffffff00000000
	s_delay_alu instid0(SALU_CYCLE_1) | instskip(NEXT) | instid1(SALU_CYCLE_1)
	s_or_b32 s28, s28, s26
	s_mul_u64 s[26:27], s[12:13], s[28:29]
	s_add_nc_u64 s[30:31], s[28:29], 1
	s_sub_co_u32 s3, s24, s26
	s_cselect_b32 s7, -1, 0
	s_sub_co_i32 s9, s25, s27
	s_cmp_lg_u32 s7, 0
	s_add_nc_u64 s[34:35], s[28:29], 2
	s_sub_co_ci_u32 s9, s9, s13
	s_sub_co_u32 s10, s3, s12
	s_cselect_b32 s14, -1, 0
	s_delay_alu instid0(SALU_CYCLE_1) | instskip(SKIP_1) | instid1(SALU_CYCLE_1)
	s_cmp_lg_u32 s14, 0
	s_sub_co_ci_u32 s9, s9, 0
	s_cmp_ge_u32 s9, s13
	s_cselect_b32 s14, -1, 0
	s_cmp_ge_u32 s10, s12
	s_cselect_b32 s10, -1, 0
	s_cmp_eq_u32 s9, s13
	s_cselect_b32 s9, s10, s14
	s_delay_alu instid0(SALU_CYCLE_1) | instskip(SKIP_4) | instid1(SALU_CYCLE_1)
	s_cmp_lg_u32 s9, 0
	s_cselect_b32 s9, s34, s30
	s_cselect_b32 s10, s35, s31
	s_cmp_lg_u32 s7, 0
	s_sub_co_ci_u32 s7, s25, s27
	s_cmp_ge_u32 s7, s13
	s_cselect_b32 s14, -1, 0
	s_cmp_ge_u32 s3, s12
	s_cselect_b32 s3, -1, 0
	s_cmp_eq_u32 s7, s13
	s_cselect_b32 s3, s3, s14
	s_delay_alu instid0(SALU_CYCLE_1) | instskip(SKIP_3) | instid1(SALU_CYCLE_1)
	s_cmp_lg_u32 s3, 0
	s_cselect_b32 s13, s10, s29
	s_cselect_b32 s12, s9, s28
	s_xor_b64 s[22:23], s[22:23], 0
	s_xor_b64 s[12:13], s[12:13], s[22:23]
	s_delay_alu instid0(SALU_CYCLE_1)
	s_sub_nc_u64 s[24:25], s[12:13], s[22:23]
	s_load_b96 s[12:14], s[0:1], 0x44
	s_cbranch_execnz .LBB55_6
.LBB55_5:
	v_cvt_f32_u32_e32 v1, s16
	s_sub_co_i32 s7, 0, s16
	s_delay_alu instid0(VALU_DEP_1) | instskip(SKIP_1) | instid1(TRANS32_DEP_1)
	v_rcp_iflag_f32_e32 v1, v1
	v_nop
	v_mul_f32_e32 v1, 0x4f7ffffe, v1
	s_delay_alu instid0(VALU_DEP_1) | instskip(NEXT) | instid1(VALU_DEP_1)
	v_cvt_u32_f32_e32 v1, v1
	v_readfirstlane_b32 s3, v1
	s_mul_i32 s7, s7, s3
	s_delay_alu instid0(SALU_CYCLE_1) | instskip(NEXT) | instid1(SALU_CYCLE_1)
	s_mul_hi_u32 s7, s3, s7
	s_add_co_i32 s3, s3, s7
	s_delay_alu instid0(SALU_CYCLE_1) | instskip(NEXT) | instid1(SALU_CYCLE_1)
	s_mul_hi_u32 s3, s8, s3
	s_mul_i32 s7, s3, s16
	s_delay_alu instid0(SALU_CYCLE_1)
	s_sub_co_i32 s7, s8, s7
	s_add_co_i32 s8, s3, 1
	s_sub_co_i32 s9, s7, s16
	s_cmp_ge_u32 s7, s16
	s_cselect_b32 s3, s8, s3
	s_cselect_b32 s7, s9, s7
	s_add_co_i32 s8, s3, 1
	s_cmp_ge_u32 s7, s16
	s_cselect_b32 s24, s8, s3
.LBB55_6:
	s_delay_alu instid0(SALU_CYCLE_1)
	s_cmp_eq_u32 s20, s24
	s_mov_b64 s[8:9], 0xffffffff
	s_cselect_b32 s3, -1, 0
	s_and_b64 s[8:9], s[20:21], s[8:9]
	s_mov_b32 s23, 0
	s_wait_kmcnt 0x0
	s_mov_b32 s22, s12
	s_mov_b32 s25, s23
	s_mul_u64 s[10:11], s[8:9], s[22:23]
	s_delay_alu instid0(SALU_CYCLE_1) | instskip(SKIP_2) | instid1(SALU_CYCLE_1)
	s_add_co_i32 s7, s11, s20
	s_mul_u64 s[10:11], s[24:25], s[22:23]
	s_lshr_b32 s12, s7, s13
	s_mul_i32 s7, s12, s14
	s_delay_alu instid0(SALU_CYCLE_1) | instskip(SKIP_2) | instid1(SALU_CYCLE_1)
	s_cmp_eq_u32 s7, s20
	s_cselect_b32 s7, -1, 0
	s_add_co_i32 s10, s11, s24
	s_lshr_b32 s10, s10, s13
	s_delay_alu instid0(SALU_CYCLE_1)
	s_cmp_eq_u32 s12, s10
	s_mul_i32 s10, s10, s14
	s_cselect_b32 s11, -1, 0
	s_cmp_lg_u32 s10, s24
	s_cselect_b32 s10, -1, 0
	s_or_b32 s3, s3, s7
	s_and_b32 s10, s11, s10
	s_delay_alu instid0(SALU_CYCLE_1) | instskip(NEXT) | instid1(SALU_CYCLE_1)
	s_or_b32 s3, s3, s10
	s_and_b32 vcc_lo, exec_lo, s3
	s_cbranch_vccnz .LBB55_24
; %bb.7:
	s_load_b256 s[24:31], s[0:1], 0x20
	s_bfe_u32 s7, ttmp6, 0x40014
	s_bfe_u32 s33, ttmp6, 0x40010
	s_lshr_b32 s3, ttmp7, 16
	s_add_co_i32 s7, s7, 1
	s_and_b32 s21, ttmp7, 0xffff
	s_add_co_i32 s33, s33, 1
	s_bfe_u32 s10, ttmp6, 0x40008
	s_mul_i32 s7, s3, s7
	s_bfe_u32 s34, ttmp6, 0x40004
	s_mul_i32 s33, s21, s33
	s_mov_b32 s11, s23
	s_add_co_i32 s7, s10, s7
	s_add_co_i32 s34, s34, s33
	s_cmp_eq_u32 s15, 0
	s_cselect_b32 s15, s21, s34
	s_cselect_b32 s3, s3, s7
	s_wait_kmcnt 0x0
	s_mov_b32 s10, s24
	s_delay_alu instid0(SALU_CYCLE_1) | instskip(SKIP_2) | instid1(SALU_CYCLE_1)
	s_mul_u64 s[8:9], s[8:9], s[10:11]
	s_load_b32 s8, s[0:1], 0x40
	s_add_co_i32 s7, s9, s20
	s_lshr_b32 s7, s7, s25
	s_delay_alu instid0(SALU_CYCLE_1) | instskip(NEXT) | instid1(SALU_CYCLE_1)
	s_mul_i32 s9, s7, s26
	s_sub_co_i32 s9, s20, s9
	s_delay_alu instid0(SALU_CYCLE_1) | instskip(NEXT) | instid1(SALU_CYCLE_1)
	s_mul_hi_u32 s10, s9, s27
	s_add_co_i32 s10, s9, s10
	s_delay_alu instid0(SALU_CYCLE_1) | instskip(NEXT) | instid1(SALU_CYCLE_1)
	s_lshr_b32 s21, s10, s28
	s_mul_i32 s10, s21, s29
	s_delay_alu instid0(SALU_CYCLE_1) | instskip(NEXT) | instid1(SALU_CYCLE_1)
	s_sub_co_i32 s10, s9, s10
	s_mul_hi_u32 s9, s10, s30
	s_delay_alu instid0(SALU_CYCLE_1) | instskip(NEXT) | instid1(SALU_CYCLE_1)
	s_add_co_i32 s9, s10, s9
	s_lshr_b32 s24, s9, s31
	s_mov_b32 s9, s23
	s_wait_kmcnt 0x0
	s_mul_i32 s8, s24, s8
	s_delay_alu instid0(SALU_CYCLE_1) | instskip(NEXT) | instid1(SALU_CYCLE_1)
	s_sub_co_i32 s8, s10, s8
	s_mul_u64 s[10:11], s[8:9], s[22:23]
	s_delay_alu instid0(SALU_CYCLE_1) | instskip(NEXT) | instid1(SALU_CYCLE_1)
	s_add_co_i32 s8, s8, s11
	s_lshr_b32 s25, s8, s13
	s_delay_alu instid0(SALU_CYCLE_1) | instskip(NEXT) | instid1(SALU_CYCLE_1)
	s_lshl_b32 s8, s25, 6
	s_add_co_i32 s8, s8, s15
	s_delay_alu instid0(SALU_CYCLE_1) | instskip(SKIP_2) | instid1(SALU_CYCLE_1)
	s_cmp_lt_i32 s8, s4
	s_cselect_b32 s8, -1, 0
	s_add_co_i32 s9, s24, s3
	s_cmp_lt_i32 s9, s6
	s_cselect_b32 s9, -1, 0
	s_delay_alu instid0(SALU_CYCLE_1) | instskip(NEXT) | instid1(SALU_CYCLE_1)
	s_and_b32 s8, s8, s9
	s_and_not1_b32 vcc_lo, exec_lo, s8
	s_cbranch_vccnz .LBB55_24
; %bb.8:
	s_mul_i32 s4, s7, s4
	s_load_b128 s[8:11], s[0:1], 0x0
	s_wait_xcnt 0x0
	s_add_co_i32 s0, s4, s15
	s_mul_i32 s21, s21, s6
	s_mul_i32 s0, s0, s5
	;; [unrolled: 1-line block ×3, first 2 shown]
	s_add_co_i32 s0, s0, s3
	s_lshl_b32 s1, s1, 13
	s_add_co_i32 s0, s0, s21
	s_add_co_i32 s15, s15, s3
	;; [unrolled: 1-line block ×3, first 2 shown]
	v_lshl_or_b32 v6, s15, 7, v0
	s_lshl_b32 s0, s0, 7
	v_cvt_f32_u32_e32 v4, s16
	s_add_co_i32 s1, s1, s0
	s_lshl_b32 s24, s16, 8
	v_or_b32_e32 v2, s1, v0
	s_add_nc_u64 s[0:1], s[16:17], 0
	v_rcp_iflag_f32_e32 v4, v4
	s_xor_b64 s[6:7], s[0:1], 0
	s_lshl_b32 s0, s2, 6
	s_cvt_f32_u32 s3, s6
	s_add_co_i32 s0, s0, s15
	s_cvt_f32_u32 s4, s7
	s_ashr_i32 s1, s0, 31
	s_mov_b32 s25, 0
	s_lshl_b64 s[0:1], s[0:1], 3
	s_fmamk_f32 s3, s4, 0x4f800000, s3
	s_wait_kmcnt 0x0
	s_add_nc_u64 s[0:1], s[10:11], s[0:1]
	s_add_co_i32 s36, s2, -1
	s_load_b64 s[28:29], s[0:1], 0x0
	v_s_rcp_f32 s3, s3
	s_wait_xcnt 0x0
	s_lshl_b64 s[0:1], s[24:25], 2
	s_sub_nc_u64 s[34:35], 0, s[6:7]
	s_add_nc_u64 s[26:27], s[10:11], s[0:1]
	v_mul_f32_e32 v4, 0x4f7ffffe, v4
	s_delay_alu instid0(TRANS32_DEP_1) | instskip(NEXT) | instid1(VALU_DEP_1)
	s_mul_f32 s3, s3, 0x5f7ffffc
	v_cvt_u32_f32_e32 v7, v4
	s_delay_alu instid0(SALU_CYCLE_2) | instskip(NEXT) | instid1(SALU_CYCLE_3)
	s_mul_f32 s4, s3, 0x2f800000
	s_trunc_f32 s4, s4
	s_wait_kmcnt 0x0
	v_mov_b32_e32 v0, s29
	global_load_b32 v1, v2, s[8:9] scale_offset
	v_ashrrev_i32_e32 v3, 31, v2
	s_fmamk_f32 s0, s4, 0xcf800000, s3
	s_cvt_u32_f32 s31, s4
	s_wait_xcnt 0x0
	s_delay_alu instid0(VALU_DEP_1)
	v_lshl_add_u64 v[2:3], v[2:3], 2, s[8:9]
	s_cvt_u32_f32 s30, s0
	s_mov_b64 s[8:9], 0xffffffff
.LBB55_9:                               ; =>This Inner Loop Header: Depth=1
	s_ashr_i32 s37, s36, 31
                                        ; implicit-def: $sgpr40_sgpr41
	s_delay_alu instid0(SALU_CYCLE_1) | instskip(NEXT) | instid1(SALU_CYCLE_1)
	s_mul_u64 s[0:1], s[36:37], s[18:19]
	s_and_b64 s[2:3], s[0:1], 0xffffffff00000000
	s_delay_alu instid0(SALU_CYCLE_1)
	s_cmp_lg_u64 s[2:3], 0
	s_mov_b32 s2, -1
	s_cbranch_scc0 .LBB55_11
; %bb.10:                               ;   in Loop: Header=BB55_9 Depth=1
	s_mul_u64 s[2:3], s[34:35], s[30:31]
	s_delay_alu instid0(SALU_CYCLE_1)
	s_mul_hi_u32 s5, s30, s3
	s_mul_i32 s4, s30, s3
	s_mul_hi_u32 s24, s30, s2
	s_mul_hi_u32 s17, s31, s2
	s_add_nc_u64 s[4:5], s[24:25], s[4:5]
	s_mul_i32 s2, s31, s2
	s_mul_hi_u32 s21, s31, s3
	s_add_co_u32 s2, s4, s2
	s_add_co_ci_u32 s24, s5, s17
	s_add_co_ci_u32 s5, s21, 0
	s_mul_i32 s4, s31, s3
	s_delay_alu instid0(SALU_CYCLE_1) | instskip(NEXT) | instid1(SALU_CYCLE_1)
	s_add_nc_u64 s[2:3], s[24:25], s[4:5]
	s_add_co_u32 s2, s30, s2
	s_cselect_b32 s4, -1, 0
	s_delay_alu instid0(SALU_CYCLE_1) | instskip(SKIP_1) | instid1(SALU_CYCLE_1)
	s_cmp_lg_u32 s4, 0
	s_add_co_ci_u32 s3, s31, s3
	s_mul_u64 s[4:5], s[34:35], s[2:3]
	s_delay_alu instid0(SALU_CYCLE_1)
	s_mul_hi_u32 s39, s2, s5
	s_mul_i32 s38, s2, s5
	s_mul_hi_u32 s24, s2, s4
	s_mul_hi_u32 s17, s3, s4
	s_mul_i32 s4, s3, s4
	s_add_nc_u64 s[38:39], s[24:25], s[38:39]
	s_mul_hi_u32 s21, s3, s5
	s_add_co_u32 s4, s38, s4
	s_add_co_ci_u32 s24, s39, s17
	s_mul_i32 s4, s3, s5
	s_add_co_ci_u32 s5, s21, 0
	s_delay_alu instid0(SALU_CYCLE_1) | instskip(NEXT) | instid1(SALU_CYCLE_1)
	s_add_nc_u64 s[4:5], s[24:25], s[4:5]
	s_add_co_u32 s17, s2, s4
	s_cselect_b32 s2, -1, 0
	s_delay_alu instid0(SALU_CYCLE_1) | instskip(SKIP_2) | instid1(SALU_CYCLE_1)
	s_cmp_lg_u32 s2, 0
	s_add_co_ci_u32 s21, s3, s5
	s_ashr_i32 s2, s1, 31
	s_mov_b32 s3, s2
	s_delay_alu instid0(SALU_CYCLE_1) | instskip(NEXT) | instid1(SALU_CYCLE_1)
	s_add_nc_u64 s[4:5], s[0:1], s[2:3]
	s_xor_b64 s[4:5], s[4:5], s[2:3]
	s_delay_alu instid0(SALU_CYCLE_1)
	s_mul_hi_u32 s39, s4, s21
	s_mul_i32 s38, s4, s21
	s_mul_hi_u32 s24, s4, s17
	s_mul_hi_u32 s29, s5, s17
	s_mul_i32 s17, s5, s17
	s_add_nc_u64 s[38:39], s[24:25], s[38:39]
	s_mul_hi_u32 s1, s5, s21
	s_add_co_u32 s17, s38, s17
	s_add_co_ci_u32 s24, s39, s29
	s_mul_i32 s40, s5, s21
	s_add_co_ci_u32 s41, s1, 0
	s_delay_alu instid0(SALU_CYCLE_1) | instskip(NEXT) | instid1(SALU_CYCLE_1)
	s_add_nc_u64 s[38:39], s[24:25], s[40:41]
	s_and_b64 s[40:41], s[38:39], 0xffffffff00000000
	s_delay_alu instid0(SALU_CYCLE_1) | instskip(NEXT) | instid1(SALU_CYCLE_1)
	s_or_b32 s40, s40, s38
	s_mul_u64 s[38:39], s[6:7], s[40:41]
	s_add_nc_u64 s[42:43], s[40:41], 1
	s_sub_co_u32 s1, s4, s38
	s_cselect_b32 s4, -1, 0
	s_sub_co_i32 s17, s5, s39
	s_cmp_lg_u32 s4, 0
	s_add_nc_u64 s[44:45], s[40:41], 2
	s_sub_co_ci_u32 s17, s17, s7
	s_sub_co_u32 s21, s1, s6
	s_cselect_b32 s24, -1, 0
	s_delay_alu instid0(SALU_CYCLE_1) | instskip(SKIP_1) | instid1(SALU_CYCLE_1)
	s_cmp_lg_u32 s24, 0
	s_sub_co_ci_u32 s17, s17, 0
	s_cmp_ge_u32 s17, s7
	s_cselect_b32 s24, -1, 0
	s_cmp_ge_u32 s21, s6
	s_cselect_b32 s21, -1, 0
	s_cmp_eq_u32 s17, s7
	s_cselect_b32 s17, s21, s24
	s_delay_alu instid0(SALU_CYCLE_1) | instskip(SKIP_4) | instid1(SALU_CYCLE_1)
	s_cmp_lg_u32 s17, 0
	s_cselect_b32 s17, s44, s42
	s_cselect_b32 s21, s45, s43
	s_cmp_lg_u32 s4, 0
	s_sub_co_ci_u32 s4, s5, s39
	s_cmp_ge_u32 s4, s7
	s_cselect_b32 s5, -1, 0
	s_cmp_ge_u32 s1, s6
	s_cselect_b32 s1, -1, 0
	s_cmp_eq_u32 s4, s7
	s_cselect_b32 s1, s1, s5
	s_delay_alu instid0(SALU_CYCLE_1) | instskip(SKIP_3) | instid1(SALU_CYCLE_1)
	s_cmp_lg_u32 s1, 0
	s_cselect_b32 s5, s21, s41
	s_cselect_b32 s4, s17, s40
	s_xor_b64 s[2:3], s[2:3], 0
	s_xor_b64 s[4:5], s[4:5], s[2:3]
	s_delay_alu instid0(SALU_CYCLE_1)
	s_sub_nc_u64 s[40:41], s[4:5], s[2:3]
	s_mov_b32 s2, 0
.LBB55_11:                              ;   in Loop: Header=BB55_9 Depth=1
	s_delay_alu instid0(SALU_CYCLE_1)
	s_and_not1_b32 vcc_lo, exec_lo, s2
	s_cbranch_vccnz .LBB55_13
; %bb.12:                               ;   in Loop: Header=BB55_9 Depth=1
	v_readfirstlane_b32 s1, v7
	s_sub_co_i32 s2, 0, s16
	s_delay_alu instid0(SALU_CYCLE_1) | instskip(NEXT) | instid1(SALU_CYCLE_1)
	s_mul_i32 s2, s2, s1
	s_mul_hi_u32 s2, s1, s2
	s_delay_alu instid0(SALU_CYCLE_1) | instskip(NEXT) | instid1(SALU_CYCLE_1)
	s_add_co_i32 s1, s1, s2
	s_mul_hi_u32 s1, s0, s1
	s_delay_alu instid0(SALU_CYCLE_1) | instskip(NEXT) | instid1(SALU_CYCLE_1)
	s_mul_i32 s2, s1, s16
	s_sub_co_i32 s0, s0, s2
	s_add_co_i32 s2, s1, 1
	s_sub_co_i32 s3, s0, s16
	s_cmp_ge_u32 s0, s16
	s_cselect_b32 s1, s2, s1
	s_cselect_b32 s0, s3, s0
	s_add_co_i32 s2, s1, 1
	s_cmp_ge_u32 s0, s16
	s_cselect_b32 s24, s2, s1
	s_delay_alu instid0(SALU_CYCLE_1)
	s_mov_b64 s[40:41], s[24:25]
.LBB55_13:                              ;   in Loop: Header=BB55_9 Depth=1
	s_delay_alu instid0(SALU_CYCLE_1)
	s_cmp_lg_u32 s20, s40
	s_mov_b32 s0, -1
                                        ; implicit-def: $vgpr4_vgpr5
                                        ; implicit-def: $sgpr24
                                        ; implicit-def: $sgpr17
                                        ; implicit-def: $sgpr21
                                        ; implicit-def: $sgpr29
	s_cbranch_scc0 .LBB55_18
; %bb.14:                               ;   in Loop: Header=BB55_9 Depth=1
	s_add_co_i32 s0, s36, s16
	v_max_num_f32_e64 v4, s28, s28
	s_lshl_b32 s0, s0, 6
	s_mov_b32 s29, s20
	s_add_co_i32 s0, s0, s15
	s_load_b64 s[38:39], s[10:11], s0 offset:0x0 scale_offset
	s_wait_xcnt 0x0
	v_readfirstlane_b32 s0, v4
	s_wait_kmcnt 0x0
	v_max_num_f32_e64 v5, s38, s38
	s_delay_alu instid0(VALU_DEP_1) | instskip(SKIP_1) | instid1(SALU_CYCLE_3)
	v_readfirstlane_b32 s1, v5
	s_max_num_f32 s17, s0, s1
	s_sub_f32 s33, s28, s17
	s_sub_f32 s37, s38, s17
	s_delay_alu instid0(SALU_CYCLE_2)
	s_cmp_nlt_f32 s33, 0xc2ce8ed0
	s_cselect_b32 s1, -1, 0
	s_cmp_ngt_f32 s33, 0x42b17218
	s_cselect_b32 s2, -1, 0
	s_cmp_ge_f32 s33, 0xc1a00000
	s_cselect_b32 s0, -1, 0
	s_cmp_nlt_f32 s37, 0xc2ce8ed0
	s_cselect_b32 s3, -1, 0
	s_cmp_ngt_f32 s37, 0x42b17218
	s_cselect_b32 s4, -1, 0
	s_cmp_ge_f32 s37, 0xc1a00000
	s_cselect_b32 s5, -1, 0
	s_and_b64 s[42:43], s[40:41], s[8:9]
	s_delay_alu instid0(SALU_CYCLE_1) | instskip(NEXT) | instid1(SALU_CYCLE_1)
	s_mul_u64 s[42:43], s[42:43], s[22:23]
	s_add_co_i32 s21, s43, s40
	s_delay_alu instid0(SALU_CYCLE_1) | instskip(NEXT) | instid1(SALU_CYCLE_1)
	s_lshr_b32 s21, s21, s13
	s_mul_i32 s24, s21, s14
	s_delay_alu instid0(SALU_CYCLE_1) | instskip(SKIP_3) | instid1(SALU_CYCLE_1)
	s_cmp_eq_u32 s24, s40
	s_cselect_b32 s24, -1, 0
	s_cmp_lt_u32 s21, s12
	s_cselect_b32 s21, -1, 0
	s_or_b32 s21, s21, s24
	s_mov_b32 s24, -1
	s_and_b32 vcc_lo, exec_lo, s21
	s_mov_b32 s21, s36
	s_cbranch_vccnz .LBB55_16
; %bb.15:                               ;   in Loop: Header=BB55_9 Depth=1
	s_add_co_i32 s21, s36, -1
	s_mov_b32 s24, 0
	s_mov_b32 s29, s40
.LBB55_16:                              ;   in Loop: Header=BB55_9 Depth=1
	v_lshl_add_u32 v4, s36, 13, v6
	s_mul_f32 s40, s33, 0x3fb8aa3b
	s_mul_f32 s38, s37, 0x3fb8aa3b
	s_delay_alu instid0(SALU_CYCLE_2)
	s_xor_b32 s42, s40, 0x80000000
	global_load_b32 v5, v4, s[26:27] scale_offset
	s_fmamk_f32 s42, s33, 0x3fb8aa3b, s42
	s_rndne_f32 s44, s40
	s_xor_b32 s41, s38, 0x80000000
	s_rndne_f32 s43, s38
	s_fmamk_f32 s33, s33, 0x32a5705f, s42
	s_sub_f32 s40, s40, s44
	s_fmamk_f32 s41, s37, 0x3fb8aa3b, s41
	s_sub_f32 s38, s38, s43
	s_delay_alu instid0(SALU_CYCLE_1) | instskip(NEXT) | instid1(SALU_CYCLE_1)
	s_add_f32 s33, s40, s33
	s_fmamk_f32 s37, s37, 0x32a5705f, s41
	s_cvt_i32_f32 s40, s44
	s_delay_alu instid0(SALU_CYCLE_1) | instskip(NEXT) | instid1(SALU_CYCLE_1)
	v_s_exp_f32 s33, s33
	s_add_f32 s37, s38, s37
	s_cvt_i32_f32 s38, s43
	s_delay_alu instid0(SALU_CYCLE_2) | instskip(NEXT) | instid1(TRANS32_DEP_2)
	v_s_exp_f32 s37, s37
	v_ldexp_f32 v8, s33, s40
	s_wait_xcnt 0x0
	s_delay_alu instid0(TRANS32_DEP_1) | instskip(NEXT) | instid1(VALU_DEP_2)
	v_ldexp_f32 v4, s37, s38
	v_cndmask_b32_e64 v8, 0, v8, s1
	s_delay_alu instid0(VALU_DEP_1) | instskip(NEXT) | instid1(VALU_DEP_1)
	v_cndmask_b32_e64 v9, 0x7f800000, v8, s2
	v_dual_cndmask_b32 v4, 0, v4, s3 :: v_dual_cndmask_b32 v10, 0, v9, s0
	s_delay_alu instid0(VALU_DEP_1) | instskip(NEXT) | instid1(VALU_DEP_1)
	v_cndmask_b32_e64 v4, 0x7f800000, v4, s4
	v_dual_cndmask_b32 v8, 0, v4, s5 :: v_dual_mov_b32 v4, s39
	s_wait_loadcnt 0x0
	s_delay_alu instid0(VALU_DEP_1) | instskip(NEXT) | instid1(VALU_DEP_1)
	v_pk_mul_f32 v[4:5], v[4:5], v[8:9] op_sel_hi:[1,0]
	v_pk_fma_f32 v[4:5], v[0:1], v[10:11], v[4:5] op_sel_hi:[1,0,1]
	s_cbranch_execz .LBB55_19
.LBB55_17:                              ;   in Loop: Header=BB55_9 Depth=1
	s_and_not1_b32 vcc_lo, exec_lo, s24
	s_cbranch_vccnz .LBB55_20
	s_branch .LBB55_23
.LBB55_18:                              ;   in Loop: Header=BB55_9 Depth=1
	s_and_not1_b32 vcc_lo, exec_lo, s0
	s_cbranch_vccnz .LBB55_17
.LBB55_19:                              ;   in Loop: Header=BB55_9 Depth=1
	s_wait_loadcnt 0x0
	v_mov_b64_e32 v[4:5], v[0:1]
	s_add_co_i32 s21, s36, -1
	s_mov_b32 s29, s20
	s_mov_b32 s17, s28
	s_cbranch_execz .LBB55_23
.LBB55_20:                              ;   in Loop: Header=BB55_9 Depth=1
	s_wait_loadcnt 0x0
	s_delay_alu instid0(VALU_DEP_1)
	v_mov_b64_e32 v[0:1], v[4:5]
	s_mov_b32 s20, s29
	s_mov_b32 s36, s21
	;; [unrolled: 1-line block ×3, first 2 shown]
	s_branch .LBB55_9
.LBB55_21:
                                        ; implicit-def: $sgpr20_sgpr21
	s_branch .LBB55_2
.LBB55_22:
                                        ; implicit-def: $sgpr24_sgpr25
	s_load_b96 s[12:14], s[0:1], 0x44
	s_branch .LBB55_5
.LBB55_23:
	s_delay_alu instid0(VALU_DEP_1) | instskip(SKIP_1) | instid1(VALU_DEP_1)
	v_div_scale_f32 v0, null, v4, v4, v5
	s_wait_loadcnt 0x0
	v_rcp_f32_e32 v1, v0
	v_nop
	s_delay_alu instid0(TRANS32_DEP_1) | instskip(NEXT) | instid1(VALU_DEP_1)
	v_fma_f32 v6, -v0, v1, 1.0
	v_fmac_f32_e32 v1, v6, v1
	v_div_scale_f32 v6, vcc_lo, v5, v4, v5
	s_delay_alu instid0(VALU_DEP_1) | instskip(NEXT) | instid1(VALU_DEP_1)
	v_mul_f32_e32 v7, v6, v1
	v_fma_f32 v8, -v0, v7, v6
	s_delay_alu instid0(VALU_DEP_1) | instskip(NEXT) | instid1(VALU_DEP_1)
	v_fmac_f32_e32 v7, v8, v1
	v_fma_f32 v0, -v0, v7, v6
	s_delay_alu instid0(VALU_DEP_1) | instskip(NEXT) | instid1(VALU_DEP_1)
	v_div_fmas_f32 v0, v0, v1, v7
	v_div_fixup_f32 v0, v0, v4, v5
	global_store_b32 v[2:3], v0, off
.LBB55_24:
	s_endpgm
	.section	.rodata,"a",@progbits
	.p2align	6, 0x0
	.amdhsa_kernel _ZL33flash_attn_stream_k_fixup_generalILi128ELi64ELi1EEvPfPK15HIP_vector_typeIfLj2EEiiiiS1_IjLj3EES5_S5_S5_
		.amdhsa_group_segment_fixed_size 0
		.amdhsa_private_segment_fixed_size 0
		.amdhsa_kernarg_size 336
		.amdhsa_user_sgpr_count 2
		.amdhsa_user_sgpr_dispatch_ptr 0
		.amdhsa_user_sgpr_queue_ptr 0
		.amdhsa_user_sgpr_kernarg_segment_ptr 1
		.amdhsa_user_sgpr_dispatch_id 0
		.amdhsa_user_sgpr_kernarg_preload_length 0
		.amdhsa_user_sgpr_kernarg_preload_offset 0
		.amdhsa_user_sgpr_private_segment_size 0
		.amdhsa_wavefront_size32 1
		.amdhsa_uses_dynamic_stack 0
		.amdhsa_enable_private_segment 0
		.amdhsa_system_sgpr_workgroup_id_x 1
		.amdhsa_system_sgpr_workgroup_id_y 1
		.amdhsa_system_sgpr_workgroup_id_z 1
		.amdhsa_system_sgpr_workgroup_info 0
		.amdhsa_system_vgpr_workitem_id 0
		.amdhsa_next_free_vgpr 12
		.amdhsa_next_free_sgpr 46
		.amdhsa_named_barrier_count 0
		.amdhsa_reserve_vcc 1
		.amdhsa_float_round_mode_32 0
		.amdhsa_float_round_mode_16_64 0
		.amdhsa_float_denorm_mode_32 3
		.amdhsa_float_denorm_mode_16_64 3
		.amdhsa_fp16_overflow 0
		.amdhsa_memory_ordered 1
		.amdhsa_forward_progress 1
		.amdhsa_inst_pref_size 27
		.amdhsa_round_robin_scheduling 0
		.amdhsa_exception_fp_ieee_invalid_op 0
		.amdhsa_exception_fp_denorm_src 0
		.amdhsa_exception_fp_ieee_div_zero 0
		.amdhsa_exception_fp_ieee_overflow 0
		.amdhsa_exception_fp_ieee_underflow 0
		.amdhsa_exception_fp_ieee_inexact 0
		.amdhsa_exception_int_div_zero 0
	.end_amdhsa_kernel
	.section	.text._ZL33flash_attn_stream_k_fixup_generalILi128ELi64ELi1EEvPfPK15HIP_vector_typeIfLj2EEiiiiS1_IjLj3EES5_S5_S5_,"axG",@progbits,_ZL33flash_attn_stream_k_fixup_generalILi128ELi64ELi1EEvPfPK15HIP_vector_typeIfLj2EEiiiiS1_IjLj3EES5_S5_S5_,comdat
.Lfunc_end55:
	.size	_ZL33flash_attn_stream_k_fixup_generalILi128ELi64ELi1EEvPfPK15HIP_vector_typeIfLj2EEiiiiS1_IjLj3EES5_S5_S5_, .Lfunc_end55-_ZL33flash_attn_stream_k_fixup_generalILi128ELi64ELi1EEvPfPK15HIP_vector_typeIfLj2EEiiiiS1_IjLj3EES5_S5_S5_
                                        ; -- End function
	.set _ZL33flash_attn_stream_k_fixup_generalILi128ELi64ELi1EEvPfPK15HIP_vector_typeIfLj2EEiiiiS1_IjLj3EES5_S5_S5_.num_vgpr, 12
	.set _ZL33flash_attn_stream_k_fixup_generalILi128ELi64ELi1EEvPfPK15HIP_vector_typeIfLj2EEiiiiS1_IjLj3EES5_S5_S5_.num_agpr, 0
	.set _ZL33flash_attn_stream_k_fixup_generalILi128ELi64ELi1EEvPfPK15HIP_vector_typeIfLj2EEiiiiS1_IjLj3EES5_S5_S5_.numbered_sgpr, 46
	.set _ZL33flash_attn_stream_k_fixup_generalILi128ELi64ELi1EEvPfPK15HIP_vector_typeIfLj2EEiiiiS1_IjLj3EES5_S5_S5_.num_named_barrier, 0
	.set _ZL33flash_attn_stream_k_fixup_generalILi128ELi64ELi1EEvPfPK15HIP_vector_typeIfLj2EEiiiiS1_IjLj3EES5_S5_S5_.private_seg_size, 0
	.set _ZL33flash_attn_stream_k_fixup_generalILi128ELi64ELi1EEvPfPK15HIP_vector_typeIfLj2EEiiiiS1_IjLj3EES5_S5_S5_.uses_vcc, 1
	.set _ZL33flash_attn_stream_k_fixup_generalILi128ELi64ELi1EEvPfPK15HIP_vector_typeIfLj2EEiiiiS1_IjLj3EES5_S5_S5_.uses_flat_scratch, 0
	.set _ZL33flash_attn_stream_k_fixup_generalILi128ELi64ELi1EEvPfPK15HIP_vector_typeIfLj2EEiiiiS1_IjLj3EES5_S5_S5_.has_dyn_sized_stack, 0
	.set _ZL33flash_attn_stream_k_fixup_generalILi128ELi64ELi1EEvPfPK15HIP_vector_typeIfLj2EEiiiiS1_IjLj3EES5_S5_S5_.has_recursion, 0
	.set _ZL33flash_attn_stream_k_fixup_generalILi128ELi64ELi1EEvPfPK15HIP_vector_typeIfLj2EEiiiiS1_IjLj3EES5_S5_S5_.has_indirect_call, 0
	.section	.AMDGPU.csdata,"",@progbits
; Kernel info:
; codeLenInByte = 3352
; TotalNumSgprs: 48
; NumVgprs: 12
; ScratchSize: 0
; MemoryBound: 0
; FloatMode: 240
; IeeeMode: 1
; LDSByteSize: 0 bytes/workgroup (compile time only)
; SGPRBlocks: 0
; VGPRBlocks: 0
; NumSGPRsForWavesPerEU: 48
; NumVGPRsForWavesPerEU: 12
; NamedBarCnt: 0
; Occupancy: 16
; WaveLimiterHint : 0
; COMPUTE_PGM_RSRC2:SCRATCH_EN: 0
; COMPUTE_PGM_RSRC2:USER_SGPR: 2
; COMPUTE_PGM_RSRC2:TRAP_HANDLER: 0
; COMPUTE_PGM_RSRC2:TGID_X_EN: 1
; COMPUTE_PGM_RSRC2:TGID_Y_EN: 1
; COMPUTE_PGM_RSRC2:TGID_Z_EN: 1
; COMPUTE_PGM_RSRC2:TIDIG_COMP_CNT: 0
	.section	.text._ZL15flash_attn_tileILi128ELi128ELi32ELi1ELb0EEvPKcS1_S1_S1_S1_PKiPfP15HIP_vector_typeIfLj2EEffffjfiS5_IjLj3EEiiiiiiiiiiiliiliiiiil,"axG",@progbits,_ZL15flash_attn_tileILi128ELi128ELi32ELi1ELb0EEvPKcS1_S1_S1_S1_PKiPfP15HIP_vector_typeIfLj2EEffffjfiS5_IjLj3EEiiiiiiiiiiiliiliiiiil,comdat
	.globl	_ZL15flash_attn_tileILi128ELi128ELi32ELi1ELb0EEvPKcS1_S1_S1_S1_PKiPfP15HIP_vector_typeIfLj2EEffffjfiS5_IjLj3EEiiiiiiiiiiiliiliiiiil ; -- Begin function _ZL15flash_attn_tileILi128ELi128ELi32ELi1ELb0EEvPKcS1_S1_S1_S1_PKiPfP15HIP_vector_typeIfLj2EEffffjfiS5_IjLj3EEiiiiiiiiiiiliiliiiiil
	.p2align	8
	.type	_ZL15flash_attn_tileILi128ELi128ELi32ELi1ELb0EEvPKcS1_S1_S1_S1_PKiPfP15HIP_vector_typeIfLj2EEffffjfiS5_IjLj3EEiiiiiiiiiiiliiliiiiil,@function
_ZL15flash_attn_tileILi128ELi128ELi32ELi1ELb0EEvPKcS1_S1_S1_S1_PKiPfP15HIP_vector_typeIfLj2EEffffjfiS5_IjLj3EEiiiiiiiiiiiliiliiiiil: ; @_ZL15flash_attn_tileILi128ELi128ELi32ELi1ELb0EEvPKcS1_S1_S1_S1_PKiPfP15HIP_vector_typeIfLj2EEffffjfiS5_IjLj3EEiiiiiiiiiiiliiliiiiil
; %bb.0:
	s_clause 0x1
	s_load_b128 s[20:23], s[0:1], 0x5c
	s_load_b64 s[2:3], s[0:1], 0x80
	s_bfe_u32 s6, ttmp6, 0x40014
	s_lshr_b32 s5, ttmp7, 16
	s_add_co_i32 s6, s6, 1
	s_bfe_u32 s7, ttmp6, 0x40008
	s_mul_i32 s6, s5, s6
	s_getreg_b32 s43, hwreg(HW_REG_IB_STS2, 6, 4)
	s_add_co_i32 s7, s7, s6
	s_load_b64 s[30:31], s[0:1], 0xb8
	s_mov_b32 s39, 0
	s_mov_b64 s[36:37], 0
	s_wait_kmcnt 0x0
	s_cvt_f32_u32 s4, s23
	s_sub_co_i32 s8, 0, s23
	s_delay_alu instid0(SALU_CYCLE_2) | instskip(SKIP_1) | instid1(TRANS32_DEP_1)
	v_rcp_iflag_f32_e32 v1, s4
	v_nop
	v_readfirstlane_b32 s4, v1
	s_mul_f32 s4, s4, 0x4f7ffffe
	s_delay_alu instid0(SALU_CYCLE_3) | instskip(NEXT) | instid1(SALU_CYCLE_3)
	s_cvt_u32_f32 s4, s4
	s_mul_i32 s8, s8, s4
	s_delay_alu instid0(SALU_CYCLE_1) | instskip(NEXT) | instid1(SALU_CYCLE_1)
	s_mul_hi_u32 s8, s4, s8
	s_add_co_i32 s4, s4, s8
	s_cmp_eq_u32 s43, 0
	s_cselect_b32 s5, s5, s7
	s_delay_alu instid0(SALU_CYCLE_1) | instskip(NEXT) | instid1(SALU_CYCLE_1)
	s_mul_hi_u32 s4, s5, s4
	s_mul_i32 s6, s4, s23
	s_add_co_i32 s7, s4, 1
	s_sub_co_i32 s6, s5, s6
	s_delay_alu instid0(SALU_CYCLE_1)
	s_sub_co_i32 s8, s6, s23
	s_cmp_ge_u32 s6, s23
	s_cselect_b32 s4, s7, s4
	s_cselect_b32 s6, s8, s6
	s_add_co_i32 s7, s4, 1
	s_cmp_ge_u32 s6, s23
	s_cselect_b32 s34, s7, s4
	s_abs_i32 s4, s3
	s_mul_i32 s8, s34, s23
	s_cvt_f32_u32 s6, s4
	s_sub_co_i32 s7, 0, s4
	s_abs_i32 s9, s23
	s_sub_co_i32 s33, s5, s8
	v_rcp_iflag_f32_e32 v1, s6
	s_xor_b32 s3, s23, s3
	s_delay_alu instid0(SALU_CYCLE_1) | instskip(SKIP_1) | instid1(TRANS32_DEP_1)
	s_ashr_i32 s3, s3, 31
	v_nop
	v_readfirstlane_b32 s6, v1
	s_mul_f32 s6, s6, 0x4f7ffffe
	s_delay_alu instid0(SALU_CYCLE_3) | instskip(NEXT) | instid1(SALU_CYCLE_3)
	s_cvt_u32_f32 s6, s6
	s_mul_i32 s7, s7, s6
	s_delay_alu instid0(SALU_CYCLE_1) | instskip(NEXT) | instid1(SALU_CYCLE_1)
	s_mul_hi_u32 s7, s6, s7
	s_add_co_i32 s6, s6, s7
	s_delay_alu instid0(SALU_CYCLE_1) | instskip(NEXT) | instid1(SALU_CYCLE_1)
	s_mul_hi_u32 s5, s9, s6
	s_mul_i32 s6, s5, s4
	s_add_co_i32 s7, s5, 1
	s_sub_co_i32 s6, s9, s6
	s_delay_alu instid0(SALU_CYCLE_1)
	s_sub_co_i32 s8, s6, s4
	s_cmp_ge_u32 s6, s4
	s_cselect_b32 s5, s7, s5
	s_cselect_b32 s6, s8, s6
	s_add_co_i32 s7, s5, 1
	s_cmp_ge_u32 s6, s4
	s_cselect_b32 s4, s7, s5
	s_abs_i32 s38, s33
	s_xor_b32 s4, s4, s3
	s_delay_alu instid0(SALU_CYCLE_1) | instskip(NEXT) | instid1(SALU_CYCLE_1)
	s_sub_co_i32 s28, s4, s3
	s_abs_i32 s3, s28
	s_delay_alu instid0(SALU_CYCLE_1) | instskip(SKIP_1) | instid1(SALU_CYCLE_2)
	s_cvt_f32_u32 s4, s3
	s_sub_co_i32 s25, 0, s3
	v_rcp_iflag_f32_e32 v1, s4
	s_load_b512 s[4:19], s[0:1], 0x0
	v_nop
	s_delay_alu instid0(TRANS32_DEP_1) | instskip(SKIP_1) | instid1(SALU_CYCLE_3)
	v_readfirstlane_b32 s24, v1
	s_mul_f32 s24, s24, 0x4f7ffffe
	s_cvt_u32_f32 s24, s24
	s_delay_alu instid0(SALU_CYCLE_3) | instskip(NEXT) | instid1(SALU_CYCLE_1)
	s_mul_i32 s25, s25, s24
	s_mul_hi_u32 s25, s24, s25
	s_delay_alu instid0(SALU_CYCLE_1)
	s_add_co_i32 s40, s24, s25
	s_wait_kmcnt 0x0
	s_cmp_eq_u64 s[10:11], 0
	s_cbranch_scc1 .LBB56_2
; %bb.1:
	s_abs_i32 s26, s30
	s_abs_i32 s27, s34
	s_cvt_f32_u32 s24, s26
	s_sub_co_i32 s25, 0, s26
	s_delay_alu instid0(SALU_CYCLE_2) | instskip(SKIP_1) | instid1(TRANS32_DEP_1)
	v_rcp_iflag_f32_e32 v1, s24
	v_nop
	v_readfirstlane_b32 s24, v1
	s_mul_f32 s24, s24, 0x4f7ffffe
	s_delay_alu instid0(SALU_CYCLE_3) | instskip(NEXT) | instid1(SALU_CYCLE_3)
	s_cvt_u32_f32 s24, s24
	s_mul_i32 s25, s25, s24
	s_delay_alu instid0(SALU_CYCLE_1) | instskip(NEXT) | instid1(SALU_CYCLE_1)
	s_mul_hi_u32 s25, s24, s25
	s_add_co_i32 s24, s24, s25
	s_delay_alu instid0(SALU_CYCLE_1) | instskip(SKIP_2) | instid1(SALU_CYCLE_1)
	s_mul_hi_u32 s29, s27, s24
	s_load_b64 s[24:25], s[0:1], 0xc8
	s_mul_i32 s29, s29, s26
	s_sub_co_i32 s27, s27, s29
	s_ashr_i32 s29, s34, 31
	s_sub_co_i32 s30, s27, s26
	s_cmp_ge_u32 s27, s26
	s_cselect_b32 s27, s30, s27
	s_delay_alu instid0(SALU_CYCLE_1) | instskip(SKIP_2) | instid1(SALU_CYCLE_1)
	s_sub_co_i32 s30, s27, s26
	s_cmp_ge_u32 s27, s26
	s_cselect_b32 s26, s30, s27
	s_xor_b32 s26, s26, s29
	s_delay_alu instid0(SALU_CYCLE_1) | instskip(NEXT) | instid1(SALU_CYCLE_1)
	s_sub_co_i32 s26, s26, s29
	s_ashr_i32 s27, s26, 31
	s_wait_kmcnt 0x0
	s_mul_u64 s[24:25], s[24:25], s[26:27]
	s_delay_alu instid0(SALU_CYCLE_1)
	s_add_nc_u64 s[36:37], s[10:11], s[24:25]
.LBB56_2:
	s_clause 0x1
	s_load_b128 s[24:27], s[0:1], 0x40
	s_load_b32 s10, s[0:1], 0x50
	v_mov_b32_e32 v72, 1.0
	s_mov_b32 s41, s39
	s_wait_kmcnt 0x0
	s_cmp_le_f32 s25, 0
	s_cbranch_scc1 .LBB56_4
; %bb.3:
	v_sub_co_u32 v1, s10, s33, s10
	s_and_b32 s25, s10, exec_lo
	s_cselect_b32 s25, s26, s27
	s_add_co_i32 s26, s33, 1
	v_readfirstlane_b32 s11, v1
	s_lshl_b32 s11, s11, 1
	s_delay_alu instid0(SALU_CYCLE_1) | instskip(SKIP_4) | instid1(SALU_CYCLE_3)
	s_or_b32 s11, s11, 1
	s_and_b32 s10, s10, exec_lo
	s_cselect_b32 s10, s26, s11
	s_cmp_neq_f32 s25, 1.0
	s_cvt_f32_i32 s10, s10
	s_cselect_b32 s11, s10, 1.0
	s_delay_alu instid0(SALU_CYCLE_1) | instskip(SKIP_1) | instid1(SALU_CYCLE_1)
	s_cmp_neq_f32 s11, 0
	s_cselect_b32 s10, s25, 1.0
	v_cvt_f64_f32_e64 v[2:3], |s10|
	s_delay_alu instid0(VALU_DEP_1) | instskip(SKIP_1) | instid1(VALU_DEP_1)
	v_frexp_exp_i32_f64_e32 v1, v[2:3]
	v_frexp_mant_f32_e64 v2, |s10|
	v_readfirstlane_b32 s25, v2
	s_cmp_lt_f32 s25, 0x3f2aaaab
	s_cselect_b32 vcc_lo, -1, 0
	s_delay_alu instid0(SALU_CYCLE_1) | instskip(SKIP_1) | instid1(SALU_CYCLE_1)
	s_and_b32 s26, vcc_lo, exec_lo
	s_cselect_b32 s26, 2.0, 1.0
	s_mul_f32 s25, s25, s26
	s_delay_alu instid0(SALU_CYCLE_3) | instskip(SKIP_1) | instid1(SALU_CYCLE_2)
	s_add_f32 s26, s25, 1.0
	s_add_f32 s29, s25, -1.0
	v_s_rcp_f32 s27, s26
	s_add_f32 s42, s26, -1.0
	v_subrev_co_ci_u32_e64 v1, null, 0, v1, vcc_lo
	s_delay_alu instid0(SALU_CYCLE_2) | instskip(NEXT) | instid1(TRANS32_DEP_1)
	s_sub_f32 s25, s25, s42
	s_mul_f32 s30, s29, s27
	v_cvt_f32_i32_e32 v1, v1
	s_delay_alu instid0(SALU_CYCLE_2) | instskip(NEXT) | instid1(SALU_CYCLE_3)
	s_mul_f32 s35, s26, s30
	v_dual_mov_b32 v3, s29 :: v_dual_mov_b32 v4, s35
	s_xor_b32 s44, s35, 0x80000000
	s_delay_alu instid0(SALU_CYCLE_1) | instskip(NEXT) | instid1(SALU_CYCLE_3)
	s_fmac_f32 s44, s30, s26
	s_fmac_f32 s44, s30, s25
	s_delay_alu instid0(SALU_CYCLE_3) | instskip(NEXT) | instid1(SALU_CYCLE_3)
	s_add_f32 s25, s35, s44
	v_dual_mov_b32 v6, s44 :: v_dual_mov_b32 v7, s25
	s_sub_f32 s26, s29, s25
	s_delay_alu instid0(SALU_CYCLE_3) | instskip(NEXT) | instid1(VALU_DEP_1)
	v_dual_mov_b32 v2, s25 :: v_dual_mov_b32 v5, s26
	v_pk_add_f32 v[2:3], v[2:3], v[4:5] neg_lo:[0,1] neg_hi:[0,1]
	s_delay_alu instid0(VALU_DEP_1) | instskip(NEXT) | instid1(VALU_DEP_1)
	v_pk_add_f32 v[2:3], v[2:3], v[6:7] neg_lo:[0,1] neg_hi:[0,1]
	v_readfirstlane_b32 s25, v3
	s_delay_alu instid0(VALU_DEP_2) | instskip(SKIP_1) | instid1(SALU_CYCLE_3)
	v_readfirstlane_b32 s29, v2
	s_add_f32 s25, s29, s25
	s_add_f32 s25, s26, s25
	s_delay_alu instid0(SALU_CYCLE_3) | instskip(NEXT) | instid1(SALU_CYCLE_3)
	s_mul_f32 s25, s27, s25
	s_add_f32 s26, s30, s25
	s_delay_alu instid0(SALU_CYCLE_3) | instskip(SKIP_1) | instid1(SALU_CYCLE_2)
	s_sub_f32 s27, s26, s30
	s_mul_f32 s29, s26, s26
	s_sub_f32 s25, s25, s27
	s_delay_alu instid0(SALU_CYCLE_2) | instskip(NEXT) | instid1(SALU_CYCLE_1)
	s_xor_b32 s27, s29, 0x80000000
	s_fmac_f32 s27, s26, s26
	s_delay_alu instid0(SALU_CYCLE_1) | instskip(NEXT) | instid1(SALU_CYCLE_3)
	s_add_f32 s30, s25, s25
	s_fmac_f32 s27, s26, s30
	s_mov_b32 s30, 0x3e76c4e1
	s_delay_alu instid0(SALU_CYCLE_2) | instskip(NEXT) | instid1(SALU_CYCLE_3)
	s_add_f32 s44, s29, s27
	s_fmaak_f32 s30, s44, s30, 0x3e91f4c4
	s_sub_f32 s29, s44, s29
	s_delay_alu instid0(SALU_CYCLE_2) | instskip(NEXT) | instid1(SALU_CYCLE_2)
	s_fmaak_f32 s30, s44, s30, 0x3ecccdef
	s_sub_f32 s29, s27, s29
	s_delay_alu instid0(SALU_CYCLE_2) | instskip(NEXT) | instid1(SALU_CYCLE_3)
	s_mul_f32 s35, s44, s30
	s_xor_b32 s42, s35, 0x80000000
	s_delay_alu instid0(SALU_CYCLE_1) | instskip(NEXT) | instid1(SALU_CYCLE_3)
	s_fmac_f32 s42, s44, s30
	s_fmac_f32 s42, s29, s30
	s_delay_alu instid0(SALU_CYCLE_3) | instskip(NEXT) | instid1(SALU_CYCLE_3)
	s_add_f32 s30, s35, s42
	s_sub_f32 s27, s30, s35
	s_add_f32 s35, s30, 0x3f2aaaaa
	s_delay_alu instid0(SALU_CYCLE_2) | instskip(NEXT) | instid1(SALU_CYCLE_2)
	s_sub_f32 s27, s42, s27
	s_add_f32 s42, s35, 0xbf2aaaaa
	s_delay_alu instid0(SALU_CYCLE_2) | instskip(NEXT) | instid1(SALU_CYCLE_2)
	s_add_f32 s27, s27, 0x31739010
	s_sub_f32 s45, s30, s42
	s_delay_alu instid0(SALU_CYCLE_2) | instskip(NEXT) | instid1(SALU_CYCLE_2)
	v_mov_b64_e32 v[2:3], s[26:27]
	v_mov_b64_e32 v[4:5], s[44:45]
	s_delay_alu instid0(VALU_DEP_1) | instskip(SKIP_2) | instid1(VALU_DEP_3)
	v_pk_mul_f32 v[6:7], v[2:3], v[4:5]
	v_pk_add_f32 v[2:3], v[2:3], v[4:5]
	v_mov_b32_e32 v9, s35
	v_xor_b32_e32 v8, 0x80000000, v6
	s_delay_alu instid0(VALU_DEP_3) | instskip(NEXT) | instid1(VALU_DEP_2)
	v_mov_b32_e32 v7, v3
	v_fmac_f32_e64 v8, s44, s26
	s_delay_alu instid0(VALU_DEP_1) | instskip(NEXT) | instid1(VALU_DEP_1)
	v_fmac_f32_e64 v8, s44, s25
	v_fmac_f32_e64 v8, s29, s26
	s_delay_alu instid0(VALU_DEP_1) | instskip(NEXT) | instid1(VALU_DEP_1)
	v_pk_add_f32 v[4:5], v[6:7], v[8:9]
	v_dual_mov_b32 v2, v5 :: v_dual_sub_f32 v7, s35, v5
	v_mul_f32_e32 v12, 0x3f317218, v1
	s_delay_alu instid0(VALU_DEP_2) | instskip(NEXT) | instid1(VALU_DEP_3)
	v_pk_mul_f32 v[10:11], v[4:5], v[2:3]
	v_add_f32_e32 v3, v3, v7
	s_delay_alu instid0(VALU_DEP_3) | instskip(NEXT) | instid1(VALU_DEP_3)
	v_xor_b32_e32 v7, 0x80000000, v12
	v_xor_b32_e32 v2, 0x80000000, v10
	s_delay_alu instid0(VALU_DEP_2) | instskip(NEXT) | instid1(VALU_DEP_2)
	v_dual_sub_f32 v6, v4, v6 :: v_dual_fmac_f32 v7, 0x3f317218, v1
	v_fmac_f32_e32 v2, v4, v5
	s_delay_alu instid0(VALU_DEP_2) | instskip(NEXT) | instid1(VALU_DEP_2)
	v_sub_f32_e32 v6, v8, v6
	v_fmac_f32_e32 v2, v4, v3
	s_delay_alu instid0(VALU_DEP_1) | instskip(SKIP_3) | instid1(VALU_DEP_2)
	v_fmac_f32_e32 v2, v6, v5
	v_fmamk_f32 v4, v1, 0xb102e308, v7
	v_ldexp_f32 v5, s26, 1
	v_ldexp_f32 v1, s25, 1
	v_dual_add_f32 v13, v10, v2 :: v_dual_mov_b32 v11, v5
	s_delay_alu instid0(VALU_DEP_1) | instskip(SKIP_1) | instid1(VALU_DEP_2)
	v_pk_add_f32 v[6:7], v[12:13], v[4:5]
	v_dual_mov_b32 v8, v13 :: v_dual_mov_b32 v3, v13
	v_dual_mov_b32 v9, v7 :: v_dual_mov_b32 v5, v6
	v_mov_b32_e32 v14, v7
	s_delay_alu instid0(VALU_DEP_2) | instskip(NEXT) | instid1(VALU_DEP_1)
	v_pk_add_f32 v[8:9], v[8:9], v[10:11] neg_lo:[0,1] neg_hi:[0,1]
	v_pk_add_f32 v[2:3], v[2:3], v[8:9] neg_lo:[0,1] neg_hi:[0,1]
	s_delay_alu instid0(VALU_DEP_1) | instskip(NEXT) | instid1(VALU_DEP_1)
	v_add_f32_e32 v1, v1, v2
	v_add_f32_e32 v13, v1, v3
	s_delay_alu instid0(VALU_DEP_1) | instskip(SKIP_1) | instid1(VALU_DEP_2)
	v_pk_add_f32 v[2:3], v[6:7], v[12:13]
	v_pk_add_f32 v[8:9], v[6:7], v[12:13] neg_lo:[0,1] neg_hi:[0,1]
	v_mov_b32_e32 v9, v3
	s_delay_alu instid0(VALU_DEP_1) | instskip(SKIP_2) | instid1(VALU_DEP_3)
	v_pk_add_f32 v[10:11], v[4:5], v[8:9]
	v_pk_add_f32 v[4:5], v[4:5], v[8:9] neg_lo:[0,1] neg_hi:[0,1]
	v_dual_mov_b32 v16, v3 :: v_dual_mov_b32 v5, v6
	v_dual_mov_b32 v12, v11 :: v_dual_mov_b32 v17, v11
	s_delay_alu instid0(VALU_DEP_3) | instskip(NEXT) | instid1(VALU_DEP_2)
	v_readfirstlane_b32 s25, v4
	v_pk_add_f32 v[8:9], v[12:13], v[6:7] neg_lo:[0,1] neg_hi:[0,1]
	s_delay_alu instid0(VALU_DEP_2) | instskip(NEXT) | instid1(VALU_DEP_2)
	v_dual_mov_b32 v4, v13 :: v_dual_mov_b32 v10, s25
	v_dual_mov_b32 v15, v8 :: v_dual_mov_b32 v1, v8
	s_delay_alu instid0(VALU_DEP_1) | instskip(NEXT) | instid1(VALU_DEP_2)
	v_pk_add_f32 v[6:7], v[16:17], v[14:15] neg_lo:[0,1] neg_hi:[0,1]
	v_pk_add_f32 v[2:3], v[2:3], v[0:1] neg_lo:[0,1] neg_hi:[0,1]
	v_mov_b32_e32 v2, s25
	s_delay_alu instid0(VALU_DEP_3) | instskip(NEXT) | instid1(VALU_DEP_1)
	v_pk_add_f32 v[4:5], v[4:5], v[6:7] neg_lo:[0,1] neg_hi:[0,1]
	v_pk_add_f32 v[2:3], v[2:3], v[4:5]
	s_delay_alu instid0(VALU_DEP_1) | instskip(NEXT) | instid1(VALU_DEP_2)
	v_readfirstlane_b32 s26, v2
	v_mov_b32_e32 v6, v3
	s_delay_alu instid0(VALU_DEP_1) | instskip(NEXT) | instid1(VALU_DEP_3)
	v_pk_add_f32 v[6:7], v[2:3], v[6:7]
	v_mov_b32_e32 v2, s26
	s_delay_alu instid0(VALU_DEP_2) | instskip(SKIP_1) | instid1(VALU_DEP_2)
	v_pk_add_f32 v[8:9], v[12:13], v[6:7]
	v_mov_b32_e32 v5, v6
	v_readfirstlane_b32 s27, v8
	s_delay_alu instid0(VALU_DEP_1) | instskip(NEXT) | instid1(VALU_DEP_1)
	v_mov_b32_e32 v3, s27
	v_pk_add_f32 v[2:3], v[2:3], v[10:11] neg_lo:[0,1] neg_hi:[0,1]
	s_delay_alu instid0(VALU_DEP_1) | instskip(NEXT) | instid1(VALU_DEP_2)
	v_readfirstlane_b32 s29, v2
	v_pk_add_f32 v[2:3], v[4:5], v[2:3] neg_lo:[0,1] neg_hi:[0,1]
	s_sub_f32 s26, s26, s29
	s_delay_alu instid0(VALU_DEP_1) | instskip(NEXT) | instid1(SALU_CYCLE_2)
	v_readfirstlane_b32 s29, v2
	s_sub_f32 s25, s25, s26
	v_readfirstlane_b32 s26, v3
	s_delay_alu instid0(SALU_CYCLE_2) | instskip(NEXT) | instid1(SALU_CYCLE_3)
	s_add_f32 s25, s29, s25
	s_add_f32 s25, s25, s26
	s_delay_alu instid0(SALU_CYCLE_3) | instskip(NEXT) | instid1(SALU_CYCLE_3)
	s_add_f32 s26, s27, s25
	s_mul_f32 s29, s11, s26
	s_sub_f32 s27, s26, s27
	s_delay_alu instid0(SALU_CYCLE_2) | instskip(NEXT) | instid1(SALU_CYCLE_2)
	s_xor_b32 s30, s29, 0x80000000
	s_sub_f32 s25, s25, s27
	s_fmac_f32 s30, s11, s26
	s_delay_alu instid0(SALU_CYCLE_3) | instskip(SKIP_1) | instid1(SALU_CYCLE_2)
	s_fmac_f32 s30, s11, s25
	v_cmp_class_f32_e64 s25, s29, 0x204
	s_add_f32 s26, s29, s30
	s_and_b32 s25, s25, exec_lo
	s_delay_alu instid0(SALU_CYCLE_2) | instskip(SKIP_1) | instid1(SALU_CYCLE_1)
	s_sub_f32 s25, s26, s29
	s_cselect_b32 s26, s29, s26
	s_and_b32 s27, s26, 0x7fffffff
	s_delay_alu instid0(SALU_CYCLE_1) | instskip(SKIP_1) | instid1(SALU_CYCLE_2)
	s_sub_f32 s25, s30, s25
	s_cmp_neq_f32 s27, 0x7f800000
	s_cselect_b32 s25, s25, 0
	s_cmp_eq_f32 s26, 0x42b17218
	s_cselect_b32 s27, 0x37000000, 0
	s_delay_alu instid0(SALU_CYCLE_1) | instskip(SKIP_1) | instid1(SALU_CYCLE_2)
	s_sub_f32 s26, s26, s27
	s_add_f32 s25, s27, s25
	s_mul_f32 s29, s26, 0x3fb8aa3b
	s_delay_alu instid0(SALU_CYCLE_3) | instskip(SKIP_3) | instid1(SALU_CYCLE_1)
	s_xor_b32 s30, s29, 0x80000000
	s_rndne_f32 s35, s29
	s_fmamk_f32 s30, s26, 0x3fb8aa3b, s30
	s_cmp_nlt_f32 s26, 0xc2ce8ed0
	s_sub_f32 s29, s29, s35
	s_delay_alu instid0(SALU_CYCLE_1)
	s_fmamk_f32 s30, s26, 0x32a5705f, s30
	s_cselect_b32 vcc_lo, -1, 0
	s_cmp_ngt_f32 s26, 0x42b17218
	s_trunc_f32 s26, s11
	s_add_f32 s29, s29, s30
	s_cvt_i32_f32 s30, s35
	s_delay_alu instid0(SALU_CYCLE_2)
	v_s_exp_f32 s29, s29
	v_nop
	s_delay_alu instid0(TRANS32_DEP_1) | instid1(SALU_CYCLE_1)
	v_ldexp_f32 v1, s29, s30
	s_mul_f32 s29, s11, 0.5
	s_delay_alu instid0(VALU_DEP_1) | instskip(SKIP_3) | instid1(VALU_DEP_1)
	v_cndmask_b32_e32 v1, 0, v1, vcc_lo
	s_cselect_b32 vcc_lo, -1, 0
	s_cmp_eq_f32 s26, s11
	s_trunc_f32 s30, s29
	v_cndmask_b32_e32 v1, 0x7f800000, v1, vcc_lo
	s_cselect_b32 s35, -1, 0
	s_delay_alu instid0(SALU_CYCLE_1) | instskip(NEXT) | instid1(VALU_DEP_1)
	s_cmp_neq_f32 s30, s29
	v_fma_f32 v2, s25, v1, v1
	v_cmp_class_f32_e64 vcc_lo, v1, 0x204
	s_cselect_b32 s27, -1, 0
	s_delay_alu instid0(SALU_CYCLE_1)
	s_and_b32 s25, s35, s27
	v_cndmask_b32_e32 v1, v2, v1, vcc_lo
	s_and_b32 s27, s25, exec_lo
	s_cselect_b32 s27, s10, 1.0
	s_cmp_eq_f32 s26, s11
	v_cmp_class_f32_e64 s26, s10, 0x204
	v_bfi_b32 v1, 0x7fffffff, v1, s27
	s_cselect_b32 vcc_lo, -1, 0
	s_cmp_lt_f32 s10, 0
	s_delay_alu instid0(VALU_DEP_1) | instskip(SKIP_2) | instid1(VALU_DEP_1)
	v_cndmask_b32_e32 v2, 0x7fc00000, v1, vcc_lo
	s_cselect_b32 vcc_lo, -1, 0
	s_cmp_eq_f32 s10, 0
	v_cndmask_b32_e32 v1, v1, v2, vcc_lo
	s_cselect_b32 s27, -1, 0
	s_delay_alu instid0(SALU_CYCLE_1) | instskip(SKIP_2) | instid1(SALU_CYCLE_1)
	s_or_b32 vcc_lo, s27, s26
	s_cmp_lt_f32 s11, 0
	s_cselect_b32 s11, -1, 0
	s_xor_b32 s11, s11, s27
	s_delay_alu instid0(SALU_CYCLE_1)
	s_and_b32 s11, s11, exec_lo
	s_cselect_b32 s11, 0, 0x7f800000
	s_and_b32 s25, s25, exec_lo
	s_cselect_b32 s25, s10, 0
	s_cmp_o_f32 s10, s10
	v_mov_b32_e32 v2, s25
	s_delay_alu instid0(VALU_DEP_1) | instskip(NEXT) | instid1(VALU_DEP_1)
	v_bfi_b32 v2, 0x7fffffff, s11, v2
	v_cndmask_b32_e32 v1, v1, v2, vcc_lo
	s_cselect_b32 vcc_lo, -1, 0
	s_delay_alu instid0(VALU_DEP_1)
	v_cndmask_b32_e32 v72, 0x7fc00000, v1, vcc_lo
.LBB56_4:
	s_bfe_u32 s10, ttmp6, 0x4000c
	s_and_b32 s11, ttmp6, 15
	s_add_co_i32 s10, s10, 1
	s_ashr_i32 s44, s33, 31
	s_mul_i32 s10, ttmp9, s10
	v_bfe_u32 v69, v0, 10, 10
	s_ashr_i32 s45, s28, 31
	s_add_co_i32 s11, s11, s10
	s_cmp_eq_u32 s43, 0
	s_load_b96 s[28:30], s[0:1], 0x70
	s_cselect_b32 s10, ttmp9, s11
	v_and_b32_e32 v28, 0x3ff, v0
	s_lshl_b32 s42, s10, 5
	v_lshlrev_b32_e32 v64, 2, v69
	s_mov_b32 s11, 0
	s_delay_alu instid0(VALU_DEP_2) | instskip(NEXT) | instid1(VALU_DEP_2)
	v_dual_mov_b32 v19, 0 :: v_dual_lshlrev_b32 v18, 4, v28
	v_dual_lshlrev_b32 v67, 10, v69 :: v_dual_bitop2_b32 v59, 2, v64 bitop3:0x54
	s_delay_alu instid0(VALU_DEP_2) | instskip(NEXT) | instid1(VALU_DEP_2)
	v_dual_mov_b32 v39, v19 :: v_dual_lshlrev_b32 v68, 3, v28
	v_dual_add_nc_u32 v60, s42, v59 :: v_dual_bitop2_b32 v61, 1, v64 bitop3:0x54
	s_delay_alu instid0(VALU_DEP_1) | instskip(NEXT) | instid1(VALU_DEP_1)
	v_dual_add_nc_u32 v65, s42, v64 :: v_dual_add_nc_u32 v63, s42, v61
	v_mul_hi_u32 v1, v65, s20
	s_wait_kmcnt 0x0
	s_mul_i32 s26, s34, s30
	s_mul_i32 s46, s33, s29
	s_ashr_i32 s27, s26, 31
	v_mul_hi_u32 v2, v63, s20
	v_or_b32_e32 v31, 3, v64
	s_ashr_i32 s47, s46, 31
	s_add_nc_u64 s[4:5], s[4:5], s[26:27]
	s_ashr_i32 s29, s28, 31
	s_add_nc_u64 s[4:5], s[4:5], s[46:47]
	s_lshr_b64 s[28:29], s[28:29], 2
	v_add_nc_u32_e32 v0, v65, v1
	v_mul_hi_u32 v1, v60, s20
	v_add_nc_u64_e32 v[12:13], s[4:5], v[18:19]
	s_mul_u64 s[4:5], s[38:39], s[40:41]
	s_delay_alu instid0(VALU_DEP_3) | instskip(SKIP_2) | instid1(VALU_DEP_2)
	v_dual_add_nc_u32 v2, v63, v2 :: v_dual_lshrrev_b32 v0, s21, v0
	v_add_nc_u32_e32 v58, s42, v31
	s_cmp_eq_u64 s[14:15], 0
	v_lshrrev_b32_e32 v2, s21, v2
	s_delay_alu instid0(VALU_DEP_3) | instskip(NEXT) | instid1(VALU_DEP_3)
	v_mul_lo_u32 v0, v0, s22
	v_mul_hi_u32 v3, v58, s20
	v_add_nc_u32_e32 v1, v60, v1
	s_delay_alu instid0(VALU_DEP_4) | instskip(NEXT) | instid1(VALU_DEP_2)
	v_mul_lo_u32 v2, v2, s22
	v_dual_lshrrev_b32 v1, s21, v1 :: v_dual_sub_nc_u32 v38, v65, v0
	s_delay_alu instid0(VALU_DEP_1) | instskip(NEXT) | instid1(VALU_DEP_3)
	v_mul_lo_u32 v5, v1, s22
	v_dual_add_nc_u32 v4, v58, v3 :: v_dual_sub_nc_u32 v18, v63, v2
	s_delay_alu instid0(VALU_DEP_3) | instskip(NEXT) | instid1(VALU_DEP_2)
	v_mul_u64_e32 v[0:1], s[28:29], v[38:39]
	v_lshrrev_b32_e32 v4, s21, v4
	s_delay_alu instid0(VALU_DEP_3) | instskip(SKIP_1) | instid1(VALU_DEP_3)
	v_mul_u64_e32 v[2:3], s[28:29], v[18:19]
	v_sub_nc_u32_e32 v18, v60, v5
	v_mul_lo_u32 v4, v4, s22
	s_delay_alu instid0(VALU_DEP_2) | instskip(NEXT) | instid1(VALU_DEP_2)
	v_mul_u64_e32 v[8:9], s[28:29], v[18:19]
	v_sub_nc_u32_e32 v18, v58, v4
	s_delay_alu instid0(VALU_DEP_1)
	v_mul_u64_e32 v[14:15], s[28:29], v[18:19]
	v_lshl_add_u64 v[10:11], v[0:1], 2, v[12:13]
	v_lshl_add_u64 v[16:17], v[2:3], 2, v[12:13]
	s_clause 0x1
	global_load_b128 v[0:3], v[10:11], off
	global_load_b128 v[4:7], v[16:17], off
	s_wait_xcnt 0x0
	v_add_nc_u32_e32 v16, 0x6800, v68
	v_lshl_add_u64 v[8:9], v[8:9], 2, v[12:13]
	s_delay_alu instid0(VALU_DEP_2)
	v_add_nc_u32_e32 v17, v16, v67
	v_lshl_add_u32 v18, v61, 8, v16
	v_lshl_add_u32 v20, v59, 8, v16
	global_load_b128 v[8:11], v[8:9], off
	v_lshl_add_u32 v16, v31, 8, v16
	v_lshl_add_u64 v[12:13], v[14:15], 2, v[12:13]
	global_load_b128 v[12:15], v[12:13], off
	s_wait_loadcnt 0x3
	v_fma_mixlo_f16 v0, s24, v0, 0
	v_fma_mixlo_f16 v1, s24, v1, 0
	;; [unrolled: 1-line block ×4, first 2 shown]
	s_wait_loadcnt 0x2
	v_fma_mixlo_f16 v4, s24, v4, 0
	v_fma_mixlo_f16 v5, s24, v5, 0
	;; [unrolled: 1-line block ×4, first 2 shown]
	v_dual_lshlrev_b32 v1, 16, v1 :: v_dual_lshlrev_b32 v3, 16, v3
	v_and_b32_e32 v0, 0xffff, v0
	v_and_b32_e32 v2, 0xffff, v2
	s_delay_alu instid0(VALU_DEP_4)
	v_dual_lshlrev_b32 v5, 16, v5 :: v_dual_lshlrev_b32 v7, 16, v7
	v_and_b32_e32 v4, 0xffff, v4
	v_and_b32_e32 v6, 0xffff, v6
	s_wait_loadcnt 0x1
	s_wait_xcnt 0x1
	v_fma_mixlo_f16 v8, s24, v8, 0
	v_fma_mixlo_f16 v9, s24, v9, 0
	v_fma_mixlo_f16 v10, s24, v10, 0
	v_fma_mixlo_f16 v11, s24, v11, 0
	v_or_b32_e32 v0, v1, v0
	v_or3_b32 v1, v3, v2, 0
	v_or_b32_e32 v2, v5, v4
	v_or3_b32 v3, v7, v6, 0
	v_and_b32_e32 v5, 0xffff, v8
	s_wait_loadcnt 0x0
	v_fma_mixlo_f16 v7, s24, v13, 0
	v_fma_mixlo_f16 v8, s24, v12, 0
	v_dual_lshlrev_b32 v4, 16, v9 :: v_dual_lshlrev_b32 v6, 16, v11
	v_and_b32_e32 v9, 0xffff, v10
	v_fma_mixlo_f16 v10, s24, v14, 0
	v_fma_mixlo_f16 v11, s24, v15, 0
	s_delay_alu instid0(VALU_DEP_4) | instskip(SKIP_1) | instid1(VALU_DEP_4)
	v_dual_lshlrev_b32 v7, 16, v7 :: v_dual_bitop2_b32 v4, v4, v5 bitop3:0x54
	v_and_b32_e32 v8, 0xffff, v8
	v_and_b32_e32 v10, 0xffff, v10
	s_delay_alu instid0(VALU_DEP_4)
	v_lshlrev_b32_e32 v11, 16, v11
	v_or3_b32 v0, 0, 0, v0
	v_or3_b32 v2, 0, 0, v2
	v_or_b32_e32 v8, v7, v8
	v_or3_b32 v5, v6, v9, 0
	v_or3_b32 v4, 0, 0, v4
	v_or3_b32 v7, v11, v10, 0
	s_delay_alu instid0(VALU_DEP_4)
	v_or3_b32 v6, 0, 0, v8
	ds_store_b64 v17, v[0:1]
	ds_store_b64 v18, v[2:3]
	;; [unrolled: 1-line block ×4, first 2 shown]
	s_wait_dscnt 0x0
	s_barrier_signal -1
	s_barrier_wait -1
	s_cbranch_scc1 .LBB56_6
; %bb.5:
	s_load_b32 s2, s[0:1], 0xd0
	s_wait_kmcnt 0x0
	s_mul_i32 s2, s2, s34
	s_delay_alu instid0(SALU_CYCLE_1)
	s_add_co_i32 s2, s2, s10
	s_load_b32 s2, s[14:15], s2 offset:0x0 scale_offset
.LBB56_6:
	s_wait_xcnt 0x0
	s_clause 0x2
	s_load_b64 s[14:15], s[0:1], 0x8c
	s_load_b128 s[24:27], s[0:1], 0x98
	s_load_b64 s[40:41], s[0:1], 0xa8
	s_mul_i32 s4, s5, s3
	s_mov_b32 s10, s20
	s_sub_co_i32 s38, s38, s4
	s_ashr_i32 s28, s31, 1
	s_ashr_i32 s35, s34, 31
	s_xor_b32 s20, s44, s45
	s_add_co_i32 s29, s5, 1
	s_sub_co_i32 s39, s38, s3
	v_dual_lshlrev_b32 v62, 2, v28 :: v_dual_lshrrev_b32 v25, 3, v28
	v_mul_u32_u24_e32 v29, 0x90, v28
	v_or_b32_e32 v36, 1, v65
	v_or_b32_e32 v34, 2, v65
	s_delay_alu instid0(VALU_DEP_4)
	v_dual_lshrrev_b32 v70, 4, v28 :: v_dual_bitop2_b32 v24, 28, v62 bitop3:0x40
	v_or_b32_e32 v32, 3, v65
	v_add_nc_u32_e32 v71, 0x4800, v67
	s_wait_kmcnt 0x0
	s_ashr_i32 s4, s14, 2
	s_ashr_i32 s14, s26, 2
	s_cmp_ge_u32 s38, s3
	s_mul_u64 s[24:25], s[24:25], s[34:35]
	s_cselect_b32 s5, s29, s5
	s_cselect_b32 s26, s39, s38
	s_add_co_i32 s29, s5, 1
	s_cmp_ge_u32 s26, s3
	s_add_nc_u64 s[6:7], s[6:7], s[24:25]
	s_cselect_b32 s3, s29, s5
	s_bfe_u32 s24, ttmp6, 0x40010
	s_xor_b32 s3, s3, s20
	s_and_b32 s5, ttmp7, 0xffff
	s_add_co_i32 s24, s24, 1
	s_sub_co_i32 s3, s3, s20
	s_bfe_u32 s25, ttmp6, 0x40004
	s_mul_i32 s20, s5, s24
	s_mul_i32 s24, s3, s15
	;; [unrolled: 1-line block ×3, first 2 shown]
	s_add_co_i32 s3, s25, s20
	s_ashr_i32 s25, s24, 31
	s_ashr_i32 s39, s38, 31
	s_cmp_eq_u32 s43, 0
	s_mul_u64 s[30:31], s[40:41], s[34:35]
	s_cselect_b32 s20, s5, s3
	v_and_b32_e32 v30, 60, v62
	v_mbcnt_lo_u32_b32 v66, -1, 0
	s_add_nc_u64 s[26:27], s[6:7], s[24:25]
	s_add_co_i32 s3, s2, 0xffffff80
	s_lshl_b32 s24, s20, 7
	s_add_nc_u64 s[6:7], s[8:9], s[30:31]
	s_cmp_ge_i32 s24, s3
	s_add_nc_u64 s[6:7], s[6:7], s[38:39]
	s_cbranch_scc1 .LBB56_43
; %bb.7:
	v_dual_mov_b32 v27, 0 :: v_dual_add_nc_u32 v6, v25, v64
	s_lshl_b32 s8, s4, 5
	s_ashr_i32 s5, s4, 31
	s_cmp_lg_u64 s[36:37], 0
	s_delay_alu instid0(VALU_DEP_1) | instskip(SKIP_2) | instid1(VALU_DEP_3)
	v_dual_mov_b32 v37, v27 :: v_dual_mov_b32 v35, v27
	v_dual_mov_b32 v33, v27 :: v_dual_lshlrev_b32 v7, 2, v24
	v_mul_lo_u32 v42, s4, v6
	v_mul_u64_e32 v[0:1], s[10:11], v[36:37]
	s_delay_alu instid0(VALU_DEP_4) | instskip(NEXT) | instid1(VALU_DEP_4)
	v_mul_u64_e32 v[2:3], s[10:11], v[34:35]
	v_mul_u64_e32 v[4:5], s[10:11], v[32:33]
	v_lshl_add_u32 v0, v69, 1, v70
	v_dual_mov_b32 v93, 0xfeffffff :: v_dual_lshlrev_b32 v2, 2, v30
	v_mad_u32_u24 v39, 0x90, v6, v7
	s_cselect_b32 s29, -1, 0
	s_delay_alu instid0(VALU_DEP_3) | instskip(NEXT) | instid1(VALU_DEP_3)
	v_mul_lo_u32 v6, s14, v0
	v_lshl_or_b32 v73, v0, 8, v2
	v_dual_ashrrev_i32 v43, 31, v42 :: v_dual_add_nc_u32 v44, s8, v42
	s_lshl_b32 s9, s14, 4
	v_mul_lo_u32 v35, v38, s28
	v_dual_mov_b32 v86, v27 :: v_dual_add_nc_u32 v33, 0x6800, v67
	v_dual_lshlrev_b32 v40, 2, v24 :: v_dual_lshlrev_b32 v26, 2, v30
	v_mbcnt_lo_u32_b32 v37, -1, 0
	v_dual_ashrrev_i32 v7, 31, v6 :: v_dual_add_nc_u32 v0, s9, v6
	v_dual_mov_b32 v41, v27 :: v_dual_mov_b32 v87, v27
	v_dual_mov_b32 v17, v27 :: v_dual_add_nc_u32 v74, 0x1200, v39
	s_delay_alu instid0(VALU_DEP_3)
	v_lshlrev_b64_e32 v[48:49], 2, v[6:7]
	v_dual_mov_b32 v88, v27 :: v_dual_add_nc_u32 v75, 0x2400, v39
	v_dual_mov_b32 v19, v27 :: v_dual_add_nc_u32 v76, 0x3600, v39
	;; [unrolled: 1-line block ×3, first 2 shown]
	v_dual_add_nc_u32 v1, v36, v1 :: v_dual_add_nc_u32 v2, v34, v3
	v_dual_add_nc_u32 v3, v32, v5 :: v_dual_ashrrev_i32 v45, 31, v44
	s_delay_alu instid0(VALU_DEP_2) | instskip(NEXT) | instid1(VALU_DEP_2)
	v_dual_add_nc_u32 v46, s8, v44 :: v_dual_lshrrev_b32 v4, s21, v1
	v_dual_lshrrev_b32 v5, s21, v2 :: v_dual_lshrrev_b32 v3, s21, v3
	v_dual_ashrrev_i32 v1, 31, v0 :: v_dual_add_nc_u32 v2, s9, v0
	s_delay_alu instid0(VALU_DEP_3) | instskip(NEXT) | instid1(VALU_DEP_3)
	v_mul_lo_u32 v8, v4, s22
	v_mul_lo_u32 v9, v5, s22
	s_delay_alu instid0(VALU_DEP_4) | instskip(SKIP_3) | instid1(VALU_DEP_3)
	v_mul_lo_u32 v10, v3, s22
	v_dual_add_nc_u32 v50, s8, v46 :: v_dual_ashrrev_i32 v47, 31, v46
	v_dual_add_nc_u32 v4, s9, v2 :: v_dual_ashrrev_i32 v3, 31, v2
	v_lshlrev_b64_e32 v[52:53], 2, v[0:1]
	v_ashrrev_i32_e32 v51, 31, v50
	v_dual_mov_b32 v83, v27 :: v_dual_add_nc_u32 v78, 0x2000, v73
	v_dual_sub_nc_u32 v0, v36, v8 :: v_dual_sub_nc_u32 v1, v34, v9
	v_dual_mov_b32 v89, v27 :: v_dual_sub_nc_u32 v6, v32, v10
	v_ashrrev_i32_e32 v5, 31, v4
	s_delay_alu instid0(VALU_DEP_3) | instskip(NEXT) | instid1(VALU_DEP_4)
	v_mul_lo_u32 v80, v0, s28
	v_mul_lo_u32 v81, v1, s28
	s_delay_alu instid0(VALU_DEP_4)
	v_mul_lo_u32 v82, v6, s28
	v_lshlrev_b64_e32 v[54:55], 2, v[2:3]
	v_lshlrev_b64_e32 v[56:57], 2, v[4:5]
	v_dual_mov_b32 v18, v27 :: v_dual_add_nc_u32 v79, 0x3000, v73
	v_dual_mov_b32 v84, v27 :: v_dual_mov_b32 v90, v27
	v_dual_mov_b32 v85, v27 :: v_dual_mov_b32 v94, 0xfeffffff
	;; [unrolled: 1-line block ×3, first 2 shown]
	s_add_nc_u64 s[8:9], s[0:1], 0xd0
	s_ashr_i32 s15, s14, 31
.LBB56_8:                               ; =>This Inner Loop Header: Depth=1
	s_ashr_i32 s25, s24, 31
	v_dual_mov_b32 v23, 0 :: v_dual_mov_b32 v22, 0
	s_mul_u64 s[30:31], s[24:25], s[4:5]
	v_mov_b32_e32 v100, 0
	s_lshl_b64 s[30:31], s[30:31], 2
	v_mov_b32_e32 v95, 0
	s_add_nc_u64 s[30:31], s[26:27], s[30:31]
	v_mov_b32_e32 v101, 0
	v_lshl_add_u64 v[0:1], v[42:43], 2, s[30:31]
	v_lshl_add_u64 v[2:3], v[44:45], 2, s[30:31]
	;; [unrolled: 1-line block ×4, first 2 shown]
	v_mov_b32_e32 v106, 0
	v_add_nc_u64_e32 v[0:1], v[0:1], v[40:41]
	v_add_nc_u64_e32 v[2:3], v[2:3], v[40:41]
	;; [unrolled: 1-line block ×4, first 2 shown]
	v_dual_mov_b32 v108, 0 :: v_dual_mov_b32 v107, 0
	s_clause 0x3
	global_load_b128 v[8:11], v[0:1], off
	global_load_b128 v[12:15], v[2:3], off
	;; [unrolled: 1-line block ×4, first 2 shown]
	v_dual_mov_b32 v109, 0 :: v_dual_add_nc_u32 v20, s24, v28
	s_and_not1_b32 vcc_lo, exec_lo, s29
	s_wait_loadcnt 0x3
	ds_store_b128 v39, v[8:11]
	s_wait_loadcnt 0x2
	ds_store_b128 v74, v[12:15]
	;; [unrolled: 2-line block ×4, first 2 shown]
	s_wait_dscnt 0x0
	s_barrier_signal -1
	s_barrier_wait -1
	ds_load_b128 v[8:11], v29
	ds_load_b128 v[12:15], v33
	ds_load_b128 v[110:113], v33 offset:256
	ds_load_b128 v[122:125], v29 offset:4608
	;; [unrolled: 1-line block ×6, first 2 shown]
	v_dual_mov_b32 v102, 0 :: v_dual_mov_b32 v97, 0
	v_dual_mov_b32 v103, 0 :: v_dual_mov_b32 v96, 0
	;; [unrolled: 1-line block ×4, first 2 shown]
	s_wait_dscnt 0x6
	;;#ASMSTART
	v_dot2_f32_f16 v23, v8, v12, v23
	;;#ASMEND
	;;#ASMSTART
	v_dot2_f32_f16 v23, v9, v13, v23
	;;#ASMEND
	;;#ASMSTART
	v_dot2_f32_f16 v23, v10, v14, v23
	;;#ASMEND
	;;#ASMSTART
	v_dot2_f32_f16 v23, v11, v15, v23
	;;#ASMEND
	s_wait_dscnt 0x5
	;;#ASMSTART
	v_dot2_f32_f16 v22, v8, v110, v22
	;;#ASMEND
	;;#ASMSTART
	v_dot2_f32_f16 v22, v9, v111, v22
	;;#ASMEND
	;;#ASMSTART
	v_dot2_f32_f16 v22, v10, v112, v22
	;;#ASMEND
	;;#ASMSTART
	v_dot2_f32_f16 v22, v11, v113, v22
	;;#ASMEND
	;; [unrolled: 13-line block ×4, first 2 shown]
	;;#ASMSTART
	v_dot2_f32_f16 v95, v122, v12, v95
	;;#ASMEND
	;;#ASMSTART
	v_dot2_f32_f16 v95, v123, v13, v95
	;;#ASMEND
	;; [unrolled: 3-line block ×16, first 2 shown]
	s_wait_dscnt 0x1
	;;#ASMSTART
	v_dot2_f32_f16 v96, v126, v12, v96
	;;#ASMEND
	;;#ASMSTART
	v_dot2_f32_f16 v96, v127, v13, v96
	;;#ASMEND
	;; [unrolled: 3-line block ×16, first 2 shown]
	s_wait_dscnt 0x0
	;;#ASMSTART
	v_dot2_f32_f16 v108, v130, v12, v108
	;;#ASMEND
	;;#ASMSTART
	v_dot2_f32_f16 v108, v131, v13, v108
	;;#ASMEND
	;; [unrolled: 3-line block ×16, first 2 shown]
	ds_load_b128 v[8:11], v29 offset:16
	ds_load_b128 v[12:15], v33 offset:16
	;; [unrolled: 1-line block ×8, first 2 shown]
	s_wait_dscnt 0x6
	;;#ASMSTART
	v_dot2_f32_f16 v23, v8, v12, v23
	;;#ASMEND
	;;#ASMSTART
	v_dot2_f32_f16 v23, v9, v13, v23
	;;#ASMEND
	;;#ASMSTART
	v_dot2_f32_f16 v23, v10, v14, v23
	;;#ASMEND
	;;#ASMSTART
	v_dot2_f32_f16 v23, v11, v15, v23
	;;#ASMEND
	s_wait_dscnt 0x5
	;;#ASMSTART
	v_dot2_f32_f16 v22, v8, v110, v22
	;;#ASMEND
	;;#ASMSTART
	v_dot2_f32_f16 v22, v9, v111, v22
	;;#ASMEND
	;;#ASMSTART
	v_dot2_f32_f16 v22, v10, v112, v22
	;;#ASMEND
	;;#ASMSTART
	v_dot2_f32_f16 v22, v11, v113, v22
	;;#ASMEND
	;; [unrolled: 13-line block ×5, first 2 shown]
	;;#ASMSTART
	v_dot2_f32_f16 v97, v122, v110, v97
	;;#ASMEND
	;;#ASMSTART
	v_dot2_f32_f16 v97, v123, v111, v97
	;;#ASMEND
	;; [unrolled: 3-line block ×12, first 2 shown]
	s_wait_dscnt 0x1
	;;#ASMSTART
	v_dot2_f32_f16 v96, v126, v12, v96
	;;#ASMEND
	;;#ASMSTART
	v_dot2_f32_f16 v96, v127, v13, v96
	;;#ASMEND
	;; [unrolled: 3-line block ×16, first 2 shown]
	s_wait_dscnt 0x0
	;;#ASMSTART
	v_dot2_f32_f16 v108, v130, v12, v108
	;;#ASMEND
	;;#ASMSTART
	v_dot2_f32_f16 v108, v131, v13, v108
	;;#ASMEND
	;; [unrolled: 3-line block ×16, first 2 shown]
	ds_load_b128 v[8:11], v29 offset:32
	ds_load_b128 v[12:15], v33 offset:32
	;; [unrolled: 1-line block ×8, first 2 shown]
	s_wait_dscnt 0x6
	;;#ASMSTART
	v_dot2_f32_f16 v23, v8, v12, v23
	;;#ASMEND
	;;#ASMSTART
	v_dot2_f32_f16 v23, v9, v13, v23
	;;#ASMEND
	;;#ASMSTART
	v_dot2_f32_f16 v23, v10, v14, v23
	;;#ASMEND
	;;#ASMSTART
	v_dot2_f32_f16 v23, v11, v15, v23
	;;#ASMEND
	s_wait_dscnt 0x5
	;;#ASMSTART
	v_dot2_f32_f16 v22, v8, v110, v22
	;;#ASMEND
	;;#ASMSTART
	v_dot2_f32_f16 v22, v9, v111, v22
	;;#ASMEND
	;;#ASMSTART
	v_dot2_f32_f16 v22, v10, v112, v22
	;;#ASMEND
	;;#ASMSTART
	v_dot2_f32_f16 v22, v11, v113, v22
	;;#ASMEND
	;; [unrolled: 13-line block ×5, first 2 shown]
	;;#ASMSTART
	v_dot2_f32_f16 v97, v122, v110, v97
	;;#ASMEND
	;;#ASMSTART
	v_dot2_f32_f16 v97, v123, v111, v97
	;;#ASMEND
	;; [unrolled: 3-line block ×12, first 2 shown]
	s_wait_dscnt 0x1
	;;#ASMSTART
	v_dot2_f32_f16 v96, v126, v12, v96
	;;#ASMEND
	;;#ASMSTART
	v_dot2_f32_f16 v96, v127, v13, v96
	;;#ASMEND
	;; [unrolled: 3-line block ×16, first 2 shown]
	s_wait_dscnt 0x0
	;;#ASMSTART
	v_dot2_f32_f16 v108, v130, v12, v108
	;;#ASMEND
	;;#ASMSTART
	v_dot2_f32_f16 v108, v131, v13, v108
	;;#ASMEND
	;;#ASMSTART
	v_dot2_f32_f16 v108, v132, v14, v108
	;;#ASMEND
	;;#ASMSTART
	v_dot2_f32_f16 v108, v133, v15, v108
	;;#ASMEND
	;;#ASMSTART
	v_dot2_f32_f16 v99, v130, v110, v99
	;;#ASMEND
	;;#ASMSTART
	v_dot2_f32_f16 v99, v131, v111, v99
	;;#ASMEND
	;;#ASMSTART
	v_dot2_f32_f16 v99, v132, v112, v99
	;;#ASMEND
	;;#ASMSTART
	v_dot2_f32_f16 v99, v133, v113, v99
	;;#ASMEND
	;;#ASMSTART
	v_dot2_f32_f16 v107, v130, v114, v107
	;;#ASMEND
	;;#ASMSTART
	v_dot2_f32_f16 v107, v131, v115, v107
	;;#ASMEND
	;;#ASMSTART
	v_dot2_f32_f16 v107, v132, v116, v107
	;;#ASMEND
	;;#ASMSTART
	v_dot2_f32_f16 v107, v133, v117, v107
	;;#ASMEND
	;;#ASMSTART
	v_dot2_f32_f16 v105, v130, v118, v105
	;;#ASMEND
	;;#ASMSTART
	v_dot2_f32_f16 v105, v131, v119, v105
	;;#ASMEND
	;;#ASMSTART
	v_dot2_f32_f16 v105, v132, v120, v105
	;;#ASMEND
	;;#ASMSTART
	v_dot2_f32_f16 v105, v133, v121, v105
	;;#ASMEND
	ds_load_b128 v[8:11], v29 offset:48
	ds_load_b128 v[12:15], v33 offset:48
	;; [unrolled: 1-line block ×8, first 2 shown]
	s_wait_dscnt 0x6
	;;#ASMSTART
	v_dot2_f32_f16 v23, v8, v12, v23
	;;#ASMEND
	;;#ASMSTART
	v_dot2_f32_f16 v23, v9, v13, v23
	;;#ASMEND
	;;#ASMSTART
	v_dot2_f32_f16 v23, v10, v14, v23
	;;#ASMEND
	;;#ASMSTART
	v_dot2_f32_f16 v23, v11, v15, v23
	;;#ASMEND
	s_wait_dscnt 0x5
	;;#ASMSTART
	v_dot2_f32_f16 v22, v8, v110, v22
	;;#ASMEND
	;;#ASMSTART
	v_dot2_f32_f16 v22, v9, v111, v22
	;;#ASMEND
	;;#ASMSTART
	v_dot2_f32_f16 v22, v10, v112, v22
	;;#ASMEND
	;;#ASMSTART
	v_dot2_f32_f16 v22, v11, v113, v22
	;;#ASMEND
	;; [unrolled: 13-line block ×5, first 2 shown]
	;;#ASMSTART
	v_dot2_f32_f16 v97, v122, v110, v97
	;;#ASMEND
	;;#ASMSTART
	v_dot2_f32_f16 v97, v123, v111, v97
	;;#ASMEND
	;; [unrolled: 3-line block ×12, first 2 shown]
	s_wait_dscnt 0x1
	;;#ASMSTART
	v_dot2_f32_f16 v96, v126, v12, v96
	;;#ASMEND
	;;#ASMSTART
	v_dot2_f32_f16 v96, v127, v13, v96
	;;#ASMEND
	;; [unrolled: 3-line block ×16, first 2 shown]
	s_wait_dscnt 0x0
	;;#ASMSTART
	v_dot2_f32_f16 v108, v130, v12, v108
	;;#ASMEND
	;;#ASMSTART
	v_dot2_f32_f16 v108, v131, v13, v108
	;;#ASMEND
	;; [unrolled: 3-line block ×16, first 2 shown]
	ds_load_b128 v[8:11], v29 offset:64
	ds_load_b128 v[12:15], v33 offset:64
	;; [unrolled: 1-line block ×8, first 2 shown]
	s_wait_dscnt 0x6
	;;#ASMSTART
	v_dot2_f32_f16 v23, v8, v12, v23
	;;#ASMEND
	;;#ASMSTART
	v_dot2_f32_f16 v23, v9, v13, v23
	;;#ASMEND
	;;#ASMSTART
	v_dot2_f32_f16 v23, v10, v14, v23
	;;#ASMEND
	;;#ASMSTART
	v_dot2_f32_f16 v23, v11, v15, v23
	;;#ASMEND
	s_wait_dscnt 0x5
	;;#ASMSTART
	v_dot2_f32_f16 v22, v8, v110, v22
	;;#ASMEND
	;;#ASMSTART
	v_dot2_f32_f16 v22, v9, v111, v22
	;;#ASMEND
	;;#ASMSTART
	v_dot2_f32_f16 v22, v10, v112, v22
	;;#ASMEND
	;;#ASMSTART
	v_dot2_f32_f16 v22, v11, v113, v22
	;;#ASMEND
	;; [unrolled: 13-line block ×5, first 2 shown]
	;;#ASMSTART
	v_dot2_f32_f16 v97, v122, v110, v97
	;;#ASMEND
	;;#ASMSTART
	v_dot2_f32_f16 v97, v123, v111, v97
	;;#ASMEND
	;; [unrolled: 3-line block ×12, first 2 shown]
	s_wait_dscnt 0x1
	;;#ASMSTART
	v_dot2_f32_f16 v96, v126, v12, v96
	;;#ASMEND
	;;#ASMSTART
	v_dot2_f32_f16 v96, v127, v13, v96
	;;#ASMEND
	;; [unrolled: 3-line block ×16, first 2 shown]
	s_wait_dscnt 0x0
	;;#ASMSTART
	v_dot2_f32_f16 v108, v130, v12, v108
	;;#ASMEND
	;;#ASMSTART
	v_dot2_f32_f16 v108, v131, v13, v108
	;;#ASMEND
	;; [unrolled: 3-line block ×16, first 2 shown]
	ds_load_b128 v[8:11], v29 offset:80
	ds_load_b128 v[12:15], v33 offset:80
	;; [unrolled: 1-line block ×8, first 2 shown]
	s_wait_dscnt 0x6
	;;#ASMSTART
	v_dot2_f32_f16 v23, v8, v12, v23
	;;#ASMEND
	;;#ASMSTART
	v_dot2_f32_f16 v23, v9, v13, v23
	;;#ASMEND
	;;#ASMSTART
	v_dot2_f32_f16 v23, v10, v14, v23
	;;#ASMEND
	;;#ASMSTART
	v_dot2_f32_f16 v23, v11, v15, v23
	;;#ASMEND
	s_wait_dscnt 0x5
	;;#ASMSTART
	v_dot2_f32_f16 v22, v8, v110, v22
	;;#ASMEND
	;;#ASMSTART
	v_dot2_f32_f16 v22, v9, v111, v22
	;;#ASMEND
	;;#ASMSTART
	v_dot2_f32_f16 v22, v10, v112, v22
	;;#ASMEND
	;;#ASMSTART
	v_dot2_f32_f16 v22, v11, v113, v22
	;;#ASMEND
	;; [unrolled: 13-line block ×5, first 2 shown]
	;;#ASMSTART
	v_dot2_f32_f16 v97, v122, v110, v97
	;;#ASMEND
	;;#ASMSTART
	v_dot2_f32_f16 v97, v123, v111, v97
	;;#ASMEND
	;; [unrolled: 3-line block ×12, first 2 shown]
	s_wait_dscnt 0x1
	;;#ASMSTART
	v_dot2_f32_f16 v96, v126, v12, v96
	;;#ASMEND
	;;#ASMSTART
	v_dot2_f32_f16 v96, v127, v13, v96
	;;#ASMEND
	;; [unrolled: 3-line block ×16, first 2 shown]
	s_wait_dscnt 0x0
	;;#ASMSTART
	v_dot2_f32_f16 v108, v130, v12, v108
	;;#ASMEND
	;;#ASMSTART
	v_dot2_f32_f16 v108, v131, v13, v108
	;;#ASMEND
	;; [unrolled: 3-line block ×16, first 2 shown]
	ds_load_b128 v[8:11], v29 offset:96
	ds_load_b128 v[12:15], v33 offset:96
	;; [unrolled: 1-line block ×8, first 2 shown]
	s_wait_dscnt 0x6
	;;#ASMSTART
	v_dot2_f32_f16 v23, v8, v12, v23
	;;#ASMEND
	;;#ASMSTART
	v_dot2_f32_f16 v23, v9, v13, v23
	;;#ASMEND
	;;#ASMSTART
	v_dot2_f32_f16 v23, v10, v14, v23
	;;#ASMEND
	;;#ASMSTART
	v_dot2_f32_f16 v23, v11, v15, v23
	;;#ASMEND
	s_wait_dscnt 0x5
	;;#ASMSTART
	v_dot2_f32_f16 v22, v8, v110, v22
	;;#ASMEND
	;;#ASMSTART
	v_dot2_f32_f16 v22, v9, v111, v22
	;;#ASMEND
	;;#ASMSTART
	v_dot2_f32_f16 v22, v10, v112, v22
	;;#ASMEND
	;;#ASMSTART
	v_dot2_f32_f16 v22, v11, v113, v22
	;;#ASMEND
	;; [unrolled: 13-line block ×5, first 2 shown]
	;;#ASMSTART
	v_dot2_f32_f16 v97, v122, v110, v97
	;;#ASMEND
	;;#ASMSTART
	v_dot2_f32_f16 v97, v123, v111, v97
	;;#ASMEND
	;; [unrolled: 3-line block ×12, first 2 shown]
	s_wait_dscnt 0x1
	;;#ASMSTART
	v_dot2_f32_f16 v96, v126, v12, v96
	;;#ASMEND
	;;#ASMSTART
	v_dot2_f32_f16 v96, v127, v13, v96
	;;#ASMEND
	;;#ASMSTART
	v_dot2_f32_f16 v96, v128, v14, v96
	;;#ASMEND
	;;#ASMSTART
	v_dot2_f32_f16 v96, v129, v15, v96
	;;#ASMEND
	;;#ASMSTART
	v_dot2_f32_f16 v98, v126, v110, v98
	;;#ASMEND
	;;#ASMSTART
	v_dot2_f32_f16 v98, v127, v111, v98
	;;#ASMEND
	;;#ASMSTART
	v_dot2_f32_f16 v98, v128, v112, v98
	;;#ASMEND
	;;#ASMSTART
	v_dot2_f32_f16 v98, v129, v113, v98
	;;#ASMEND
	;;#ASMSTART
	v_dot2_f32_f16 v106, v126, v114, v106
	;;#ASMEND
	;;#ASMSTART
	v_dot2_f32_f16 v106, v127, v115, v106
	;;#ASMEND
	;;#ASMSTART
	v_dot2_f32_f16 v106, v128, v116, v106
	;;#ASMEND
	;;#ASMSTART
	v_dot2_f32_f16 v106, v129, v117, v106
	;;#ASMEND
	;;#ASMSTART
	v_dot2_f32_f16 v104, v126, v118, v104
	;;#ASMEND
	;;#ASMSTART
	v_dot2_f32_f16 v104, v127, v119, v104
	;;#ASMEND
	;;#ASMSTART
	v_dot2_f32_f16 v104, v128, v120, v104
	;;#ASMEND
	;;#ASMSTART
	v_dot2_f32_f16 v104, v129, v121, v104
	;;#ASMEND
	s_wait_dscnt 0x0
	;;#ASMSTART
	v_dot2_f32_f16 v108, v130, v12, v108
	;;#ASMEND
	;;#ASMSTART
	v_dot2_f32_f16 v108, v131, v13, v108
	;;#ASMEND
	;; [unrolled: 3-line block ×16, first 2 shown]
	ds_load_b128 v[8:11], v29 offset:112
	ds_load_b128 v[12:15], v33 offset:112
	;; [unrolled: 1-line block ×8, first 2 shown]
	s_wait_dscnt 0x6
	;;#ASMSTART
	v_dot2_f32_f16 v23, v8, v12, v23
	;;#ASMEND
	;;#ASMSTART
	v_dot2_f32_f16 v23, v9, v13, v23
	;;#ASMEND
	;;#ASMSTART
	v_dot2_f32_f16 v23, v10, v14, v23
	;;#ASMEND
	;;#ASMSTART
	v_dot2_f32_f16 v23, v11, v15, v23
	;;#ASMEND
	s_wait_dscnt 0x5
	;;#ASMSTART
	v_dot2_f32_f16 v22, v8, v110, v22
	;;#ASMEND
	;;#ASMSTART
	v_dot2_f32_f16 v22, v9, v111, v22
	;;#ASMEND
	;;#ASMSTART
	v_dot2_f32_f16 v22, v10, v112, v22
	;;#ASMEND
	;;#ASMSTART
	v_dot2_f32_f16 v22, v11, v113, v22
	;;#ASMEND
	;; [unrolled: 13-line block ×5, first 2 shown]
	;;#ASMSTART
	v_dot2_f32_f16 v97, v122, v110, v97
	;;#ASMEND
	;;#ASMSTART
	v_dot2_f32_f16 v97, v123, v111, v97
	;;#ASMEND
	;; [unrolled: 3-line block ×12, first 2 shown]
	s_wait_dscnt 0x1
	;;#ASMSTART
	v_dot2_f32_f16 v96, v126, v12, v96
	;;#ASMEND
	;;#ASMSTART
	v_dot2_f32_f16 v96, v127, v13, v96
	;;#ASMEND
	;; [unrolled: 3-line block ×16, first 2 shown]
	s_wait_dscnt 0x0
	;;#ASMSTART
	v_dot2_f32_f16 v108, v130, v12, v108
	;;#ASMEND
	;;#ASMSTART
	v_dot2_f32_f16 v108, v131, v13, v108
	;;#ASMEND
	;; [unrolled: 3-line block ×16, first 2 shown]
	s_barrier_signal -1
	s_barrier_wait -1
	s_clause 0x3
	global_load_b128 v[8:11], v[0:1], off offset:128
	global_load_b128 v[12:15], v[2:3], off offset:128
	;; [unrolled: 1-line block ×4, first 2 shown]
	v_add_nc_u32_e32 v21, v20, v35
	s_wait_loadcnt 0x3
	ds_store_b128 v39, v[8:11]
	s_wait_loadcnt 0x2
	ds_store_b128 v74, v[12:15]
	;; [unrolled: 2-line block ×4, first 2 shown]
	s_wait_dscnt 0x0
	s_barrier_signal -1
	s_barrier_wait -1
	ds_load_b128 v[0:3], v29
	ds_load_b128 v[4:7], v33 offset:128
	ds_load_b128 v[8:11], v33 offset:384
	;; [unrolled: 1-line block ×7, first 2 shown]
	s_wait_dscnt 0x6
	;;#ASMSTART
	v_dot2_f32_f16 v23, v0, v4, v23
	;;#ASMEND
	;;#ASMSTART
	v_dot2_f32_f16 v23, v1, v5, v23
	;;#ASMEND
	;;#ASMSTART
	v_dot2_f32_f16 v23, v2, v6, v23
	;;#ASMEND
	;;#ASMSTART
	v_dot2_f32_f16 v23, v3, v7, v23
	;;#ASMEND
	s_wait_dscnt 0x5
	;;#ASMSTART
	v_dot2_f32_f16 v22, v0, v8, v22
	;;#ASMEND
	;;#ASMSTART
	v_dot2_f32_f16 v22, v1, v9, v22
	;;#ASMEND
	;;#ASMSTART
	v_dot2_f32_f16 v22, v2, v10, v22
	;;#ASMEND
	;;#ASMSTART
	v_dot2_f32_f16 v22, v3, v11, v22
	;;#ASMEND
	;; [unrolled: 13-line block ×5, first 2 shown]
	;;#ASMSTART
	v_dot2_f32_f16 v97, v114, v8, v97
	;;#ASMEND
	;;#ASMSTART
	v_dot2_f32_f16 v97, v115, v9, v97
	;;#ASMEND
	;; [unrolled: 3-line block ×12, first 2 shown]
	s_wait_dscnt 0x1
	;;#ASMSTART
	v_dot2_f32_f16 v96, v118, v4, v96
	;;#ASMEND
	;;#ASMSTART
	v_dot2_f32_f16 v96, v119, v5, v96
	;;#ASMEND
	;; [unrolled: 3-line block ×16, first 2 shown]
	s_wait_dscnt 0x0
	;;#ASMSTART
	v_dot2_f32_f16 v108, v122, v4, v108
	;;#ASMEND
	;;#ASMSTART
	v_dot2_f32_f16 v108, v123, v5, v108
	;;#ASMEND
	;; [unrolled: 3-line block ×16, first 2 shown]
	ds_load_b128 v[0:3], v29 offset:16
	ds_load_b128 v[4:7], v33 offset:144
	;; [unrolled: 1-line block ×8, first 2 shown]
	s_wait_dscnt 0x6
	;;#ASMSTART
	v_dot2_f32_f16 v23, v0, v4, v23
	;;#ASMEND
	;;#ASMSTART
	v_dot2_f32_f16 v23, v1, v5, v23
	;;#ASMEND
	;;#ASMSTART
	v_dot2_f32_f16 v23, v2, v6, v23
	;;#ASMEND
	;;#ASMSTART
	v_dot2_f32_f16 v23, v3, v7, v23
	;;#ASMEND
	s_wait_dscnt 0x5
	;;#ASMSTART
	v_dot2_f32_f16 v22, v0, v8, v22
	;;#ASMEND
	;;#ASMSTART
	v_dot2_f32_f16 v22, v1, v9, v22
	;;#ASMEND
	;;#ASMSTART
	v_dot2_f32_f16 v22, v2, v10, v22
	;;#ASMEND
	;;#ASMSTART
	v_dot2_f32_f16 v22, v3, v11, v22
	;;#ASMEND
	;; [unrolled: 13-line block ×5, first 2 shown]
	;;#ASMSTART
	v_dot2_f32_f16 v97, v114, v8, v97
	;;#ASMEND
	;;#ASMSTART
	v_dot2_f32_f16 v97, v115, v9, v97
	;;#ASMEND
	;; [unrolled: 3-line block ×12, first 2 shown]
	s_wait_dscnt 0x1
	;;#ASMSTART
	v_dot2_f32_f16 v96, v118, v4, v96
	;;#ASMEND
	;;#ASMSTART
	v_dot2_f32_f16 v96, v119, v5, v96
	;;#ASMEND
	;;#ASMSTART
	v_dot2_f32_f16 v96, v120, v6, v96
	;;#ASMEND
	;;#ASMSTART
	v_dot2_f32_f16 v96, v121, v7, v96
	;;#ASMEND
	;;#ASMSTART
	v_dot2_f32_f16 v98, v118, v8, v98
	;;#ASMEND
	;;#ASMSTART
	v_dot2_f32_f16 v98, v119, v9, v98
	;;#ASMEND
	;;#ASMSTART
	v_dot2_f32_f16 v98, v120, v10, v98
	;;#ASMEND
	;;#ASMSTART
	v_dot2_f32_f16 v98, v121, v11, v98
	;;#ASMEND
	;;#ASMSTART
	v_dot2_f32_f16 v106, v118, v12, v106
	;;#ASMEND
	;;#ASMSTART
	v_dot2_f32_f16 v106, v119, v13, v106
	;;#ASMEND
	;;#ASMSTART
	v_dot2_f32_f16 v106, v120, v14, v106
	;;#ASMEND
	;;#ASMSTART
	v_dot2_f32_f16 v106, v121, v15, v106
	;;#ASMEND
	;;#ASMSTART
	v_dot2_f32_f16 v104, v118, v110, v104
	;;#ASMEND
	;;#ASMSTART
	v_dot2_f32_f16 v104, v119, v111, v104
	;;#ASMEND
	;;#ASMSTART
	v_dot2_f32_f16 v104, v120, v112, v104
	;;#ASMEND
	;;#ASMSTART
	v_dot2_f32_f16 v104, v121, v113, v104
	;;#ASMEND
	s_wait_dscnt 0x0
	;;#ASMSTART
	v_dot2_f32_f16 v108, v122, v4, v108
	;;#ASMEND
	;;#ASMSTART
	v_dot2_f32_f16 v108, v123, v5, v108
	;;#ASMEND
	;; [unrolled: 3-line block ×16, first 2 shown]
	ds_load_b128 v[0:3], v29 offset:32
	ds_load_b128 v[4:7], v33 offset:160
	;; [unrolled: 1-line block ×8, first 2 shown]
	s_wait_dscnt 0x6
	;;#ASMSTART
	v_dot2_f32_f16 v23, v0, v4, v23
	;;#ASMEND
	;;#ASMSTART
	v_dot2_f32_f16 v23, v1, v5, v23
	;;#ASMEND
	;;#ASMSTART
	v_dot2_f32_f16 v23, v2, v6, v23
	;;#ASMEND
	;;#ASMSTART
	v_dot2_f32_f16 v23, v3, v7, v23
	;;#ASMEND
	s_wait_dscnt 0x5
	;;#ASMSTART
	v_dot2_f32_f16 v22, v0, v8, v22
	;;#ASMEND
	;;#ASMSTART
	v_dot2_f32_f16 v22, v1, v9, v22
	;;#ASMEND
	;;#ASMSTART
	v_dot2_f32_f16 v22, v2, v10, v22
	;;#ASMEND
	;;#ASMSTART
	v_dot2_f32_f16 v22, v3, v11, v22
	;;#ASMEND
	s_wait_dscnt 0x4
	;;#ASMSTART
	v_dot2_f32_f16 v100, v0, v12, v100
	;;#ASMEND
	;;#ASMSTART
	v_dot2_f32_f16 v100, v1, v13, v100
	;;#ASMEND
	;;#ASMSTART
	v_dot2_f32_f16 v100, v2, v14, v100
	;;#ASMEND
	;;#ASMSTART
	v_dot2_f32_f16 v100, v3, v15, v100
	;;#ASMEND
	s_wait_dscnt 0x3
	;;#ASMSTART
	v_dot2_f32_f16 v102, v0, v110, v102
	;;#ASMEND
	;;#ASMSTART
	v_dot2_f32_f16 v102, v1, v111, v102
	;;#ASMEND
	;;#ASMSTART
	v_dot2_f32_f16 v102, v2, v112, v102
	;;#ASMEND
	;;#ASMSTART
	v_dot2_f32_f16 v102, v3, v113, v102
	;;#ASMEND
	s_wait_dscnt 0x2
	;;#ASMSTART
	v_dot2_f32_f16 v95, v114, v4, v95
	;;#ASMEND
	;;#ASMSTART
	v_dot2_f32_f16 v95, v115, v5, v95
	;;#ASMEND
	;;#ASMSTART
	v_dot2_f32_f16 v95, v116, v6, v95
	;;#ASMEND
	;;#ASMSTART
	v_dot2_f32_f16 v95, v117, v7, v95
	;;#ASMEND
	;;#ASMSTART
	v_dot2_f32_f16 v97, v114, v8, v97
	;;#ASMEND
	;;#ASMSTART
	v_dot2_f32_f16 v97, v115, v9, v97
	;;#ASMEND
	;; [unrolled: 3-line block ×12, first 2 shown]
	s_wait_dscnt 0x1
	;;#ASMSTART
	v_dot2_f32_f16 v96, v118, v4, v96
	;;#ASMEND
	;;#ASMSTART
	v_dot2_f32_f16 v96, v119, v5, v96
	;;#ASMEND
	;; [unrolled: 3-line block ×16, first 2 shown]
	s_wait_dscnt 0x0
	;;#ASMSTART
	v_dot2_f32_f16 v108, v122, v4, v108
	;;#ASMEND
	;;#ASMSTART
	v_dot2_f32_f16 v108, v123, v5, v108
	;;#ASMEND
	;; [unrolled: 3-line block ×16, first 2 shown]
	ds_load_b128 v[0:3], v29 offset:48
	ds_load_b128 v[4:7], v33 offset:176
	;; [unrolled: 1-line block ×8, first 2 shown]
	s_wait_dscnt 0x6
	;;#ASMSTART
	v_dot2_f32_f16 v23, v0, v4, v23
	;;#ASMEND
	;;#ASMSTART
	v_dot2_f32_f16 v23, v1, v5, v23
	;;#ASMEND
	;;#ASMSTART
	v_dot2_f32_f16 v23, v2, v6, v23
	;;#ASMEND
	;;#ASMSTART
	v_dot2_f32_f16 v23, v3, v7, v23
	;;#ASMEND
	s_wait_dscnt 0x5
	;;#ASMSTART
	v_dot2_f32_f16 v22, v0, v8, v22
	;;#ASMEND
	;;#ASMSTART
	v_dot2_f32_f16 v22, v1, v9, v22
	;;#ASMEND
	;;#ASMSTART
	v_dot2_f32_f16 v22, v2, v10, v22
	;;#ASMEND
	;;#ASMSTART
	v_dot2_f32_f16 v22, v3, v11, v22
	;;#ASMEND
	s_wait_dscnt 0x4
	;;#ASMSTART
	v_dot2_f32_f16 v100, v0, v12, v100
	;;#ASMEND
	;;#ASMSTART
	v_dot2_f32_f16 v100, v1, v13, v100
	;;#ASMEND
	;;#ASMSTART
	v_dot2_f32_f16 v100, v2, v14, v100
	;;#ASMEND
	;;#ASMSTART
	v_dot2_f32_f16 v100, v3, v15, v100
	;;#ASMEND
	s_wait_dscnt 0x3
	;;#ASMSTART
	v_dot2_f32_f16 v102, v0, v110, v102
	;;#ASMEND
	;;#ASMSTART
	v_dot2_f32_f16 v102, v1, v111, v102
	;;#ASMEND
	;;#ASMSTART
	v_dot2_f32_f16 v102, v2, v112, v102
	;;#ASMEND
	;;#ASMSTART
	v_dot2_f32_f16 v102, v3, v113, v102
	;;#ASMEND
	s_wait_dscnt 0x2
	;;#ASMSTART
	v_dot2_f32_f16 v95, v114, v4, v95
	;;#ASMEND
	;;#ASMSTART
	v_dot2_f32_f16 v95, v115, v5, v95
	;;#ASMEND
	;;#ASMSTART
	v_dot2_f32_f16 v95, v116, v6, v95
	;;#ASMEND
	;;#ASMSTART
	v_dot2_f32_f16 v95, v117, v7, v95
	;;#ASMEND
	;;#ASMSTART
	v_dot2_f32_f16 v97, v114, v8, v97
	;;#ASMEND
	;;#ASMSTART
	v_dot2_f32_f16 v97, v115, v9, v97
	;;#ASMEND
	;; [unrolled: 3-line block ×12, first 2 shown]
	s_wait_dscnt 0x1
	;;#ASMSTART
	v_dot2_f32_f16 v96, v118, v4, v96
	;;#ASMEND
	;;#ASMSTART
	v_dot2_f32_f16 v96, v119, v5, v96
	;;#ASMEND
	;; [unrolled: 3-line block ×16, first 2 shown]
	s_wait_dscnt 0x0
	;;#ASMSTART
	v_dot2_f32_f16 v108, v122, v4, v108
	;;#ASMEND
	;;#ASMSTART
	v_dot2_f32_f16 v108, v123, v5, v108
	;;#ASMEND
	;; [unrolled: 3-line block ×16, first 2 shown]
	ds_load_b128 v[0:3], v29 offset:64
	ds_load_b128 v[4:7], v33 offset:192
	;; [unrolled: 1-line block ×8, first 2 shown]
	s_wait_dscnt 0x6
	;;#ASMSTART
	v_dot2_f32_f16 v23, v0, v4, v23
	;;#ASMEND
	;;#ASMSTART
	v_dot2_f32_f16 v23, v1, v5, v23
	;;#ASMEND
	;;#ASMSTART
	v_dot2_f32_f16 v23, v2, v6, v23
	;;#ASMEND
	;;#ASMSTART
	v_dot2_f32_f16 v23, v3, v7, v23
	;;#ASMEND
	s_wait_dscnt 0x5
	;;#ASMSTART
	v_dot2_f32_f16 v22, v0, v8, v22
	;;#ASMEND
	;;#ASMSTART
	v_dot2_f32_f16 v22, v1, v9, v22
	;;#ASMEND
	;;#ASMSTART
	v_dot2_f32_f16 v22, v2, v10, v22
	;;#ASMEND
	;;#ASMSTART
	v_dot2_f32_f16 v22, v3, v11, v22
	;;#ASMEND
	;; [unrolled: 13-line block ×5, first 2 shown]
	;;#ASMSTART
	v_dot2_f32_f16 v97, v114, v8, v97
	;;#ASMEND
	;;#ASMSTART
	v_dot2_f32_f16 v97, v115, v9, v97
	;;#ASMEND
	;; [unrolled: 3-line block ×12, first 2 shown]
	s_wait_dscnt 0x1
	;;#ASMSTART
	v_dot2_f32_f16 v96, v118, v4, v96
	;;#ASMEND
	;;#ASMSTART
	v_dot2_f32_f16 v96, v119, v5, v96
	;;#ASMEND
	;; [unrolled: 3-line block ×16, first 2 shown]
	s_wait_dscnt 0x0
	;;#ASMSTART
	v_dot2_f32_f16 v108, v122, v4, v108
	;;#ASMEND
	;;#ASMSTART
	v_dot2_f32_f16 v108, v123, v5, v108
	;;#ASMEND
	;; [unrolled: 3-line block ×16, first 2 shown]
	ds_load_b128 v[0:3], v29 offset:80
	ds_load_b128 v[4:7], v33 offset:208
	;; [unrolled: 1-line block ×8, first 2 shown]
	s_wait_dscnt 0x6
	;;#ASMSTART
	v_dot2_f32_f16 v23, v0, v4, v23
	;;#ASMEND
	;;#ASMSTART
	v_dot2_f32_f16 v23, v1, v5, v23
	;;#ASMEND
	;;#ASMSTART
	v_dot2_f32_f16 v23, v2, v6, v23
	;;#ASMEND
	;;#ASMSTART
	v_dot2_f32_f16 v23, v3, v7, v23
	;;#ASMEND
	s_wait_dscnt 0x5
	;;#ASMSTART
	v_dot2_f32_f16 v22, v0, v8, v22
	;;#ASMEND
	;;#ASMSTART
	v_dot2_f32_f16 v22, v1, v9, v22
	;;#ASMEND
	;;#ASMSTART
	v_dot2_f32_f16 v22, v2, v10, v22
	;;#ASMEND
	;;#ASMSTART
	v_dot2_f32_f16 v22, v3, v11, v22
	;;#ASMEND
	;; [unrolled: 13-line block ×5, first 2 shown]
	;;#ASMSTART
	v_dot2_f32_f16 v97, v114, v8, v97
	;;#ASMEND
	;;#ASMSTART
	v_dot2_f32_f16 v97, v115, v9, v97
	;;#ASMEND
	;; [unrolled: 3-line block ×12, first 2 shown]
	s_wait_dscnt 0x1
	;;#ASMSTART
	v_dot2_f32_f16 v96, v118, v4, v96
	;;#ASMEND
	;;#ASMSTART
	v_dot2_f32_f16 v96, v119, v5, v96
	;;#ASMEND
	;; [unrolled: 3-line block ×16, first 2 shown]
	s_wait_dscnt 0x0
	;;#ASMSTART
	v_dot2_f32_f16 v108, v122, v4, v108
	;;#ASMEND
	;;#ASMSTART
	v_dot2_f32_f16 v108, v123, v5, v108
	;;#ASMEND
	;; [unrolled: 3-line block ×16, first 2 shown]
	ds_load_b128 v[0:3], v29 offset:96
	ds_load_b128 v[4:7], v33 offset:224
	;; [unrolled: 1-line block ×8, first 2 shown]
	s_wait_dscnt 0x6
	;;#ASMSTART
	v_dot2_f32_f16 v23, v0, v4, v23
	;;#ASMEND
	;;#ASMSTART
	v_dot2_f32_f16 v23, v1, v5, v23
	;;#ASMEND
	;;#ASMSTART
	v_dot2_f32_f16 v23, v2, v6, v23
	;;#ASMEND
	;;#ASMSTART
	v_dot2_f32_f16 v23, v3, v7, v23
	;;#ASMEND
	s_wait_dscnt 0x5
	;;#ASMSTART
	v_dot2_f32_f16 v22, v0, v8, v22
	;;#ASMEND
	;;#ASMSTART
	v_dot2_f32_f16 v22, v1, v9, v22
	;;#ASMEND
	;;#ASMSTART
	v_dot2_f32_f16 v22, v2, v10, v22
	;;#ASMEND
	;;#ASMSTART
	v_dot2_f32_f16 v22, v3, v11, v22
	;;#ASMEND
	;; [unrolled: 13-line block ×5, first 2 shown]
	;;#ASMSTART
	v_dot2_f32_f16 v97, v114, v8, v97
	;;#ASMEND
	;;#ASMSTART
	v_dot2_f32_f16 v97, v115, v9, v97
	;;#ASMEND
	;; [unrolled: 3-line block ×12, first 2 shown]
	s_wait_dscnt 0x1
	;;#ASMSTART
	v_dot2_f32_f16 v96, v118, v4, v96
	;;#ASMEND
	;;#ASMSTART
	v_dot2_f32_f16 v96, v119, v5, v96
	;;#ASMEND
	;; [unrolled: 3-line block ×16, first 2 shown]
	s_wait_dscnt 0x0
	;;#ASMSTART
	v_dot2_f32_f16 v108, v122, v4, v108
	;;#ASMEND
	;;#ASMSTART
	v_dot2_f32_f16 v108, v123, v5, v108
	;;#ASMEND
	;; [unrolled: 3-line block ×16, first 2 shown]
	ds_load_b128 v[12:15], v29 offset:112
	ds_load_b128 v[0:3], v33 offset:240
	ds_load_b128 v[4:7], v33 offset:496
	ds_load_b128 v[8:11], v33 offset:752
	ds_load_b128 v[110:113], v33 offset:1008
	ds_load_b128 v[114:117], v29 offset:4720
	ds_load_b128 v[118:121], v29 offset:9328
	ds_load_b128 v[122:125], v29 offset:13936
	s_wait_dscnt 0x6
	;;#ASMSTART
	v_dot2_f32_f16 v23, v12, v0, v23
	;;#ASMEND
	;;#ASMSTART
	v_dot2_f32_f16 v23, v13, v1, v23
	;;#ASMEND
	;;#ASMSTART
	v_dot2_f32_f16 v23, v14, v2, v23
	;;#ASMEND
	;;#ASMSTART
	v_dot2_f32_f16 v23, v15, v3, v23
	;;#ASMEND
	s_wait_dscnt 0x5
	;;#ASMSTART
	v_dot2_f32_f16 v22, v12, v4, v22
	;;#ASMEND
	;;#ASMSTART
	v_dot2_f32_f16 v22, v13, v5, v22
	;;#ASMEND
	;;#ASMSTART
	v_dot2_f32_f16 v22, v14, v6, v22
	;;#ASMEND
	;;#ASMSTART
	v_dot2_f32_f16 v22, v15, v7, v22
	;;#ASMEND
	;; [unrolled: 13-line block ×5, first 2 shown]
	;;#ASMSTART
	v_dot2_f32_f16 v97, v114, v4, v97
	;;#ASMEND
	;;#ASMSTART
	v_dot2_f32_f16 v97, v115, v5, v97
	;;#ASMEND
	;; [unrolled: 3-line block ×12, first 2 shown]
	s_wait_dscnt 0x1
	;;#ASMSTART
	v_dot2_f32_f16 v96, v118, v0, v96
	;;#ASMEND
	;;#ASMSTART
	v_dot2_f32_f16 v96, v119, v1, v96
	;;#ASMEND
	;; [unrolled: 3-line block ×16, first 2 shown]
	s_wait_dscnt 0x0
	;;#ASMSTART
	v_dot2_f32_f16 v108, v122, v0, v108
	;;#ASMEND
	;;#ASMSTART
	v_dot2_f32_f16 v108, v123, v1, v108
	;;#ASMEND
	;; [unrolled: 3-line block ×16, first 2 shown]
	s_cbranch_vccnz .LBB56_10
; %bb.9:                                ;   in Loop: Header=BB56_8 Depth=1
	global_load_u16 v0, v21, s[36:37] scale_offset
	s_wait_loadcnt 0x0
	v_cvt_f32_f16_e32 v0, v0
	s_delay_alu instid0(VALU_DEP_1)
	v_mul_f32_e32 v109, v72, v0
.LBB56_10:                              ;   in Loop: Header=BB56_8 Depth=1
	v_dual_mov_b32 v0, 0 :: v_dual_mov_b32 v1, 0
	s_and_not1_b32 vcc_lo, exec_lo, s29
	s_cbranch_vccnz .LBB56_12
; %bb.11:                               ;   in Loop: Header=BB56_8 Depth=1
	global_load_u16 v1, v21, s[36:37] offset:64 scale_offset
	s_wait_loadcnt 0x0
	v_cvt_f32_f16_e32 v1, v1
	s_delay_alu instid0(VALU_DEP_1)
	v_mul_f32_e32 v1, v72, v1
.LBB56_12:                              ;   in Loop: Header=BB56_8 Depth=1
	s_and_not1_b32 vcc_lo, exec_lo, s29
	s_cbranch_vccnz .LBB56_14
; %bb.13:                               ;   in Loop: Header=BB56_8 Depth=1
	global_load_u16 v0, v21, s[36:37] offset:128 scale_offset
	s_wait_loadcnt 0x0
	v_cvt_f32_f16_e32 v0, v0
	s_delay_alu instid0(VALU_DEP_1)
	v_mul_f32_e32 v0, v72, v0
.LBB56_14:                              ;   in Loop: Header=BB56_8 Depth=1
	v_dual_mov_b32 v6, 0 :: v_dual_mov_b32 v2, 0
	s_and_not1_b32 vcc_lo, exec_lo, s29
	s_cbranch_vccnz .LBB56_16
; %bb.15:                               ;   in Loop: Header=BB56_8 Depth=1
	global_load_u16 v2, v21, s[36:37] offset:192 scale_offset
	s_wait_loadcnt 0x0
	v_cvt_f32_f16_e32 v2, v2
	s_delay_alu instid0(VALU_DEP_1)
	v_mul_f32_e32 v2, v72, v2
.LBB56_16:                              ;   in Loop: Header=BB56_8 Depth=1
	s_delay_alu instid0(VALU_DEP_2) | instskip(NEXT) | instid1(VALU_DEP_2)
	v_dual_add_f32 v3, v23, v109 :: v_dual_add_f32 v0, v96, v0
	v_dual_add_f32 v1, v95, v1 :: v_dual_add_f32 v2, v108, v2
	s_delay_alu instid0(VALU_DEP_2) | instskip(NEXT) | instid1(VALU_DEP_2)
	v_dual_add_f32 v5, 0x40051340, v3 :: v_dual_add_f32 v8, 0x40051340, v0
	v_add_f32_e32 v7, 0x40051340, v1
	s_delay_alu instid0(VALU_DEP_1) | instskip(NEXT) | instid1(VALU_DEP_4)
	v_max3_num_f32 v5, v93, v5, v7
	v_add_f32_e32 v7, 0x40051340, v2
	s_delay_alu instid0(VALU_DEP_1) | instskip(SKIP_2) | instid1(VALU_DEP_1)
	v_max3_num_f32 v7, v5, v8, v7
	v_xor_b32_e32 v8, 8, v37
	v_xor_b32_e32 v4, 16, v37
	v_cmp_gt_i32_e32 vcc_lo, 32, v4
	v_cndmask_b32_e32 v4, v37, v4, vcc_lo
	s_delay_alu instid0(VALU_DEP_4) | instskip(NEXT) | instid1(VALU_DEP_2)
	v_cmp_gt_i32_e32 vcc_lo, 32, v8
	v_lshlrev_b32_e32 v4, 2, v4
	v_cndmask_b32_e32 v8, v37, v8, vcc_lo
	ds_bpermute_b32 v5, v4, v7
	s_wait_dscnt 0x0
	v_dual_max_num_f32 v9, v5, v5 :: v_dual_lshlrev_b32 v5, 2, v8
	s_delay_alu instid0(VALU_DEP_1) | instskip(SKIP_1) | instid1(VALU_DEP_1)
	v_max_num_f32_e32 v7, v7, v9
	v_xor_b32_e32 v9, 4, v37
	v_cmp_gt_i32_e32 vcc_lo, 32, v9
	v_cndmask_b32_e32 v9, v37, v9, vcc_lo
	ds_bpermute_b32 v8, v5, v7
	s_wait_dscnt 0x0
	v_dual_max_num_f32 v8, v8, v8 :: v_dual_lshlrev_b32 v14, 2, v9
	s_delay_alu instid0(VALU_DEP_1) | instskip(SKIP_3) | instid1(VALU_DEP_1)
	v_max_num_f32_e32 v7, v7, v8
	ds_bpermute_b32 v8, v14, v7
	s_wait_dscnt 0x0
	v_dual_max_num_f32 v8, v8, v8 :: v_dual_bitop2_b32 v9, 2, v37 bitop3:0x14
	v_cmp_gt_i32_e32 vcc_lo, 32, v9
	s_delay_alu instid0(VALU_DEP_2) | instskip(NEXT) | instid1(VALU_DEP_1)
	v_dual_max_num_f32 v7, v7, v8 :: v_dual_cndmask_b32 v9, v37, v9, vcc_lo
	v_lshlrev_b32_e32 v15, 2, v9
	v_xor_b32_e32 v9, 1, v37
	s_delay_alu instid0(VALU_DEP_1)
	v_cmp_gt_i32_e32 vcc_lo, 32, v9
	v_cndmask_b32_e32 v9, v37, v9, vcc_lo
	ds_bpermute_b32 v8, v15, v7
	s_and_not1_b32 vcc_lo, exec_lo, s29
	s_wait_dscnt 0x0
	v_dual_max_num_f32 v8, v8, v8 :: v_dual_lshlrev_b32 v23, 2, v9
	s_delay_alu instid0(VALU_DEP_1)
	v_max_num_f32_e32 v95, v7, v8
	v_add_nc_u32_e32 v7, v20, v80
	ds_bpermute_b32 v96, v23, v95
	s_cbranch_vccnz .LBB56_18
; %bb.17:                               ;   in Loop: Header=BB56_8 Depth=1
	global_load_u16 v6, v7, s[36:37] scale_offset
	s_wait_loadcnt 0x0
	v_cvt_f32_f16_e32 v6, v6
	s_delay_alu instid0(VALU_DEP_1)
	v_mul_f32_e32 v6, v72, v6
.LBB56_18:                              ;   in Loop: Header=BB56_8 Depth=1
	v_dual_mov_b32 v9, 0 :: v_dual_mov_b32 v10, 0
	s_and_not1_b32 vcc_lo, exec_lo, s29
	s_cbranch_vccnz .LBB56_20
; %bb.19:                               ;   in Loop: Header=BB56_8 Depth=1
	global_load_u16 v8, v7, s[36:37] offset:64 scale_offset
	s_wait_loadcnt 0x0
	v_cvt_f32_f16_e32 v8, v8
	s_delay_alu instid0(VALU_DEP_1)
	v_mul_f32_e32 v10, v72, v8
.LBB56_20:                              ;   in Loop: Header=BB56_8 Depth=1
	s_and_not1_b32 vcc_lo, exec_lo, s29
	s_cbranch_vccnz .LBB56_22
; %bb.21:                               ;   in Loop: Header=BB56_8 Depth=1
	global_load_u16 v8, v7, s[36:37] offset:128 scale_offset
	s_wait_loadcnt 0x0
	v_cvt_f32_f16_e32 v8, v8
	s_delay_alu instid0(VALU_DEP_1)
	v_mul_f32_e32 v9, v72, v8
.LBB56_22:                              ;   in Loop: Header=BB56_8 Depth=1
	v_dual_mov_b32 v8, 0 :: v_dual_mov_b32 v11, 0
	s_and_not1_b32 vcc_lo, exec_lo, s29
	s_cbranch_vccnz .LBB56_24
; %bb.23:                               ;   in Loop: Header=BB56_8 Depth=1
	global_load_u16 v7, v7, s[36:37] offset:192 scale_offset
	s_wait_loadcnt 0x0
	v_cvt_f32_f16_e32 v7, v7
	s_delay_alu instid0(VALU_DEP_1)
	v_mul_f32_e32 v11, v72, v7
.LBB56_24:                              ;   in Loop: Header=BB56_8 Depth=1
	s_delay_alu instid0(VALU_DEP_1) | instskip(SKIP_2) | instid1(VALU_DEP_2)
	v_dual_add_f32 v12, v22, v6 :: v_dual_add_f32 v6, v99, v11
	v_dual_add_f32 v10, v97, v10 :: v_dual_add_f32 v7, v98, v9
	s_and_not1_b32 vcc_lo, exec_lo, s29
	v_add_f32_e32 v9, 0x40051340, v12
	s_delay_alu instid0(VALU_DEP_2) | instskip(NEXT) | instid1(VALU_DEP_3)
	v_add_f32_e32 v13, 0x40051340, v10
	v_add_f32_e32 v11, 0x40051340, v7
	s_delay_alu instid0(VALU_DEP_2) | instskip(SKIP_1) | instid1(VALU_DEP_1)
	v_max3_num_f32 v9, v94, v9, v13
	v_add_f32_e32 v13, 0x40051340, v6
	v_max3_num_f32 v9, v9, v11, v13
	ds_bpermute_b32 v11, v4, v9
	s_wait_dscnt 0x0
	v_max_num_f32_e32 v11, v11, v11
	s_delay_alu instid0(VALU_DEP_1) | instskip(SKIP_3) | instid1(VALU_DEP_1)
	v_max_num_f32_e32 v9, v9, v11
	ds_bpermute_b32 v11, v5, v9
	s_wait_dscnt 0x0
	v_max_num_f32_e32 v11, v11, v11
	v_max_num_f32_e32 v9, v9, v11
	ds_bpermute_b32 v11, v14, v9
	s_wait_dscnt 0x0
	v_max_num_f32_e32 v11, v11, v11
	s_delay_alu instid0(VALU_DEP_1) | instskip(SKIP_3) | instid1(VALU_DEP_1)
	v_max_num_f32_e32 v9, v9, v11
	ds_bpermute_b32 v11, v15, v9
	s_wait_dscnt 0x0
	v_max_num_f32_e32 v11, v11, v11
	v_dual_max_num_f32 v21, v9, v11 :: v_dual_add_nc_u32 v9, v20, v81
	ds_bpermute_b32 v97, v23, v21
	s_cbranch_vccnz .LBB56_26
; %bb.25:                               ;   in Loop: Header=BB56_8 Depth=1
	global_load_u16 v8, v9, s[36:37] scale_offset
	s_wait_loadcnt 0x0
	v_cvt_f32_f16_e32 v8, v8
	s_delay_alu instid0(VALU_DEP_1)
	v_mul_f32_e32 v8, v72, v8
.LBB56_26:                              ;   in Loop: Header=BB56_8 Depth=1
	v_dual_mov_b32 v98, 0 :: v_dual_mov_b32 v11, 0
	s_and_not1_b32 vcc_lo, exec_lo, s29
	s_cbranch_vccnz .LBB56_28
; %bb.27:                               ;   in Loop: Header=BB56_8 Depth=1
	global_load_u16 v11, v9, s[36:37] offset:64 scale_offset
	s_wait_loadcnt 0x0
	v_cvt_f32_f16_e32 v11, v11
	s_delay_alu instid0(VALU_DEP_1)
	v_mul_f32_e32 v11, v72, v11
.LBB56_28:                              ;   in Loop: Header=BB56_8 Depth=1
	s_and_not1_b32 vcc_lo, exec_lo, s29
	s_cbranch_vccnz .LBB56_30
; %bb.29:                               ;   in Loop: Header=BB56_8 Depth=1
	global_load_u16 v13, v9, s[36:37] offset:128 scale_offset
	s_wait_loadcnt 0x0
	v_cvt_f32_f16_e32 v13, v13
	s_delay_alu instid0(VALU_DEP_1)
	v_mul_f32_e32 v98, v72, v13
.LBB56_30:                              ;   in Loop: Header=BB56_8 Depth=1
	v_dual_mov_b32 v22, 0 :: v_dual_mov_b32 v99, 0
	s_and_not1_b32 vcc_lo, exec_lo, s29
	s_cbranch_vccnz .LBB56_32
; %bb.31:                               ;   in Loop: Header=BB56_8 Depth=1
	global_load_u16 v9, v9, s[36:37] offset:192 scale_offset
	s_wait_loadcnt 0x0
	v_cvt_f32_f16_e32 v9, v9
	s_delay_alu instid0(VALU_DEP_1)
	v_mul_f32_e32 v99, v72, v9
.LBB56_32:                              ;   in Loop: Header=BB56_8 Depth=1
	v_dual_add_f32 v13, v100, v8 :: v_dual_add_f32 v11, v101, v11
	s_delay_alu instid0(VALU_DEP_2) | instskip(SKIP_1) | instid1(VALU_DEP_2)
	v_dual_add_f32 v9, v106, v98 :: v_dual_add_f32 v8, v107, v99
	s_and_not1_b32 vcc_lo, exec_lo, s29
	v_add_f32_e32 v98, 0x40051340, v13
	s_delay_alu instid0(VALU_DEP_2) | instskip(NEXT) | instid1(VALU_DEP_1)
	v_dual_add_f32 v100, 0x40051340, v11 :: v_dual_add_f32 v99, 0x40051340, v9
	v_max3_num_f32 v98, v92, v98, v100
	v_add_f32_e32 v100, 0x40051340, v8
	s_delay_alu instid0(VALU_DEP_1) | instskip(SKIP_4) | instid1(VALU_DEP_1)
	v_max3_num_f32 v98, v98, v99, v100
	v_add_nc_u32_e32 v100, v20, v82
	ds_bpermute_b32 v99, v4, v98
	s_wait_dscnt 0x0
	v_max_num_f32_e32 v99, v99, v99
	v_max_num_f32_e32 v98, v98, v99
	ds_bpermute_b32 v99, v5, v98
	s_wait_dscnt 0x0
	v_max_num_f32_e32 v99, v99, v99
	s_delay_alu instid0(VALU_DEP_1) | instskip(SKIP_3) | instid1(VALU_DEP_1)
	v_max_num_f32_e32 v98, v98, v99
	ds_bpermute_b32 v99, v14, v98
	s_wait_dscnt 0x0
	v_max_num_f32_e32 v99, v99, v99
	v_max_num_f32_e32 v98, v98, v99
	ds_bpermute_b32 v99, v15, v98
	s_wait_dscnt 0x0
	v_max_num_f32_e32 v99, v99, v99
	s_delay_alu instid0(VALU_DEP_1)
	v_max_num_f32_e32 v98, v98, v99
	ds_bpermute_b32 v99, v23, v98
	s_cbranch_vccnz .LBB56_34
; %bb.33:                               ;   in Loop: Header=BB56_8 Depth=1
	global_load_u16 v20, v100, s[36:37] scale_offset
	s_wait_loadcnt 0x0
	v_cvt_f32_f16_e32 v20, v20
	s_delay_alu instid0(VALU_DEP_1)
	v_mul_f32_e32 v22, v72, v20
.LBB56_34:                              ;   in Loop: Header=BB56_8 Depth=1
	v_dual_mov_b32 v20, 0 :: v_dual_mov_b32 v101, 0
	s_and_not1_b32 vcc_lo, exec_lo, s29
	s_cbranch_vccnz .LBB56_36
; %bb.35:                               ;   in Loop: Header=BB56_8 Depth=1
	global_load_u16 v101, v100, s[36:37] offset:64 scale_offset
	s_wait_loadcnt 0x0
	v_cvt_f32_f16_e32 v101, v101
	s_delay_alu instid0(VALU_DEP_1)
	v_mul_f32_e32 v101, v72, v101
.LBB56_36:                              ;   in Loop: Header=BB56_8 Depth=1
	s_and_not1_b32 vcc_lo, exec_lo, s29
	s_cbranch_vccnz .LBB56_38
; %bb.37:                               ;   in Loop: Header=BB56_8 Depth=1
	global_load_u16 v20, v100, s[36:37] offset:128 scale_offset
	s_wait_loadcnt 0x0
	v_cvt_f32_f16_e32 v20, v20
	s_delay_alu instid0(VALU_DEP_1)
	v_mul_f32_e32 v20, v72, v20
.LBB56_38:                              ;   in Loop: Header=BB56_8 Depth=1
	s_and_not1_b32 vcc_lo, exec_lo, s29
	s_cbranch_vccnz .LBB56_40
; %bb.39:                               ;   in Loop: Header=BB56_8 Depth=1
	global_load_u16 v100, v100, s[36:37] offset:192 scale_offset
	s_wait_loadcnt 0x0
	v_cvt_f32_f16_e32 v100, v100
	s_delay_alu instid0(VALU_DEP_1)
	v_mul_f32_e32 v100, v72, v100
	s_branch .LBB56_41
.LBB56_40:                              ;   in Loop: Header=BB56_8 Depth=1
	v_mov_b32_e32 v100, 0
.LBB56_41:                              ;   in Loop: Header=BB56_8 Depth=1
	v_dual_add_f32 v102, v102, v22 :: v_dual_add_f32 v101, v103, v101
	s_wait_dscnt 0x0
	v_dual_add_f32 v104, v104, v20 :: v_dual_max_num_f32 v20, v99, v99
	s_mul_u64 s[30:31], s[24:25], s[14:15]
	s_delay_alu instid0(VALU_DEP_2) | instskip(NEXT) | instid1(VALU_DEP_2)
	v_dual_add_f32 v22, 0x40051340, v102 :: v_dual_add_f32 v103, 0x40051340, v101
	v_dual_add_f32 v106, 0x40051340, v104 :: v_dual_max_num_f32 v21, v21, v21
	s_barrier_signal -1
	s_delay_alu instid0(VALU_DEP_2) | instskip(SKIP_3) | instid1(VALU_DEP_1)
	v_max3_num_f32 v103, v91, v22, v103
	v_max_num_f32_e32 v22, v98, v98
	s_barrier_wait -1
	s_lshl_b64 s[30:31], s[30:31], 2
	v_dual_max_num_f32 v95, v95, v95 :: v_dual_max_num_f32 v22, v22, v20
	v_max_num_f32_e32 v20, v97, v97
	s_add_nc_u64 s[30:31], s[6:7], s[30:31]
	s_delay_alu instid0(VALU_DEP_1) | instskip(SKIP_2) | instid1(VALU_DEP_2)
	v_max_num_f32_e32 v21, v21, v20
	v_max_num_f32_e32 v20, v96, v96
	v_dual_sub_f32 v8, v8, v22 :: v_dual_sub_f32 v11, v11, v22
	v_dual_sub_f32 v9, v9, v22 :: v_dual_max_num_f32 v20, v95, v20
	v_add_f32_e32 v95, v105, v100
	s_delay_alu instid0(VALU_DEP_1) | instskip(NEXT) | instid1(VALU_DEP_1)
	v_add_f32_e32 v96, 0x40051340, v95
	v_max3_num_f32 v96, v103, v106, v96
	ds_bpermute_b32 v4, v4, v96
	s_wait_dscnt 0x0
	v_max_num_f32_e32 v4, v4, v4
	s_delay_alu instid0(VALU_DEP_1) | instskip(SKIP_4) | instid1(VALU_DEP_2)
	v_max_num_f32_e32 v4, v96, v4
	ds_bpermute_b32 v5, v5, v4
	s_wait_dscnt 0x0
	v_dual_max_num_f32 v5, v5, v5 :: v_dual_sub_f32 v3, v3, v20
	v_dual_sub_f32 v1, v1, v20 :: v_dual_sub_f32 v0, v0, v20
	v_max_num_f32_e32 v4, v4, v5
	s_delay_alu instid0(VALU_DEP_3) | instskip(SKIP_3) | instid1(VALU_DEP_1)
	v_cmp_ngt_f32_e32 vcc_lo, 0xc2ce8ed0, v3
	ds_bpermute_b32 v5, v14, v4
	s_wait_dscnt 0x0
	v_max_num_f32_e32 v5, v5, v5
	v_max_num_f32_e32 v4, v4, v5
	ds_bpermute_b32 v5, v15, v4
	s_wait_dscnt 0x0
	v_max_num_f32_e32 v5, v5, v5
	s_delay_alu instid0(VALU_DEP_1) | instskip(SKIP_3) | instid1(VALU_DEP_1)
	v_max_num_f32_e32 v4, v4, v5
	ds_bpermute_b32 v5, v23, v4
	s_wait_dscnt 0x0
	v_max_num_f32_e32 v5, v5, v5
	v_dual_max_num_f32 v23, v4, v5 :: v_dual_sub_f32 v4, v93, v20
	v_mul_f32_e32 v5, 0x3fb8aa3b, v3
	s_delay_alu instid0(VALU_DEP_1) | instskip(SKIP_1) | instid1(VALU_DEP_2)
	v_fma_f32 v14, 0x3fb8aa3b, v3, -v5
	v_rndne_f32_e32 v15, v5
	v_fmac_f32_e32 v14, 0x32a5705f, v3
	s_delay_alu instid0(VALU_DEP_2) | instskip(NEXT) | instid1(VALU_DEP_1)
	v_sub_f32_e32 v5, v5, v15
	v_add_f32_e32 v5, v5, v14
	v_cvt_i32_f32_e32 v14, v15
	s_delay_alu instid0(VALU_DEP_2) | instskip(SKIP_1) | instid1(TRANS32_DEP_1)
	v_exp_f32_e32 v5, v5
	v_nop
	v_ldexp_f32 v5, v5, v14
	s_delay_alu instid0(VALU_DEP_1) | instskip(SKIP_2) | instid1(VALU_DEP_3)
	v_cndmask_b32_e32 v5, 0, v5, vcc_lo
	v_cmp_nlt_f32_e32 vcc_lo, 0x42b17218, v3
	v_mul_f32_e32 v3, 0x3fb8aa3b, v1
	v_cndmask_b32_e32 v14, 0x7f800000, v5, vcc_lo
	s_delay_alu instid0(VALU_DEP_2) | instskip(SKIP_2) | instid1(VALU_DEP_3)
	v_fma_f32 v5, 0x3fb8aa3b, v1, -v3
	v_rndne_f32_e32 v15, v3
	v_cmp_ngt_f32_e32 vcc_lo, 0xc2ce8ed0, v1
	v_fmac_f32_e32 v5, 0x32a5705f, v1
	s_delay_alu instid0(VALU_DEP_3) | instskip(NEXT) | instid1(VALU_DEP_1)
	v_sub_f32_e32 v3, v3, v15
	v_add_f32_e32 v3, v3, v5
	v_cvt_i32_f32_e32 v5, v15
	s_delay_alu instid0(VALU_DEP_2) | instskip(SKIP_1) | instid1(TRANS32_DEP_1)
	v_exp_f32_e32 v3, v3
	v_nop
	v_ldexp_f32 v3, v3, v5
	s_delay_alu instid0(VALU_DEP_1) | instskip(SKIP_2) | instid1(VALU_DEP_3)
	v_cndmask_b32_e32 v3, 0, v3, vcc_lo
	v_cmp_nlt_f32_e32 vcc_lo, 0x42b17218, v1
	v_mul_f32_e32 v1, 0x3fb8aa3b, v0
	v_cndmask_b32_e32 v96, 0x7f800000, v3, vcc_lo
	s_delay_alu instid0(VALU_DEP_2) | instskip(SKIP_2) | instid1(VALU_DEP_3)
	v_fma_f32 v3, 0x3fb8aa3b, v0, -v1
	v_rndne_f32_e32 v5, v1
	v_cmp_ngt_f32_e32 vcc_lo, 0xc2ce8ed0, v0
	v_fmac_f32_e32 v3, 0x32a5705f, v0
	s_delay_alu instid0(VALU_DEP_3) | instskip(NEXT) | instid1(VALU_DEP_1)
	v_sub_f32_e32 v1, v1, v5
	v_add_f32_e32 v1, v1, v3
	v_cvt_i32_f32_e32 v3, v5
	s_delay_alu instid0(VALU_DEP_2) | instskip(SKIP_1) | instid1(TRANS32_DEP_1)
	v_exp_f32_e32 v1, v1
	v_nop
	v_ldexp_f32 v1, v1, v3
	s_delay_alu instid0(VALU_DEP_1) | instskip(SKIP_1) | instid1(VALU_DEP_2)
	v_cndmask_b32_e32 v1, 0, v1, vcc_lo
	v_cmp_nlt_f32_e32 vcc_lo, 0x42b17218, v0
	v_dual_cndmask_b32 v0, 0x7f800000, v1 :: v_dual_sub_f32 v1, v2, v20
	s_delay_alu instid0(VALU_DEP_1) | instskip(SKIP_1) | instid1(VALU_DEP_2)
	v_mul_f32_e32 v2, 0x3fb8aa3b, v1
	v_cmp_ngt_f32_e32 vcc_lo, 0xc2ce8ed0, v1
	v_fma_f32 v3, 0x3fb8aa3b, v1, -v2
	v_rndne_f32_e32 v5, v2
	s_delay_alu instid0(VALU_DEP_2) | instskip(NEXT) | instid1(VALU_DEP_2)
	v_fmac_f32_e32 v3, 0x32a5705f, v1
	v_sub_f32_e32 v2, v2, v5
	s_delay_alu instid0(VALU_DEP_1) | instskip(SKIP_1) | instid1(VALU_DEP_2)
	v_add_f32_e32 v2, v2, v3
	v_cvt_i32_f32_e32 v3, v5
	v_exp_f32_e32 v2, v2
	v_nop
	s_delay_alu instid0(TRANS32_DEP_1) | instskip(NEXT) | instid1(VALU_DEP_1)
	v_ldexp_f32 v2, v2, v3
	v_cndmask_b32_e32 v2, 0, v2, vcc_lo
	v_cmp_nlt_f32_e32 vcc_lo, 0x42b17218, v1
	v_mul_f32_e32 v1, 0x3fb8aa3b, v4
	s_delay_alu instid0(VALU_DEP_1) | instskip(SKIP_3) | instid1(VALU_DEP_4)
	v_fma_f32 v3, 0x3fb8aa3b, v4, -v1
	v_rndne_f32_e32 v5, v1
	v_cndmask_b32_e32 v2, 0x7f800000, v2, vcc_lo
	v_cmp_ngt_f32_e32 vcc_lo, 0xc2ce8ed0, v4
	v_fmac_f32_e32 v3, 0x32a5705f, v4
	s_delay_alu instid0(VALU_DEP_4) | instskip(NEXT) | instid1(VALU_DEP_1)
	v_sub_f32_e32 v1, v1, v5
	v_add_f32_e32 v1, v1, v3
	v_cvt_i32_f32_e32 v3, v5
	s_delay_alu instid0(VALU_DEP_2) | instskip(SKIP_1) | instid1(TRANS32_DEP_1)
	v_exp_f32_e32 v1, v1
	v_nop
	v_ldexp_f32 v1, v1, v3
	s_delay_alu instid0(VALU_DEP_1) | instskip(SKIP_1) | instid1(VALU_DEP_2)
	v_cndmask_b32_e32 v1, 0, v1, vcc_lo
	v_cmp_nlt_f32_e32 vcc_lo, 0x42b17218, v4
	v_cndmask_b32_e32 v98, 0x7f800000, v1, vcc_lo
	s_delay_alu instid0(VALU_DEP_1) | instskip(NEXT) | instid1(VALU_DEP_1)
	v_cvt_f16_f32_e32 v1, v98
	v_and_b32_e32 v1, 0xffff, v1
	s_delay_alu instid0(VALU_DEP_1) | instskip(SKIP_1) | instid1(VALU_DEP_2)
	v_mul_u32_u24_e32 v5, 0x10001, v1
	v_sub_f32_e32 v1, v12, v21
	v_pk_mul_f16 v4, v90, v5
	s_delay_alu instid0(VALU_DEP_2) | instskip(SKIP_2) | instid1(VALU_DEP_3)
	v_mul_f32_e32 v3, 0x3fb8aa3b, v1
	v_cmp_ngt_f32_e32 vcc_lo, 0xc2ce8ed0, v1
	v_sub_f32_e32 v90, v94, v21
	v_fma_f32 v12, 0x3fb8aa3b, v1, -v3
	v_rndne_f32_e32 v15, v3
	s_delay_alu instid0(VALU_DEP_1) | instskip(NEXT) | instid1(VALU_DEP_1)
	v_dual_fmac_f32 v12, 0x32a5705f, v1 :: v_dual_sub_f32 v3, v3, v15
	v_add_f32_e32 v3, v3, v12
	v_cvt_i32_f32_e32 v12, v15
	s_delay_alu instid0(VALU_DEP_2) | instskip(SKIP_1) | instid1(TRANS32_DEP_1)
	v_exp_f32_e32 v3, v3
	v_nop
	v_ldexp_f32 v3, v3, v12
	s_delay_alu instid0(VALU_DEP_1) | instskip(SKIP_2) | instid1(VALU_DEP_3)
	v_cndmask_b32_e32 v3, 0, v3, vcc_lo
	v_cmp_nlt_f32_e32 vcc_lo, 0x42b17218, v1
	v_sub_f32_e32 v1, v10, v21
	v_cndmask_b32_e32 v15, 0x7f800000, v3, vcc_lo
	s_delay_alu instid0(VALU_DEP_2) | instskip(SKIP_1) | instid1(VALU_DEP_2)
	v_mul_f32_e32 v3, 0x3fb8aa3b, v1
	v_cmp_ngt_f32_e32 vcc_lo, 0xc2ce8ed0, v1
	v_fma_f32 v10, 0x3fb8aa3b, v1, -v3
	v_rndne_f32_e32 v12, v3
	s_delay_alu instid0(VALU_DEP_1) | instskip(NEXT) | instid1(VALU_DEP_1)
	v_dual_fmac_f32 v10, 0x32a5705f, v1 :: v_dual_sub_f32 v3, v3, v12
	v_add_f32_e32 v3, v3, v10
	v_cvt_i32_f32_e32 v10, v12
	v_sub_f32_e32 v12, v13, v22
	s_delay_alu instid0(VALU_DEP_3) | instskip(NEXT) | instid1(VALU_DEP_1)
	v_exp_f32_e32 v3, v3
	v_mul_f32_e32 v13, 0x3fb8aa3b, v12
	s_delay_alu instid0(TRANS32_DEP_1) | instskip(NEXT) | instid1(VALU_DEP_1)
	v_ldexp_f32 v3, v3, v10
	v_cndmask_b32_e32 v3, 0, v3, vcc_lo
	v_cmp_nlt_f32_e32 vcc_lo, 0x42b17218, v1
	v_sub_f32_e32 v1, v7, v21
	s_delay_alu instid0(VALU_DEP_3) | instskip(NEXT) | instid1(VALU_DEP_2)
	v_cndmask_b32_e32 v97, 0x7f800000, v3, vcc_lo
	v_mul_f32_e32 v3, 0x3fb8aa3b, v1
	v_cmp_ngt_f32_e32 vcc_lo, 0xc2ce8ed0, v1
	s_delay_alu instid0(VALU_DEP_2) | instskip(SKIP_1) | instid1(VALU_DEP_2)
	v_fma_f32 v7, 0x3fb8aa3b, v1, -v3
	v_rndne_f32_e32 v10, v3
	v_fmac_f32_e32 v7, 0x32a5705f, v1
	s_delay_alu instid0(VALU_DEP_2) | instskip(NEXT) | instid1(VALU_DEP_1)
	v_sub_f32_e32 v3, v3, v10
	v_add_f32_e32 v3, v3, v7
	v_cvt_i32_f32_e32 v7, v10
	s_delay_alu instid0(VALU_DEP_2) | instskip(SKIP_1) | instid1(TRANS32_DEP_1)
	v_exp_f32_e32 v3, v3
	v_nop
	v_ldexp_f32 v3, v3, v7
	s_delay_alu instid0(VALU_DEP_1) | instskip(SKIP_1) | instid1(VALU_DEP_2)
	v_cndmask_b32_e32 v3, 0, v3, vcc_lo
	v_cmp_nlt_f32_e32 vcc_lo, 0x42b17218, v1
	v_cndmask_b32_e32 v1, 0x7f800000, v3, vcc_lo
	v_sub_f32_e32 v3, v6, v21
	s_delay_alu instid0(VALU_DEP_1) | instskip(SKIP_1) | instid1(VALU_DEP_2)
	v_mul_f32_e32 v6, 0x3fb8aa3b, v3
	v_cmp_ngt_f32_e32 vcc_lo, 0xc2ce8ed0, v3
	v_fma_f32 v7, 0x3fb8aa3b, v3, -v6
	v_rndne_f32_e32 v10, v6
	s_delay_alu instid0(VALU_DEP_1) | instskip(NEXT) | instid1(VALU_DEP_1)
	v_dual_fmac_f32 v7, 0x32a5705f, v3 :: v_dual_sub_f32 v6, v6, v10
	v_add_f32_e32 v6, v6, v7
	v_cvt_i32_f32_e32 v7, v10
	s_delay_alu instid0(VALU_DEP_2) | instskip(SKIP_1) | instid1(TRANS32_DEP_1)
	v_exp_f32_e32 v6, v6
	v_nop
	v_ldexp_f32 v6, v6, v7
	s_delay_alu instid0(VALU_DEP_1) | instskip(SKIP_1) | instid1(VALU_DEP_2)
	v_cndmask_b32_e32 v6, 0, v6, vcc_lo
	v_cmp_nlt_f32_e32 vcc_lo, 0x42b17218, v3
	v_cndmask_b32_e32 v3, 0x7f800000, v6, vcc_lo
	v_mul_f32_e32 v6, 0x3fb8aa3b, v90
	v_cmp_ngt_f32_e32 vcc_lo, 0xc2ce8ed0, v90
	s_delay_alu instid0(VALU_DEP_2) | instskip(SKIP_1) | instid1(VALU_DEP_2)
	v_fma_f32 v7, 0x3fb8aa3b, v90, -v6
	v_rndne_f32_e32 v10, v6
	v_fmac_f32_e32 v7, 0x32a5705f, v90
	s_delay_alu instid0(VALU_DEP_2) | instskip(NEXT) | instid1(VALU_DEP_1)
	v_sub_f32_e32 v6, v6, v10
	v_add_f32_e32 v6, v6, v7
	v_cvt_i32_f32_e32 v7, v10
	v_sub_f32_e32 v10, v92, v22
	s_delay_alu instid0(VALU_DEP_3) | instskip(SKIP_1) | instid1(TRANS32_DEP_1)
	v_exp_f32_e32 v6, v6
	v_nop
	v_ldexp_f32 v6, v6, v7
	s_delay_alu instid0(VALU_DEP_1) | instskip(SKIP_2) | instid1(VALU_DEP_3)
	v_cndmask_b32_e32 v6, 0, v6, vcc_lo
	v_cmp_nlt_f32_e32 vcc_lo, 0x42b17218, v90
	v_rndne_f32_e32 v90, v13
	v_cndmask_b32_e32 v99, 0x7f800000, v6, vcc_lo
	v_cmp_ngt_f32_e32 vcc_lo, 0xc2ce8ed0, v12
	s_delay_alu instid0(VALU_DEP_2) | instskip(NEXT) | instid1(VALU_DEP_1)
	v_cvt_f16_f32_e32 v6, v99
	v_and_b32_e32 v6, 0xffff, v6
	s_delay_alu instid0(VALU_DEP_1) | instskip(NEXT) | instid1(VALU_DEP_1)
	v_mul_u32_u24_e32 v7, 0x10001, v6
	v_pk_mul_f16 v6, v89, v7
	v_fma_f32 v89, 0x3fb8aa3b, v12, -v13
	v_sub_f32_e32 v13, v13, v90
	s_delay_alu instid0(VALU_DEP_2) | instskip(NEXT) | instid1(VALU_DEP_1)
	v_fmac_f32_e32 v89, 0x32a5705f, v12
	v_add_f32_e32 v13, v13, v89
	v_cvt_i32_f32_e32 v89, v90
	s_delay_alu instid0(VALU_DEP_2) | instskip(SKIP_1) | instid1(TRANS32_DEP_1)
	v_exp_f32_e32 v13, v13
	v_nop
	v_ldexp_f32 v13, v13, v89
	s_delay_alu instid0(VALU_DEP_1) | instskip(SKIP_1) | instid1(VALU_DEP_2)
	v_cndmask_b32_e32 v13, 0, v13, vcc_lo
	v_cmp_nlt_f32_e32 vcc_lo, 0x42b17218, v12
	v_cndmask_b32_e32 v12, 0x7f800000, v13, vcc_lo
	v_mul_f32_e32 v13, 0x3fb8aa3b, v11
	v_cmp_ngt_f32_e32 vcc_lo, 0xc2ce8ed0, v11
	s_delay_alu instid0(VALU_DEP_2) | instskip(SKIP_1) | instid1(VALU_DEP_2)
	v_fma_f32 v89, 0x3fb8aa3b, v11, -v13
	v_rndne_f32_e32 v90, v13
	v_fmac_f32_e32 v89, 0x32a5705f, v11
	s_delay_alu instid0(VALU_DEP_2) | instskip(NEXT) | instid1(VALU_DEP_1)
	v_sub_f32_e32 v13, v13, v90
	v_add_f32_e32 v13, v13, v89
	v_cvt_i32_f32_e32 v89, v90
	s_delay_alu instid0(VALU_DEP_2) | instskip(SKIP_1) | instid1(TRANS32_DEP_1)
	v_exp_f32_e32 v13, v13
	v_nop
	v_ldexp_f32 v13, v13, v89
	s_delay_alu instid0(VALU_DEP_1) | instskip(SKIP_2) | instid1(VALU_DEP_3)
	v_cndmask_b32_e32 v13, 0, v13, vcc_lo
	v_cmp_nlt_f32_e32 vcc_lo, 0x42b17218, v11
	v_mul_f32_e32 v11, 0x3fb8aa3b, v9
	v_cndmask_b32_e32 v90, 0x7f800000, v13, vcc_lo
	s_delay_alu instid0(VALU_DEP_2) | instskip(SKIP_2) | instid1(VALU_DEP_3)
	v_fma_f32 v13, 0x3fb8aa3b, v9, -v11
	v_rndne_f32_e32 v89, v11
	v_cmp_ngt_f32_e32 vcc_lo, 0xc2ce8ed0, v9
	v_fmac_f32_e32 v13, 0x32a5705f, v9
	s_delay_alu instid0(VALU_DEP_3) | instskip(NEXT) | instid1(VALU_DEP_1)
	v_sub_f32_e32 v11, v11, v89
	v_add_f32_e32 v11, v11, v13
	v_cvt_i32_f32_e32 v13, v89
	s_delay_alu instid0(VALU_DEP_2) | instskip(SKIP_1) | instid1(TRANS32_DEP_1)
	v_exp_f32_e32 v11, v11
	v_nop
	v_ldexp_f32 v11, v11, v13
	s_delay_alu instid0(VALU_DEP_1) | instskip(SKIP_2) | instid1(VALU_DEP_1)
	v_cndmask_b32_e32 v11, 0, v11, vcc_lo
	v_cmp_nlt_f32_e32 vcc_lo, 0x42b17218, v9
	v_mul_f32_e32 v9, 0x3fb8aa3b, v8
	v_rndne_f32_e32 v13, v9
	s_delay_alu instid0(VALU_DEP_4) | instskip(SKIP_2) | instid1(VALU_DEP_4)
	v_cndmask_b32_e32 v92, 0x7f800000, v11, vcc_lo
	v_fma_f32 v11, 0x3fb8aa3b, v8, -v9
	v_cmp_ngt_f32_e32 vcc_lo, 0xc2ce8ed0, v8
	v_sub_f32_e32 v9, v9, v13
	s_delay_alu instid0(VALU_DEP_3) | instskip(NEXT) | instid1(VALU_DEP_1)
	v_fmac_f32_e32 v11, 0x32a5705f, v8
	v_add_f32_e32 v9, v9, v11
	v_cvt_i32_f32_e32 v11, v13
	v_sub_f32_e32 v13, v102, v23
	s_delay_alu instid0(VALU_DEP_3) | instskip(SKIP_1) | instid1(TRANS32_DEP_1)
	v_exp_f32_e32 v9, v9
	v_nop
	v_ldexp_f32 v9, v9, v11
	s_delay_alu instid0(VALU_DEP_1) | instskip(SKIP_2) | instid1(VALU_DEP_3)
	v_cndmask_b32_e32 v9, 0, v9, vcc_lo
	v_cmp_nlt_f32_e32 vcc_lo, 0x42b17218, v8
	v_mul_f32_e32 v8, 0x3fb8aa3b, v10
	v_cndmask_b32_e32 v94, 0x7f800000, v9, vcc_lo
	s_delay_alu instid0(VALU_DEP_2) | instskip(SKIP_2) | instid1(VALU_DEP_2)
	v_fma_f32 v9, 0x3fb8aa3b, v10, -v8
	v_rndne_f32_e32 v11, v8
	v_cmp_ngt_f32_e32 vcc_lo, 0xc2ce8ed0, v10
	v_dual_fmac_f32 v9, 0x32a5705f, v10 :: v_dual_sub_f32 v8, v8, v11
	s_delay_alu instid0(VALU_DEP_1) | instskip(SKIP_2) | instid1(VALU_DEP_3)
	v_add_f32_e32 v8, v8, v9
	v_cvt_i32_f32_e32 v9, v11
	v_sub_f32_e32 v11, v91, v23
	v_exp_f32_e32 v8, v8
	v_nop
	s_delay_alu instid0(TRANS32_DEP_1) | instskip(NEXT) | instid1(VALU_DEP_1)
	v_ldexp_f32 v8, v8, v9
	v_cndmask_b32_e32 v8, 0, v8, vcc_lo
	v_cmp_nlt_f32_e32 vcc_lo, 0x42b17218, v10
	s_delay_alu instid0(VALU_DEP_2) | instskip(SKIP_1) | instid1(VALU_DEP_2)
	v_cndmask_b32_e32 v10, 0x7f800000, v8, vcc_lo
	v_cmp_ngt_f32_e32 vcc_lo, 0xc2ce8ed0, v13
	v_cvt_f16_f32_e32 v8, v10
	s_delay_alu instid0(VALU_DEP_1) | instskip(NEXT) | instid1(VALU_DEP_1)
	v_and_b32_e32 v8, 0xffff, v8
	v_mul_u32_u24_e32 v9, 0x10001, v8
	s_delay_alu instid0(VALU_DEP_1) | instskip(SKIP_1) | instid1(VALU_DEP_1)
	v_pk_mul_f16 v8, v88, v9
	v_mul_f32_e32 v88, 0x3fb8aa3b, v13
	v_fma_f32 v89, 0x3fb8aa3b, v13, -v88
	v_rndne_f32_e32 v91, v88
	s_delay_alu instid0(VALU_DEP_1) | instskip(NEXT) | instid1(VALU_DEP_1)
	v_dual_fmac_f32 v89, 0x32a5705f, v13 :: v_dual_sub_f32 v88, v88, v91
	v_add_f32_e32 v88, v88, v89
	v_cvt_i32_f32_e32 v89, v91
	s_delay_alu instid0(VALU_DEP_2) | instskip(SKIP_1) | instid1(TRANS32_DEP_1)
	v_exp_f32_e32 v88, v88
	v_nop
	v_ldexp_f32 v88, v88, v89
	s_delay_alu instid0(VALU_DEP_1) | instskip(SKIP_1) | instid1(VALU_DEP_2)
	v_cndmask_b32_e32 v88, 0, v88, vcc_lo
	v_cmp_nlt_f32_e32 vcc_lo, 0x42b17218, v13
	v_dual_cndmask_b32 v13, 0x7f800000, v88 :: v_dual_sub_f32 v88, v101, v23
	s_delay_alu instid0(VALU_DEP_1) | instskip(SKIP_1) | instid1(VALU_DEP_2)
	v_mul_f32_e32 v89, 0x3fb8aa3b, v88
	v_cmp_ngt_f32_e32 vcc_lo, 0xc2ce8ed0, v88
	v_fma_f32 v91, 0x3fb8aa3b, v88, -v89
	v_rndne_f32_e32 v93, v89
	s_delay_alu instid0(VALU_DEP_2) | instskip(NEXT) | instid1(VALU_DEP_2)
	v_fmac_f32_e32 v91, 0x32a5705f, v88
	v_sub_f32_e32 v89, v89, v93
	s_delay_alu instid0(VALU_DEP_1) | instskip(SKIP_1) | instid1(VALU_DEP_2)
	v_add_f32_e32 v89, v89, v91
	v_cvt_i32_f32_e32 v91, v93
	v_exp_f32_e32 v89, v89
	v_nop
	s_delay_alu instid0(TRANS32_DEP_1) | instskip(NEXT) | instid1(VALU_DEP_1)
	v_ldexp_f32 v89, v89, v91
	v_cndmask_b32_e32 v89, 0, v89, vcc_lo
	v_cmp_nlt_f32_e32 vcc_lo, 0x42b17218, v88
	s_delay_alu instid0(VALU_DEP_2) | instskip(NEXT) | instid1(VALU_DEP_1)
	v_dual_sub_f32 v88, v104, v23 :: v_dual_cndmask_b32 v91, 0x7f800000, v89
	v_mul_f32_e32 v89, 0x3fb8aa3b, v88
	v_cmp_ngt_f32_e32 vcc_lo, 0xc2ce8ed0, v88
	s_delay_alu instid0(VALU_DEP_2) | instskip(SKIP_1) | instid1(VALU_DEP_2)
	v_fma_f32 v93, 0x3fb8aa3b, v88, -v89
	v_rndne_f32_e32 v100, v89
	v_fmac_f32_e32 v93, 0x32a5705f, v88
	s_delay_alu instid0(VALU_DEP_2) | instskip(NEXT) | instid1(VALU_DEP_1)
	v_sub_f32_e32 v89, v89, v100
	v_add_f32_e32 v89, v89, v93
	v_cvt_i32_f32_e32 v93, v100
	s_delay_alu instid0(VALU_DEP_2) | instskip(SKIP_1) | instid1(TRANS32_DEP_1)
	v_exp_f32_e32 v89, v89
	v_nop
	v_ldexp_f32 v89, v89, v93
	s_delay_alu instid0(VALU_DEP_1) | instskip(SKIP_1) | instid1(VALU_DEP_2)
	v_cndmask_b32_e32 v89, 0, v89, vcc_lo
	v_cmp_nlt_f32_e32 vcc_lo, 0x42b17218, v88
	v_dual_sub_f32 v88, v95, v23 :: v_dual_cndmask_b32 v93, 0x7f800000, v89
	s_delay_alu instid0(VALU_DEP_1) | instskip(SKIP_1) | instid1(VALU_DEP_2)
	v_mul_f32_e32 v89, 0x3fb8aa3b, v88
	v_cmp_ngt_f32_e32 vcc_lo, 0xc2ce8ed0, v88
	v_fma_f32 v95, 0x3fb8aa3b, v88, -v89
	v_rndne_f32_e32 v100, v89
	s_delay_alu instid0(VALU_DEP_2) | instskip(NEXT) | instid1(VALU_DEP_2)
	v_fmac_f32_e32 v95, 0x32a5705f, v88
	v_sub_f32_e32 v89, v89, v100
	s_delay_alu instid0(VALU_DEP_1) | instskip(SKIP_1) | instid1(VALU_DEP_2)
	v_add_f32_e32 v89, v89, v95
	v_cvt_i32_f32_e32 v95, v100
	v_exp_f32_e32 v89, v89
	v_nop
	s_delay_alu instid0(TRANS32_DEP_1) | instskip(NEXT) | instid1(VALU_DEP_1)
	v_ldexp_f32 v89, v89, v95
	v_cndmask_b32_e32 v89, 0, v89, vcc_lo
	v_cmp_nlt_f32_e32 vcc_lo, 0x42b17218, v88
	v_mul_f32_e32 v88, 0x3fb8aa3b, v11
	s_delay_alu instid0(VALU_DEP_3) | instskip(NEXT) | instid1(VALU_DEP_2)
	v_cndmask_b32_e32 v95, 0x7f800000, v89, vcc_lo
	v_fma_f32 v89, 0x3fb8aa3b, v11, -v88
	v_rndne_f32_e32 v100, v88
	v_cmp_ngt_f32_e32 vcc_lo, 0xc2ce8ed0, v11
	s_delay_alu instid0(VALU_DEP_2) | instskip(NEXT) | instid1(VALU_DEP_1)
	v_dual_fmac_f32 v89, 0x32a5705f, v11 :: v_dual_sub_f32 v88, v88, v100
	v_add_f32_e32 v88, v88, v89
	v_cvt_i32_f32_e32 v89, v100
	v_pk_add_f32 v[100:101], v[12:13], v[90:91]
	v_cvt_pk_f16_f32 v13, v12, v13
	v_cvt_pk_f16_f32 v12, v14, v15
	v_exp_f32_e32 v88, v88
	s_delay_alu instid0(VALU_DEP_3) | instskip(NEXT) | instid1(TRANS32_DEP_1)
	v_pk_add_f32 v[100:101], v[92:93], v[100:101]
	v_ldexp_f32 v88, v88, v89
	s_delay_alu instid0(VALU_DEP_2) | instskip(NEXT) | instid1(VALU_DEP_2)
	v_pk_add_f32 v[100:101], v[94:95], v[100:101]
	v_cndmask_b32_e32 v88, 0, v88, vcc_lo
	v_cmp_nlt_f32_e32 vcc_lo, 0x42b17218, v11
	s_delay_alu instid0(VALU_DEP_2) | instskip(SKIP_3) | instid1(VALU_DEP_4)
	v_cndmask_b32_e32 v11, 0x7f800000, v88, vcc_lo
	v_pk_add_f32 v[88:89], v[14:15], v[96:97]
	v_cvt_pk_f16_f32 v15, v90, v91
	v_cvt_pk_f16_f32 v14, v96, v97
	v_pk_fma_f32 v[18:19], v[18:19], v[10:11], v[100:101]
	v_cvt_f16_f32_e32 v10, v11
	v_pk_add_f32 v[88:89], v[0:1], v[88:89]
	s_delay_alu instid0(VALU_DEP_2) | instskip(NEXT) | instid1(VALU_DEP_2)
	v_and_b32_e32 v10, 0xffff, v10
	v_pk_add_f32 v[88:89], v[2:3], v[88:89]
	s_delay_alu instid0(VALU_DEP_2) | instskip(NEXT) | instid1(VALU_DEP_2)
	v_mul_u32_u24_e32 v10, 0x10001, v10
	v_pk_fma_f32 v[16:17], v[16:17], v[98:99], v[88:89]
	s_delay_alu instid0(VALU_DEP_2)
	v_pk_mul_f16 v11, v86, v10
	v_add_nc_u32_e32 v86, v71, v68
	v_pk_mul_f16 v10, v87, v10
	ds_store_2addr_b64 v86, v[12:13], v[14:15] offset1:32
	v_cvt_pk_f16_f32 v13, v92, v93
	v_cvt_pk_f16_f32 v12, v0, v1
	;; [unrolled: 1-line block ×4, first 2 shown]
	ds_store_2addr_b64 v86, v[12:13], v[0:1] offset0:64 offset1:96
	v_add_nc_u64_e32 v[0:1], s[30:31], v[48:49]
	s_delay_alu instid0(VALU_DEP_1) | instskip(SKIP_4) | instid1(VALU_DEP_1)
	v_add_nc_u64_e32 v[0:1], v[0:1], v[26:27]
	global_load_b128 v[0:3], v[0:1], off
	s_wait_loadcnt 0x0
	ds_store_b128 v73, v[0:3]
	v_add_nc_u64_e32 v[0:1], s[30:31], v[52:53]
	v_add_nc_u64_e32 v[0:1], v[0:1], v[26:27]
	global_load_b128 v[0:3], v[0:1], off
	s_wait_loadcnt 0x0
	ds_store_b128 v77, v[0:3]
	v_add_nc_u64_e32 v[0:1], s[30:31], v[54:55]
	s_delay_alu instid0(VALU_DEP_1)
	v_add_nc_u64_e32 v[0:1], v[0:1], v[26:27]
	global_load_b128 v[0:3], v[0:1], off
	s_wait_loadcnt 0x0
	ds_store_b128 v78, v[0:3]
	v_add_nc_u64_e32 v[0:1], s[30:31], v[56:57]
	s_or_b32 s30, s24, 64
	s_delay_alu instid0(SALU_CYCLE_1) | instskip(NEXT) | instid1(SALU_CYCLE_1)
	s_ashr_i32 s31, s30, 31
	s_mul_u64 s[30:31], s[30:31], s[14:15]
	s_delay_alu instid0(VALU_DEP_1) | instskip(SKIP_1) | instid1(SALU_CYCLE_1)
	v_add_nc_u64_e32 v[0:1], v[0:1], v[26:27]
	s_lshl_b64 s[30:31], s[30:31], 2
	s_add_nc_u64 s[30:31], s[6:7], s[30:31]
	global_load_b128 v[0:3], v[0:1], off
	s_wait_loadcnt 0x0
	ds_store_b128 v79, v[0:3]
	s_wait_dscnt 0x0
	s_barrier_signal -1
	s_barrier_wait -1
	ds_load_2addr_b64 v[12:15], v68 offset1:32
	ds_load_b128 v[86:89], v71
	ds_load_b128 v[90:93], v71 offset:16
	ds_load_b128 v[94:97], v71 offset:32
	;; [unrolled: 1-line block ×3, first 2 shown]
	s_wait_dscnt 0x3
	v_lshrrev_b32_e32 v98, 16, v86
	v_and_b32_e32 v86, 0xffff, v86
	v_lshrrev_b32_e32 v99, 16, v87
	v_and_b32_e32 v87, 0xffff, v87
	s_delay_alu instid0(VALU_DEP_4) | instskip(NEXT) | instid1(VALU_DEP_4)
	v_mul_u32_u24_e32 v98, 0x10001, v98
	v_mul_u32_u24_e32 v86, 0x10001, v86
	s_delay_alu instid0(VALU_DEP_4) | instskip(NEXT) | instid1(VALU_DEP_4)
	v_mul_u32_u24_e32 v99, 0x10001, v99
	v_mul_u32_u24_e32 v87, 0x10001, v87
	s_delay_alu instid0(VALU_DEP_4) | instskip(NEXT) | instid1(VALU_DEP_4)
	v_pk_fma_f16 v6, v13, v98, v6
	v_pk_mul_f16 v100, v12, v86
	s_delay_alu instid0(VALU_DEP_4)
	v_pk_fma_f16 v11, v12, v99, v11
	v_pk_fma_f16 v4, v13, v86, v4
	;; [unrolled: 1-line block ×5, first 2 shown]
	v_pk_mul_f16 v85, v12, v98
	v_lshrrev_b32_e32 v13, 16, v89
	s_delay_alu instid0(VALU_DEP_2) | instskip(SKIP_2) | instid1(VALU_DEP_4)
	v_pk_fma_f16 v7, v84, v7, v85
	v_pk_mul_f16 v84, v12, v87
	v_lshrrev_b32_e32 v12, 16, v88
	v_mul_u32_u24_e32 v13, 0x10001, v13
	s_delay_alu instid0(VALU_DEP_3)
	v_pk_fma_f16 v9, v83, v9, v84
	v_and_b32_e32 v83, 0xffff, v88
	v_and_b32_e32 v84, 0xffff, v89
	v_mul_u32_u24_e32 v12, 0x10001, v12
	v_pk_fma_f16 v11, v14, v13, v11
	v_pk_fma_f16 v10, v15, v13, v10
	v_mul_u32_u24_e32 v83, 0x10001, v83
	v_mul_u32_u24_e32 v84, 0x10001, v84
	v_pk_fma_f16 v86, v14, v12, v7
	v_pk_fma_f16 v12, v15, v12, v6
	s_wait_dscnt 0x2
	v_lshrrev_b32_e32 v13, 16, v90
	v_pk_fma_f16 v85, v14, v83, v5
	v_pk_fma_f16 v9, v14, v84, v9
	;; [unrolled: 1-line block ×3, first 2 shown]
	ds_load_2addr_b64 v[4:7], v68 offset0:64 offset1:96
	v_pk_fma_f16 v8, v15, v84, v8
	v_lshrrev_b32_e32 v15, 16, v91
	v_and_b32_e32 v83, 0xffff, v90
	v_and_b32_e32 v84, 0xffff, v91
	v_mul_u32_u24_e32 v13, 0x10001, v13
	s_delay_alu instid0(VALU_DEP_4) | instskip(NEXT) | instid1(VALU_DEP_4)
	v_mul_u32_u24_e32 v15, 0x10001, v15
	v_mul_u32_u24_e32 v83, 0x10001, v83
	s_delay_alu instid0(VALU_DEP_4) | instskip(SKIP_1) | instid1(VALU_DEP_2)
	v_mul_u32_u24_e32 v84, 0x10001, v84
	s_wait_dscnt 0x0
	v_pk_fma_f16 v85, v4, v83, v85
	v_pk_fma_f16 v86, v4, v13, v86
	s_delay_alu instid0(VALU_DEP_3)
	v_pk_fma_f16 v9, v4, v84, v9
	v_pk_fma_f16 v4, v4, v15, v11
	;; [unrolled: 1-line block ×6, first 2 shown]
	v_dual_lshrrev_b32 v10, 16, v92 :: v_dual_lshrrev_b32 v13, 16, v93
	v_and_b32_e32 v14, 0xffff, v92
	v_and_b32_e32 v15, 0xffff, v93
	s_delay_alu instid0(VALU_DEP_3) | instskip(NEXT) | instid1(VALU_DEP_4)
	v_mul_u32_u24_e32 v10, 0x10001, v10
	v_mul_u32_u24_e32 v13, 0x10001, v13
	s_delay_alu instid0(VALU_DEP_4) | instskip(NEXT) | instid1(VALU_DEP_4)
	v_mul_u32_u24_e32 v14, 0x10001, v14
	v_mul_u32_u24_e32 v15, 0x10001, v15
	s_delay_alu instid0(VALU_DEP_4) | instskip(SKIP_1) | instid1(VALU_DEP_4)
	v_pk_fma_f16 v84, v6, v10, v86
	v_pk_fma_f16 v10, v7, v10, v12
	;; [unrolled: 1-line block ×3, first 2 shown]
	s_delay_alu instid0(VALU_DEP_4)
	v_pk_fma_f16 v9, v6, v15, v9
	v_pk_fma_f16 v85, v6, v13, v4
	;; [unrolled: 1-line block ×5, first 2 shown]
	ds_load_2addr_b64 v[4:7], v68 offset0:128 offset1:160
	v_dual_lshrrev_b32 v13, 16, v94 :: v_dual_lshrrev_b32 v14, 16, v95
	v_and_b32_e32 v15, 0xffff, v94
	v_and_b32_e32 v86, 0xffff, v95
	s_delay_alu instid0(VALU_DEP_3) | instskip(NEXT) | instid1(VALU_DEP_4)
	v_mul_u32_u24_e32 v13, 0x10001, v13
	v_mul_u32_u24_e32 v14, 0x10001, v14
	s_delay_alu instid0(VALU_DEP_4) | instskip(NEXT) | instid1(VALU_DEP_4)
	v_mul_u32_u24_e32 v15, 0x10001, v15
	v_mul_u32_u24_e32 v86, 0x10001, v86
	s_wait_dscnt 0x0
	s_delay_alu instid0(VALU_DEP_2) | instskip(SKIP_1) | instid1(VALU_DEP_3)
	v_pk_fma_f16 v83, v4, v15, v83
	v_pk_fma_f16 v84, v4, v13, v84
	;; [unrolled: 1-line block ×8, first 2 shown]
	v_dual_lshrrev_b32 v12, 16, v96 :: v_dual_lshrrev_b32 v13, 16, v97
	v_and_b32_e32 v14, 0xffff, v96
	v_and_b32_e32 v15, 0xffff, v97
	s_delay_alu instid0(VALU_DEP_3) | instskip(NEXT) | instid1(VALU_DEP_4)
	v_mul_u32_u24_e32 v12, 0x10001, v12
	v_mul_u32_u24_e32 v13, 0x10001, v13
	s_delay_alu instid0(VALU_DEP_4) | instskip(NEXT) | instid1(VALU_DEP_4)
	v_mul_u32_u24_e32 v14, 0x10001, v14
	v_mul_u32_u24_e32 v15, 0x10001, v15
	s_delay_alu instid0(VALU_DEP_4) | instskip(NEXT) | instid1(VALU_DEP_4)
	v_pk_fma_f16 v84, v6, v12, v84
	v_pk_fma_f16 v85, v6, v13, v4
	s_delay_alu instid0(VALU_DEP_4) | instskip(NEXT) | instid1(VALU_DEP_4)
	v_pk_fma_f16 v83, v6, v14, v83
	v_pk_fma_f16 v9, v6, v15, v9
	;; [unrolled: 1-line block ×6, first 2 shown]
	ds_load_2addr_b64 v[4:7], v68 offset0:192 offset1:224
	v_dual_lshrrev_b32 v13, 16, v0 :: v_dual_lshrrev_b32 v14, 16, v1
	v_and_b32_e32 v0, 0xffff, v0
	v_and_b32_e32 v1, 0xffff, v1
	s_delay_alu instid0(VALU_DEP_3) | instskip(NEXT) | instid1(VALU_DEP_4)
	v_mul_u32_u24_e32 v13, 0x10001, v13
	v_mul_u32_u24_e32 v14, 0x10001, v14
	s_delay_alu instid0(VALU_DEP_4) | instskip(NEXT) | instid1(VALU_DEP_4)
	v_mul_u32_u24_e32 v0, 0x10001, v0
	v_mul_u32_u24_e32 v1, 0x10001, v1
	s_wait_dscnt 0x0
	s_delay_alu instid0(VALU_DEP_2) | instskip(NEXT) | instid1(VALU_DEP_2)
	v_pk_fma_f16 v15, v4, v0, v83
	v_pk_fma_f16 v9, v4, v1, v9
	;; [unrolled: 1-line block ×4, first 2 shown]
	v_dual_lshrrev_b32 v8, 16, v2 :: v_dual_lshrrev_b32 v11, 16, v3
	v_and_b32_e32 v2, 0xffff, v2
	v_and_b32_e32 v3, 0xffff, v3
	v_pk_fma_f16 v83, v4, v13, v84
	v_pk_fma_f16 v4, v4, v14, v85
	v_mul_u32_u24_e32 v8, 0x10001, v8
	v_mul_u32_u24_e32 v2, 0x10001, v2
	;; [unrolled: 1-line block ×4, first 2 shown]
	v_pk_fma_f16 v10, v5, v13, v10
	v_pk_fma_f16 v5, v5, v14, v12
	;; [unrolled: 1-line block ×6, first 2 shown]
	v_add_nc_u32_e32 v6, 0x800, v68
	v_pk_fma_f16 v15, v7, v2, v0
	v_pk_fma_f16 v83, v7, v8, v10
	;; [unrolled: 1-line block ×4, first 2 shown]
	ds_load_2addr_b64 v[0:3], v6 offset1:32
	ds_load_b128 v[8:11], v71 offset:64
	s_wait_dscnt 0x0
	v_dual_lshrrev_b32 v7, 16, v8 :: v_dual_lshrrev_b32 v85, 16, v9
	v_and_b32_e32 v8, 0xffff, v8
	v_and_b32_e32 v9, 0xffff, v9
	s_delay_alu instid0(VALU_DEP_3) | instskip(NEXT) | instid1(VALU_DEP_4)
	v_mul_u32_u24_e32 v7, 0x10001, v7
	v_mul_u32_u24_e32 v85, 0x10001, v85
	s_delay_alu instid0(VALU_DEP_4) | instskip(NEXT) | instid1(VALU_DEP_4)
	v_mul_u32_u24_e32 v8, 0x10001, v8
	v_mul_u32_u24_e32 v9, 0x10001, v9
	s_delay_alu instid0(VALU_DEP_4) | instskip(SKIP_1) | instid1(VALU_DEP_4)
	v_pk_fma_f16 v13, v0, v7, v13
	v_pk_fma_f16 v7, v1, v7, v83
	;; [unrolled: 1-line block ×3, first 2 shown]
	s_delay_alu instid0(VALU_DEP_4)
	v_pk_fma_f16 v14, v0, v9, v14
	v_pk_fma_f16 v0, v0, v85, v4
	;; [unrolled: 1-line block ×5, first 2 shown]
	v_dual_lshrrev_b32 v5, 16, v10 :: v_dual_lshrrev_b32 v9, 16, v11
	v_and_b32_e32 v10, 0xffff, v10
	v_and_b32_e32 v11, 0xffff, v11
	s_delay_alu instid0(VALU_DEP_3) | instskip(NEXT) | instid1(VALU_DEP_4)
	v_mul_u32_u24_e32 v5, 0x10001, v5
	v_mul_u32_u24_e32 v9, 0x10001, v9
	s_delay_alu instid0(VALU_DEP_4) | instskip(NEXT) | instid1(VALU_DEP_4)
	v_mul_u32_u24_e32 v10, 0x10001, v10
	v_mul_u32_u24_e32 v11, 0x10001, v11
	s_delay_alu instid0(VALU_DEP_4) | instskip(NEXT) | instid1(VALU_DEP_4)
	v_pk_fma_f16 v13, v2, v5, v13
	v_pk_fma_f16 v15, v2, v9, v0
	s_delay_alu instid0(VALU_DEP_4) | instskip(NEXT) | instid1(VALU_DEP_4)
	v_pk_fma_f16 v12, v2, v10, v12
	v_pk_fma_f16 v14, v2, v11, v14
	;; [unrolled: 1-line block ×6, first 2 shown]
	ds_load_2addr_b64 v[0:3], v6 offset0:64 offset1:96
	ds_load_b128 v[8:11], v71 offset:80
	s_wait_dscnt 0x0
	v_dual_lshrrev_b32 v84, 16, v8 :: v_dual_lshrrev_b32 v85, 16, v9
	v_and_b32_e32 v8, 0xffff, v8
	v_and_b32_e32 v9, 0xffff, v9
	s_delay_alu instid0(VALU_DEP_3) | instskip(NEXT) | instid1(VALU_DEP_3)
	v_mul_u32_u24_e32 v84, 0x10001, v84
	v_mul_u32_u24_e32 v8, 0x10001, v8
	s_delay_alu instid0(VALU_DEP_3) | instskip(NEXT) | instid1(VALU_DEP_3)
	v_mul_u32_u24_e32 v9, 0x10001, v9
	v_pk_fma_f16 v13, v0, v84, v13
	v_pk_fma_f16 v5, v1, v84, v5
	s_delay_alu instid0(VALU_DEP_4) | instskip(NEXT) | instid1(VALU_DEP_4)
	v_pk_fma_f16 v12, v0, v8, v12
	v_pk_fma_f16 v14, v0, v9, v14
	;; [unrolled: 1-line block ×4, first 2 shown]
	v_dual_lshrrev_b32 v8, 16, v10 :: v_dual_lshrrev_b32 v9, 16, v11
	v_mul_u32_u24_e32 v85, 0x10001, v85
	v_and_b32_e32 v10, 0xffff, v10
	v_and_b32_e32 v11, 0xffff, v11
	s_delay_alu instid0(VALU_DEP_4)
	v_mul_u32_u24_e32 v8, 0x10001, v8
	v_mul_u32_u24_e32 v9, 0x10001, v9
	v_pk_fma_f16 v0, v0, v85, v15
	v_pk_fma_f16 v1, v1, v85, v83
	v_mul_u32_u24_e32 v10, 0x10001, v10
	v_mul_u32_u24_e32 v11, 0x10001, v11
	v_pk_fma_f16 v13, v2, v8, v13
	v_pk_fma_f16 v15, v2, v9, v0
	;; [unrolled: 1-line block ×8, first 2 shown]
	ds_load_2addr_b64 v[0:3], v6 offset0:128 offset1:160
	ds_load_b128 v[8:11], v71 offset:96
	s_wait_dscnt 0x0
	v_dual_lshrrev_b32 v84, 16, v8 :: v_dual_lshrrev_b32 v85, 16, v9
	v_and_b32_e32 v8, 0xffff, v8
	v_and_b32_e32 v9, 0xffff, v9
	s_delay_alu instid0(VALU_DEP_3) | instskip(NEXT) | instid1(VALU_DEP_3)
	v_mul_u32_u24_e32 v84, 0x10001, v84
	v_mul_u32_u24_e32 v8, 0x10001, v8
	s_delay_alu instid0(VALU_DEP_3) | instskip(NEXT) | instid1(VALU_DEP_3)
	v_mul_u32_u24_e32 v9, 0x10001, v9
	v_pk_fma_f16 v13, v0, v84, v13
	v_pk_fma_f16 v5, v1, v84, v5
	s_delay_alu instid0(VALU_DEP_4) | instskip(NEXT) | instid1(VALU_DEP_4)
	v_pk_fma_f16 v12, v0, v8, v12
	v_pk_fma_f16 v14, v0, v9, v14
	;; [unrolled: 1-line block ×4, first 2 shown]
	v_dual_lshrrev_b32 v8, 16, v10 :: v_dual_lshrrev_b32 v9, 16, v11
	v_mul_u32_u24_e32 v85, 0x10001, v85
	v_and_b32_e32 v10, 0xffff, v10
	v_and_b32_e32 v11, 0xffff, v11
	s_delay_alu instid0(VALU_DEP_4)
	v_mul_u32_u24_e32 v8, 0x10001, v8
	v_mul_u32_u24_e32 v9, 0x10001, v9
	v_pk_fma_f16 v0, v0, v85, v15
	v_pk_fma_f16 v1, v1, v85, v83
	v_mul_u32_u24_e32 v10, 0x10001, v10
	v_mul_u32_u24_e32 v11, 0x10001, v11
	v_pk_fma_f16 v13, v2, v8, v13
	v_pk_fma_f16 v15, v2, v9, v0
	;; [unrolled: 1-line block ×8, first 2 shown]
	ds_load_2addr_b64 v[0:3], v6 offset0:192 offset1:224
	ds_load_b128 v[8:11], v71 offset:112
	s_wait_dscnt 0x0
	v_dual_lshrrev_b32 v84, 16, v8 :: v_dual_lshrrev_b32 v85, 16, v9
	v_and_b32_e32 v8, 0xffff, v8
	v_and_b32_e32 v9, 0xffff, v9
	s_delay_alu instid0(VALU_DEP_3) | instskip(NEXT) | instid1(VALU_DEP_4)
	v_mul_u32_u24_e32 v84, 0x10001, v84
	v_mul_u32_u24_e32 v85, 0x10001, v85
	s_delay_alu instid0(VALU_DEP_4) | instskip(NEXT) | instid1(VALU_DEP_4)
	v_mul_u32_u24_e32 v8, 0x10001, v8
	v_mul_u32_u24_e32 v9, 0x10001, v9
	s_delay_alu instid0(VALU_DEP_4) | instskip(SKIP_1) | instid1(VALU_DEP_4)
	v_pk_fma_f16 v13, v0, v84, v13
	v_pk_fma_f16 v5, v1, v84, v5
	;; [unrolled: 1-line block ×3, first 2 shown]
	s_delay_alu instid0(VALU_DEP_4)
	v_pk_fma_f16 v14, v0, v9, v14
	v_pk_fma_f16 v4, v1, v8, v4
	;; [unrolled: 1-line block ×3, first 2 shown]
	v_dual_lshrrev_b32 v8, 16, v10 :: v_dual_lshrrev_b32 v9, 16, v11
	v_and_b32_e32 v11, 0xffff, v11
	v_and_b32_e32 v10, 0xffff, v10
	v_pk_fma_f16 v0, v0, v85, v15
	v_pk_fma_f16 v1, v1, v85, v83
	v_mul_u32_u24_e32 v8, 0x10001, v8
	v_mul_u32_u24_e32 v11, 0x10001, v11
	;; [unrolled: 1-line block ×4, first 2 shown]
	s_delay_alu instid0(VALU_DEP_4) | instskip(NEXT) | instid1(VALU_DEP_4)
	v_pk_fma_f16 v13, v2, v8, v13
	v_pk_fma_f16 v83, v3, v11, v7
	v_add_nc_u32_e32 v7, 0x1000, v68
	v_pk_fma_f16 v12, v2, v10, v12
	v_pk_fma_f16 v14, v2, v11, v14
	;; [unrolled: 1-line block ×6, first 2 shown]
	ds_load_2addr_b64 v[0:3], v7 offset1:32
	ds_load_b128 v[8:11], v71 offset:128
	s_wait_dscnt 0x0
	v_dual_lshrrev_b32 v85, 16, v8 :: v_dual_lshrrev_b32 v86, 16, v9
	v_and_b32_e32 v8, 0xffff, v8
	v_and_b32_e32 v9, 0xffff, v9
	s_delay_alu instid0(VALU_DEP_3) | instskip(NEXT) | instid1(VALU_DEP_4)
	v_mul_u32_u24_e32 v85, 0x10001, v85
	v_mul_u32_u24_e32 v86, 0x10001, v86
	s_delay_alu instid0(VALU_DEP_4) | instskip(NEXT) | instid1(VALU_DEP_4)
	v_mul_u32_u24_e32 v8, 0x10001, v8
	v_mul_u32_u24_e32 v9, 0x10001, v9
	s_delay_alu instid0(VALU_DEP_4) | instskip(SKIP_1) | instid1(VALU_DEP_4)
	v_pk_fma_f16 v13, v0, v85, v13
	v_pk_fma_f16 v5, v1, v85, v5
	v_pk_fma_f16 v12, v0, v8, v12
	s_delay_alu instid0(VALU_DEP_4)
	v_pk_fma_f16 v14, v0, v9, v14
	v_pk_fma_f16 v0, v0, v86, v15
	v_pk_fma_f16 v4, v1, v8, v4
	v_pk_fma_f16 v8, v1, v9, v83
	v_dual_lshrrev_b32 v9, 16, v10 :: v_dual_lshrrev_b32 v15, 16, v11
	v_and_b32_e32 v10, 0xffff, v10
	v_and_b32_e32 v11, 0xffff, v11
	v_pk_fma_f16 v1, v1, v86, v84
	s_delay_alu instid0(VALU_DEP_4) | instskip(SKIP_3) | instid1(VALU_DEP_4)
	v_mul_u32_u24_e32 v9, 0x10001, v9
	v_mul_u32_u24_e32 v15, 0x10001, v15
	v_mul_u32_u24_e32 v10, 0x10001, v10
	v_mul_u32_u24_e32 v11, 0x10001, v11
	v_pk_fma_f16 v13, v2, v9, v13
	s_delay_alu instid0(VALU_DEP_4) | instskip(NEXT) | instid1(VALU_DEP_4)
	v_pk_fma_f16 v83, v2, v15, v0
	v_pk_fma_f16 v12, v2, v10, v12
	s_delay_alu instid0(VALU_DEP_4)
	v_pk_fma_f16 v14, v2, v11, v14
	v_pk_fma_f16 v4, v3, v10, v4
	v_pk_fma_f16 v5, v3, v9, v5
	v_pk_fma_f16 v84, v3, v11, v8
	v_pk_fma_f16 v15, v3, v15, v1
	ds_load_2addr_b64 v[0:3], v7 offset0:64 offset1:96
	ds_load_b128 v[8:11], v71 offset:144
	s_wait_dscnt 0x0
	v_dual_lshrrev_b32 v85, 16, v8 :: v_dual_lshrrev_b32 v86, 16, v9
	v_and_b32_e32 v8, 0xffff, v8
	v_and_b32_e32 v9, 0xffff, v9
	s_delay_alu instid0(VALU_DEP_3) | instskip(NEXT) | instid1(VALU_DEP_4)
	v_mul_u32_u24_e32 v85, 0x10001, v85
	v_mul_u32_u24_e32 v86, 0x10001, v86
	s_delay_alu instid0(VALU_DEP_4) | instskip(NEXT) | instid1(VALU_DEP_4)
	v_mul_u32_u24_e32 v8, 0x10001, v8
	v_mul_u32_u24_e32 v9, 0x10001, v9
	s_delay_alu instid0(VALU_DEP_4) | instskip(SKIP_1) | instid1(VALU_DEP_4)
	v_pk_fma_f16 v5, v1, v85, v5
	v_pk_fma_f16 v13, v0, v85, v13
	v_pk_fma_f16 v12, v0, v8, v12
	s_delay_alu instid0(VALU_DEP_4)
	v_pk_fma_f16 v14, v0, v9, v14
	v_pk_fma_f16 v4, v1, v8, v4
	v_pk_fma_f16 v8, v1, v9, v84
	v_pk_fma_f16 v1, v1, v86, v15
	v_dual_lshrrev_b32 v9, 16, v10 :: v_dual_lshrrev_b32 v15, 16, v11
	v_and_b32_e32 v10, 0xffff, v10
	v_and_b32_e32 v11, 0xffff, v11
	v_pk_fma_f16 v0, v0, v86, v83
	s_delay_alu instid0(VALU_DEP_4) | instskip(SKIP_3) | instid1(VALU_DEP_4)
	v_mul_u32_u24_e32 v9, 0x10001, v9
	v_mul_u32_u24_e32 v15, 0x10001, v15
	v_mul_u32_u24_e32 v10, 0x10001, v10
	v_mul_u32_u24_e32 v11, 0x10001, v11
	v_pk_fma_f16 v13, v2, v9, v13
	s_delay_alu instid0(VALU_DEP_4) | instskip(NEXT) | instid1(VALU_DEP_4)
	v_pk_fma_f16 v83, v2, v15, v0
	v_pk_fma_f16 v12, v2, v10, v12
	s_delay_alu instid0(VALU_DEP_4)
	v_pk_fma_f16 v14, v2, v11, v14
	v_pk_fma_f16 v4, v3, v10, v4
	v_pk_fma_f16 v5, v3, v9, v5
	v_pk_fma_f16 v84, v3, v11, v8
	v_pk_fma_f16 v15, v3, v15, v1
	ds_load_2addr_b64 v[0:3], v7 offset0:128 offset1:160
	;; [unrolled: 40-line block ×3, first 2 shown]
	ds_load_b128 v[8:11], v71 offset:176
	s_wait_dscnt 0x0
	v_dual_lshrrev_b32 v85, 16, v8 :: v_dual_lshrrev_b32 v86, 16, v9
	v_and_b32_e32 v8, 0xffff, v8
	v_and_b32_e32 v9, 0xffff, v9
	s_delay_alu instid0(VALU_DEP_3) | instskip(NEXT) | instid1(VALU_DEP_4)
	v_mul_u32_u24_e32 v85, 0x10001, v85
	v_mul_u32_u24_e32 v86, 0x10001, v86
	s_delay_alu instid0(VALU_DEP_4) | instskip(NEXT) | instid1(VALU_DEP_4)
	v_mul_u32_u24_e32 v8, 0x10001, v8
	v_mul_u32_u24_e32 v9, 0x10001, v9
	s_delay_alu instid0(VALU_DEP_4) | instskip(SKIP_1) | instid1(VALU_DEP_4)
	v_pk_fma_f16 v5, v1, v85, v5
	v_pk_fma_f16 v13, v0, v85, v13
	;; [unrolled: 1-line block ×3, first 2 shown]
	s_delay_alu instid0(VALU_DEP_4)
	v_pk_fma_f16 v14, v0, v9, v14
	v_pk_fma_f16 v4, v1, v8, v4
	;; [unrolled: 1-line block ×4, first 2 shown]
	v_dual_lshrrev_b32 v9, 16, v10 :: v_dual_lshrrev_b32 v15, 16, v11
	v_and_b32_e32 v11, 0xffff, v11
	v_and_b32_e32 v10, 0xffff, v10
	v_pk_fma_f16 v0, v0, v86, v83
	s_delay_alu instid0(VALU_DEP_4) | instskip(SKIP_3) | instid1(VALU_DEP_4)
	v_mul_u32_u24_e32 v9, 0x10001, v9
	v_mul_u32_u24_e32 v15, 0x10001, v15
	v_mul_u32_u24_e32 v11, 0x10001, v11
	v_mul_u32_u24_e32 v10, 0x10001, v10
	v_pk_fma_f16 v84, v2, v9, v13
	v_pk_fma_f16 v5, v3, v9, v5
	s_delay_alu instid0(VALU_DEP_4)
	v_pk_fma_f16 v9, v3, v11, v8
	v_add_nc_u32_e32 v8, 0x1800, v68
	v_pk_fma_f16 v83, v2, v10, v12
	v_pk_fma_f16 v14, v2, v11, v14
	v_pk_fma_f16 v85, v2, v15, v0
	v_pk_fma_f16 v4, v3, v10, v4
	v_pk_fma_f16 v15, v3, v15, v1
	ds_load_2addr_b64 v[0:3], v8 offset1:32
	ds_load_b128 v[10:13], v71 offset:192
	s_wait_dscnt 0x0
	v_dual_lshrrev_b32 v86, 16, v10 :: v_dual_lshrrev_b32 v87, 16, v11
	v_and_b32_e32 v10, 0xffff, v10
	v_and_b32_e32 v11, 0xffff, v11
	s_delay_alu instid0(VALU_DEP_3) | instskip(NEXT) | instid1(VALU_DEP_4)
	v_mul_u32_u24_e32 v86, 0x10001, v86
	v_mul_u32_u24_e32 v87, 0x10001, v87
	s_delay_alu instid0(VALU_DEP_4) | instskip(NEXT) | instid1(VALU_DEP_4)
	v_mul_u32_u24_e32 v10, 0x10001, v10
	v_mul_u32_u24_e32 v11, 0x10001, v11
	s_delay_alu instid0(VALU_DEP_4) | instskip(SKIP_1) | instid1(VALU_DEP_4)
	v_pk_fma_f16 v84, v0, v86, v84
	v_pk_fma_f16 v5, v1, v86, v5
	;; [unrolled: 1-line block ×3, first 2 shown]
	s_delay_alu instid0(VALU_DEP_4)
	v_pk_fma_f16 v14, v0, v11, v14
	v_pk_fma_f16 v4, v1, v10, v4
	v_pk_fma_f16 v9, v1, v11, v9
	v_dual_lshrrev_b32 v10, 16, v12 :: v_dual_lshrrev_b32 v11, 16, v13
	v_and_b32_e32 v12, 0xffff, v12
	v_and_b32_e32 v13, 0xffff, v13
	v_pk_fma_f16 v0, v0, v87, v85
	v_pk_fma_f16 v1, v1, v87, v15
	v_mul_u32_u24_e32 v10, 0x10001, v10
	v_mul_u32_u24_e32 v12, 0x10001, v12
	;; [unrolled: 1-line block ×4, first 2 shown]
	s_delay_alu instid0(VALU_DEP_4) | instskip(NEXT) | instid1(VALU_DEP_4)
	v_pk_fma_f16 v5, v3, v10, v5
	v_pk_fma_f16 v15, v2, v12, v83
	;; [unrolled: 1-line block ×8, first 2 shown]
	ds_load_2addr_b64 v[0:3], v8 offset0:64 offset1:96
	ds_load_b128 v[10:13], v71 offset:208
	s_wait_dscnt 0x0
	v_dual_lshrrev_b32 v86, 16, v10 :: v_dual_lshrrev_b32 v87, 16, v11
	v_and_b32_e32 v10, 0xffff, v10
	v_and_b32_e32 v11, 0xffff, v11
	s_delay_alu instid0(VALU_DEP_3) | instskip(NEXT) | instid1(VALU_DEP_4)
	v_mul_u32_u24_e32 v86, 0x10001, v86
	v_mul_u32_u24_e32 v87, 0x10001, v87
	s_delay_alu instid0(VALU_DEP_4) | instskip(NEXT) | instid1(VALU_DEP_4)
	v_mul_u32_u24_e32 v10, 0x10001, v10
	v_mul_u32_u24_e32 v11, 0x10001, v11
	s_delay_alu instid0(VALU_DEP_4) | instskip(SKIP_1) | instid1(VALU_DEP_4)
	v_pk_fma_f16 v83, v0, v86, v83
	v_pk_fma_f16 v5, v1, v86, v5
	;; [unrolled: 1-line block ×3, first 2 shown]
	s_delay_alu instid0(VALU_DEP_4)
	v_pk_fma_f16 v14, v0, v11, v14
	v_pk_fma_f16 v4, v1, v10, v4
	;; [unrolled: 1-line block ×3, first 2 shown]
	v_dual_lshrrev_b32 v10, 16, v12 :: v_dual_lshrrev_b32 v11, 16, v13
	v_and_b32_e32 v12, 0xffff, v12
	v_and_b32_e32 v13, 0xffff, v13
	v_pk_fma_f16 v0, v0, v87, v84
	v_pk_fma_f16 v1, v1, v87, v85
	v_mul_u32_u24_e32 v10, 0x10001, v10
	v_mul_u32_u24_e32 v12, 0x10001, v12
	;; [unrolled: 1-line block ×4, first 2 shown]
	s_delay_alu instid0(VALU_DEP_4) | instskip(NEXT) | instid1(VALU_DEP_4)
	v_pk_fma_f16 v83, v2, v10, v83
	v_pk_fma_f16 v15, v2, v12, v15
	s_delay_alu instid0(VALU_DEP_4) | instskip(NEXT) | instid1(VALU_DEP_4)
	v_pk_fma_f16 v14, v2, v13, v14
	v_pk_fma_f16 v84, v2, v11, v0
	;; [unrolled: 1-line block ×6, first 2 shown]
	ds_load_2addr_b64 v[0:3], v8 offset0:128 offset1:160
	ds_load_b128 v[10:13], v71 offset:224
	s_wait_dscnt 0x0
	v_dual_lshrrev_b32 v86, 16, v10 :: v_dual_lshrrev_b32 v87, 16, v11
	v_and_b32_e32 v10, 0xffff, v10
	v_and_b32_e32 v11, 0xffff, v11
	s_delay_alu instid0(VALU_DEP_3) | instskip(NEXT) | instid1(VALU_DEP_4)
	v_mul_u32_u24_e32 v86, 0x10001, v86
	v_mul_u32_u24_e32 v87, 0x10001, v87
	s_delay_alu instid0(VALU_DEP_4) | instskip(NEXT) | instid1(VALU_DEP_4)
	v_mul_u32_u24_e32 v10, 0x10001, v10
	v_mul_u32_u24_e32 v11, 0x10001, v11
	s_delay_alu instid0(VALU_DEP_4) | instskip(SKIP_1) | instid1(VALU_DEP_4)
	v_pk_fma_f16 v83, v0, v86, v83
	v_pk_fma_f16 v5, v1, v86, v5
	;; [unrolled: 1-line block ×3, first 2 shown]
	s_delay_alu instid0(VALU_DEP_4)
	v_pk_fma_f16 v14, v0, v11, v14
	v_pk_fma_f16 v4, v1, v10, v4
	;; [unrolled: 1-line block ×3, first 2 shown]
	v_dual_lshrrev_b32 v10, 16, v12 :: v_dual_lshrrev_b32 v11, 16, v13
	v_and_b32_e32 v12, 0xffff, v12
	v_and_b32_e32 v13, 0xffff, v13
	v_pk_fma_f16 v0, v0, v87, v84
	v_pk_fma_f16 v1, v1, v87, v85
	v_mul_u32_u24_e32 v10, 0x10001, v10
	v_mul_u32_u24_e32 v12, 0x10001, v12
	;; [unrolled: 1-line block ×4, first 2 shown]
	s_delay_alu instid0(VALU_DEP_4) | instskip(NEXT) | instid1(VALU_DEP_4)
	v_pk_fma_f16 v83, v2, v10, v83
	v_pk_fma_f16 v15, v2, v12, v15
	s_delay_alu instid0(VALU_DEP_4) | instskip(NEXT) | instid1(VALU_DEP_4)
	v_pk_fma_f16 v14, v2, v13, v14
	v_pk_fma_f16 v84, v2, v11, v0
	;; [unrolled: 1-line block ×6, first 2 shown]
	ds_load_2addr_b64 v[0:3], v8 offset0:192 offset1:224
	ds_load_b128 v[10:13], v71 offset:240
	s_wait_dscnt 0x0
	v_dual_lshrrev_b32 v86, 16, v10 :: v_dual_lshrrev_b32 v87, 16, v11
	v_and_b32_e32 v10, 0xffff, v10
	v_and_b32_e32 v11, 0xffff, v11
	s_delay_alu instid0(VALU_DEP_3) | instskip(NEXT) | instid1(VALU_DEP_4)
	v_mul_u32_u24_e32 v86, 0x10001, v86
	v_mul_u32_u24_e32 v87, 0x10001, v87
	s_delay_alu instid0(VALU_DEP_4) | instskip(NEXT) | instid1(VALU_DEP_4)
	v_mul_u32_u24_e32 v10, 0x10001, v10
	v_mul_u32_u24_e32 v11, 0x10001, v11
	s_delay_alu instid0(VALU_DEP_4) | instskip(SKIP_1) | instid1(VALU_DEP_4)
	v_pk_fma_f16 v83, v0, v86, v83
	v_pk_fma_f16 v5, v1, v86, v5
	;; [unrolled: 1-line block ×3, first 2 shown]
	s_delay_alu instid0(VALU_DEP_4)
	v_pk_fma_f16 v14, v0, v11, v14
	v_pk_fma_f16 v4, v1, v10, v4
	;; [unrolled: 1-line block ×3, first 2 shown]
	v_dual_lshrrev_b32 v10, 16, v12 :: v_dual_lshrrev_b32 v11, 16, v13
	v_and_b32_e32 v13, 0xffff, v13
	v_and_b32_e32 v12, 0xffff, v12
	v_pk_fma_f16 v0, v0, v87, v84
	v_pk_fma_f16 v1, v1, v87, v85
	v_mul_u32_u24_e32 v10, 0x10001, v10
	v_mul_u32_u24_e32 v13, 0x10001, v13
	;; [unrolled: 1-line block ×4, first 2 shown]
	s_delay_alu instid0(VALU_DEP_4) | instskip(NEXT) | instid1(VALU_DEP_4)
	v_pk_fma_f16 v83, v2, v10, v83
	v_pk_fma_f16 v85, v3, v13, v9
	v_add_nc_u32_e32 v9, 0x2000, v68
	v_pk_fma_f16 v15, v2, v12, v15
	v_pk_fma_f16 v14, v2, v13, v14
	;; [unrolled: 1-line block ×6, first 2 shown]
	ds_load_2addr_b64 v[0:3], v9 offset1:32
	ds_load_b128 v[10:13], v71 offset:256
	s_wait_dscnt 0x0
	v_dual_lshrrev_b32 v87, 16, v10 :: v_dual_lshrrev_b32 v88, 16, v11
	v_and_b32_e32 v10, 0xffff, v10
	v_and_b32_e32 v11, 0xffff, v11
	s_delay_alu instid0(VALU_DEP_3) | instskip(NEXT) | instid1(VALU_DEP_4)
	v_mul_u32_u24_e32 v87, 0x10001, v87
	v_mul_u32_u24_e32 v88, 0x10001, v88
	s_delay_alu instid0(VALU_DEP_4) | instskip(NEXT) | instid1(VALU_DEP_4)
	v_mul_u32_u24_e32 v10, 0x10001, v10
	v_mul_u32_u24_e32 v11, 0x10001, v11
	s_delay_alu instid0(VALU_DEP_4) | instskip(SKIP_1) | instid1(VALU_DEP_4)
	v_pk_fma_f16 v83, v0, v87, v83
	v_pk_fma_f16 v5, v1, v87, v5
	v_pk_fma_f16 v15, v0, v10, v15
	s_delay_alu instid0(VALU_DEP_4)
	v_pk_fma_f16 v14, v0, v11, v14
	v_pk_fma_f16 v0, v0, v88, v84
	v_pk_fma_f16 v4, v1, v10, v4
	v_pk_fma_f16 v10, v1, v11, v85
	v_dual_lshrrev_b32 v11, 16, v12 :: v_dual_lshrrev_b32 v84, 16, v13
	v_and_b32_e32 v12, 0xffff, v12
	v_and_b32_e32 v13, 0xffff, v13
	v_pk_fma_f16 v1, v1, v88, v86
	s_delay_alu instid0(VALU_DEP_4) | instskip(SKIP_3) | instid1(VALU_DEP_4)
	v_mul_u32_u24_e32 v11, 0x10001, v11
	v_mul_u32_u24_e32 v84, 0x10001, v84
	v_mul_u32_u24_e32 v12, 0x10001, v12
	v_mul_u32_u24_e32 v13, 0x10001, v13
	v_pk_fma_f16 v83, v2, v11, v83
	s_delay_alu instid0(VALU_DEP_4) | instskip(NEXT) | instid1(VALU_DEP_4)
	v_pk_fma_f16 v85, v2, v84, v0
	v_pk_fma_f16 v15, v2, v12, v15
	s_delay_alu instid0(VALU_DEP_4)
	v_pk_fma_f16 v14, v2, v13, v14
	v_pk_fma_f16 v4, v3, v12, v4
	v_pk_fma_f16 v5, v3, v11, v5
	v_pk_fma_f16 v86, v3, v13, v10
	v_pk_fma_f16 v84, v3, v84, v1
	ds_load_2addr_b64 v[0:3], v9 offset0:64 offset1:96
	ds_load_b128 v[10:13], v71 offset:272
	s_wait_dscnt 0x0
	v_dual_lshrrev_b32 v87, 16, v10 :: v_dual_lshrrev_b32 v88, 16, v11
	v_and_b32_e32 v10, 0xffff, v10
	v_and_b32_e32 v11, 0xffff, v11
	s_delay_alu instid0(VALU_DEP_3) | instskip(NEXT) | instid1(VALU_DEP_4)
	v_mul_u32_u24_e32 v87, 0x10001, v87
	v_mul_u32_u24_e32 v88, 0x10001, v88
	s_delay_alu instid0(VALU_DEP_4) | instskip(NEXT) | instid1(VALU_DEP_4)
	v_mul_u32_u24_e32 v10, 0x10001, v10
	v_mul_u32_u24_e32 v11, 0x10001, v11
	s_delay_alu instid0(VALU_DEP_4) | instskip(SKIP_1) | instid1(VALU_DEP_4)
	v_pk_fma_f16 v5, v1, v87, v5
	v_pk_fma_f16 v83, v0, v87, v83
	v_pk_fma_f16 v15, v0, v10, v15
	s_delay_alu instid0(VALU_DEP_4)
	v_pk_fma_f16 v14, v0, v11, v14
	v_pk_fma_f16 v4, v1, v10, v4
	v_pk_fma_f16 v10, v1, v11, v86
	v_pk_fma_f16 v1, v1, v88, v84
	v_dual_lshrrev_b32 v11, 16, v12 :: v_dual_lshrrev_b32 v84, 16, v13
	v_and_b32_e32 v12, 0xffff, v12
	v_and_b32_e32 v13, 0xffff, v13
	v_pk_fma_f16 v0, v0, v88, v85
	s_delay_alu instid0(VALU_DEP_4) | instskip(SKIP_3) | instid1(VALU_DEP_4)
	v_mul_u32_u24_e32 v11, 0x10001, v11
	v_mul_u32_u24_e32 v84, 0x10001, v84
	v_mul_u32_u24_e32 v12, 0x10001, v12
	v_mul_u32_u24_e32 v13, 0x10001, v13
	v_pk_fma_f16 v83, v2, v11, v83
	s_delay_alu instid0(VALU_DEP_4) | instskip(NEXT) | instid1(VALU_DEP_4)
	v_pk_fma_f16 v85, v2, v84, v0
	v_pk_fma_f16 v15, v2, v12, v15
	s_delay_alu instid0(VALU_DEP_4)
	v_pk_fma_f16 v14, v2, v13, v14
	v_pk_fma_f16 v4, v3, v12, v4
	v_pk_fma_f16 v5, v3, v11, v5
	v_pk_fma_f16 v86, v3, v13, v10
	v_pk_fma_f16 v84, v3, v84, v1
	ds_load_2addr_b64 v[0:3], v9 offset0:128 offset1:160
	;; [unrolled: 40-line block ×3, first 2 shown]
	ds_load_b128 v[10:13], v71 offset:304
	s_wait_dscnt 0x0
	v_dual_lshrrev_b32 v87, 16, v10 :: v_dual_lshrrev_b32 v88, 16, v11
	v_and_b32_e32 v10, 0xffff, v10
	v_and_b32_e32 v11, 0xffff, v11
	s_delay_alu instid0(VALU_DEP_3) | instskip(NEXT) | instid1(VALU_DEP_4)
	v_mul_u32_u24_e32 v87, 0x10001, v87
	v_mul_u32_u24_e32 v88, 0x10001, v88
	s_delay_alu instid0(VALU_DEP_4) | instskip(NEXT) | instid1(VALU_DEP_4)
	v_mul_u32_u24_e32 v10, 0x10001, v10
	v_mul_u32_u24_e32 v11, 0x10001, v11
	s_delay_alu instid0(VALU_DEP_4) | instskip(SKIP_1) | instid1(VALU_DEP_4)
	v_pk_fma_f16 v5, v1, v87, v5
	v_pk_fma_f16 v83, v0, v87, v83
	;; [unrolled: 1-line block ×3, first 2 shown]
	s_delay_alu instid0(VALU_DEP_4)
	v_pk_fma_f16 v14, v0, v11, v14
	v_pk_fma_f16 v4, v1, v10, v4
	v_pk_fma_f16 v10, v1, v11, v86
	v_pk_fma_f16 v1, v1, v88, v84
	v_dual_lshrrev_b32 v11, 16, v12 :: v_dual_lshrrev_b32 v84, 16, v13
	v_and_b32_e32 v13, 0xffff, v13
	v_and_b32_e32 v12, 0xffff, v12
	v_pk_fma_f16 v0, v0, v88, v85
	s_delay_alu instid0(VALU_DEP_4) | instskip(SKIP_3) | instid1(VALU_DEP_4)
	v_mul_u32_u24_e32 v11, 0x10001, v11
	v_mul_u32_u24_e32 v84, 0x10001, v84
	;; [unrolled: 1-line block ×4, first 2 shown]
	v_pk_fma_f16 v83, v2, v11, v83
	v_pk_fma_f16 v5, v3, v11, v5
	s_delay_alu instid0(VALU_DEP_4)
	v_pk_fma_f16 v11, v3, v13, v10
	v_add_nc_u32_e32 v10, 0x2800, v68
	v_pk_fma_f16 v85, v2, v12, v15
	v_pk_fma_f16 v86, v2, v13, v14
	;; [unrolled: 1-line block ×5, first 2 shown]
	ds_load_2addr_b64 v[0:3], v10 offset1:32
	ds_load_b128 v[12:15], v71 offset:320
	s_wait_dscnt 0x0
	v_dual_lshrrev_b32 v88, 16, v12 :: v_dual_lshrrev_b32 v89, 16, v13
	v_and_b32_e32 v12, 0xffff, v12
	v_and_b32_e32 v13, 0xffff, v13
	s_delay_alu instid0(VALU_DEP_3) | instskip(NEXT) | instid1(VALU_DEP_4)
	v_mul_u32_u24_e32 v88, 0x10001, v88
	v_mul_u32_u24_e32 v89, 0x10001, v89
	s_delay_alu instid0(VALU_DEP_4) | instskip(NEXT) | instid1(VALU_DEP_4)
	v_mul_u32_u24_e32 v12, 0x10001, v12
	v_mul_u32_u24_e32 v13, 0x10001, v13
	s_delay_alu instid0(VALU_DEP_4) | instskip(SKIP_1) | instid1(VALU_DEP_4)
	v_pk_fma_f16 v83, v0, v88, v83
	v_pk_fma_f16 v5, v1, v88, v5
	v_pk_fma_f16 v85, v0, v12, v85
	s_delay_alu instid0(VALU_DEP_4)
	v_pk_fma_f16 v86, v0, v13, v86
	v_pk_fma_f16 v4, v1, v12, v4
	v_pk_fma_f16 v11, v1, v13, v11
	v_dual_lshrrev_b32 v12, 16, v14 :: v_dual_lshrrev_b32 v13, 16, v15
	v_and_b32_e32 v14, 0xffff, v14
	v_and_b32_e32 v15, 0xffff, v15
	v_pk_fma_f16 v0, v0, v89, v87
	v_pk_fma_f16 v1, v1, v89, v84
	v_mul_u32_u24_e32 v12, 0x10001, v12
	v_mul_u32_u24_e32 v14, 0x10001, v14
	v_mul_u32_u24_e32 v15, 0x10001, v15
	v_mul_u32_u24_e32 v13, 0x10001, v13
	s_delay_alu instid0(VALU_DEP_4) | instskip(NEXT) | instid1(VALU_DEP_4)
	v_pk_fma_f16 v83, v2, v12, v83
	v_pk_fma_f16 v84, v2, v14, v85
	s_delay_alu instid0(VALU_DEP_4) | instskip(NEXT) | instid1(VALU_DEP_4)
	v_pk_fma_f16 v85, v2, v15, v86
	v_pk_fma_f16 v86, v2, v13, v0
	v_pk_fma_f16 v4, v3, v14, v4
	v_pk_fma_f16 v5, v3, v12, v5
	v_pk_fma_f16 v11, v3, v15, v11
	v_pk_fma_f16 v87, v3, v13, v1
	ds_load_2addr_b64 v[0:3], v10 offset0:64 offset1:96
	ds_load_b128 v[12:15], v71 offset:336
	s_wait_dscnt 0x0
	v_dual_lshrrev_b32 v88, 16, v12 :: v_dual_lshrrev_b32 v89, 16, v13
	v_and_b32_e32 v12, 0xffff, v12
	v_and_b32_e32 v13, 0xffff, v13
	s_delay_alu instid0(VALU_DEP_3) | instskip(NEXT) | instid1(VALU_DEP_4)
	v_mul_u32_u24_e32 v88, 0x10001, v88
	v_mul_u32_u24_e32 v89, 0x10001, v89
	s_delay_alu instid0(VALU_DEP_4) | instskip(NEXT) | instid1(VALU_DEP_4)
	v_mul_u32_u24_e32 v12, 0x10001, v12
	v_mul_u32_u24_e32 v13, 0x10001, v13
	s_delay_alu instid0(VALU_DEP_4) | instskip(SKIP_1) | instid1(VALU_DEP_4)
	v_pk_fma_f16 v83, v0, v88, v83
	v_pk_fma_f16 v5, v1, v88, v5
	v_pk_fma_f16 v84, v0, v12, v84
	s_delay_alu instid0(VALU_DEP_4)
	v_pk_fma_f16 v85, v0, v13, v85
	v_pk_fma_f16 v4, v1, v12, v4
	v_pk_fma_f16 v11, v1, v13, v11
	v_dual_lshrrev_b32 v12, 16, v14 :: v_dual_lshrrev_b32 v13, 16, v15
	v_and_b32_e32 v14, 0xffff, v14
	v_and_b32_e32 v15, 0xffff, v15
	v_pk_fma_f16 v0, v0, v89, v86
	v_pk_fma_f16 v1, v1, v89, v87
	v_mul_u32_u24_e32 v12, 0x10001, v12
	v_mul_u32_u24_e32 v14, 0x10001, v14
	v_mul_u32_u24_e32 v15, 0x10001, v15
	v_mul_u32_u24_e32 v13, 0x10001, v13
	s_delay_alu instid0(VALU_DEP_4) | instskip(NEXT) | instid1(VALU_DEP_4)
	v_pk_fma_f16 v83, v2, v12, v83
	v_pk_fma_f16 v84, v2, v14, v84
	s_delay_alu instid0(VALU_DEP_4) | instskip(NEXT) | instid1(VALU_DEP_4)
	v_pk_fma_f16 v85, v2, v15, v85
	v_pk_fma_f16 v86, v2, v13, v0
	v_pk_fma_f16 v4, v3, v14, v4
	v_pk_fma_f16 v5, v3, v12, v5
	v_pk_fma_f16 v11, v3, v15, v11
	v_pk_fma_f16 v87, v3, v13, v1
	ds_load_2addr_b64 v[0:3], v10 offset0:128 offset1:160
	ds_load_b128 v[12:15], v71 offset:352
	s_wait_dscnt 0x0
	v_dual_lshrrev_b32 v88, 16, v12 :: v_dual_lshrrev_b32 v89, 16, v13
	v_and_b32_e32 v12, 0xffff, v12
	v_and_b32_e32 v13, 0xffff, v13
	s_delay_alu instid0(VALU_DEP_3) | instskip(NEXT) | instid1(VALU_DEP_4)
	v_mul_u32_u24_e32 v88, 0x10001, v88
	v_mul_u32_u24_e32 v89, 0x10001, v89
	s_delay_alu instid0(VALU_DEP_4) | instskip(NEXT) | instid1(VALU_DEP_4)
	v_mul_u32_u24_e32 v12, 0x10001, v12
	v_mul_u32_u24_e32 v13, 0x10001, v13
	s_delay_alu instid0(VALU_DEP_4) | instskip(SKIP_1) | instid1(VALU_DEP_4)
	v_pk_fma_f16 v83, v0, v88, v83
	v_pk_fma_f16 v5, v1, v88, v5
	v_pk_fma_f16 v84, v0, v12, v84
	s_delay_alu instid0(VALU_DEP_4)
	v_pk_fma_f16 v85, v0, v13, v85
	v_pk_fma_f16 v4, v1, v12, v4
	v_pk_fma_f16 v11, v1, v13, v11
	v_dual_lshrrev_b32 v12, 16, v14 :: v_dual_lshrrev_b32 v13, 16, v15
	v_and_b32_e32 v14, 0xffff, v14
	v_and_b32_e32 v15, 0xffff, v15
	v_pk_fma_f16 v0, v0, v89, v86
	v_pk_fma_f16 v1, v1, v89, v87
	v_mul_u32_u24_e32 v12, 0x10001, v12
	v_mul_u32_u24_e32 v14, 0x10001, v14
	v_mul_u32_u24_e32 v15, 0x10001, v15
	v_mul_u32_u24_e32 v13, 0x10001, v13
	s_delay_alu instid0(VALU_DEP_4) | instskip(NEXT) | instid1(VALU_DEP_4)
	v_pk_fma_f16 v83, v2, v12, v83
	v_pk_fma_f16 v84, v2, v14, v84
	s_delay_alu instid0(VALU_DEP_4) | instskip(NEXT) | instid1(VALU_DEP_4)
	v_pk_fma_f16 v85, v2, v15, v85
	v_pk_fma_f16 v86, v2, v13, v0
	v_pk_fma_f16 v4, v3, v14, v4
	v_pk_fma_f16 v5, v3, v12, v5
	v_pk_fma_f16 v11, v3, v15, v11
	v_pk_fma_f16 v87, v3, v13, v1
	ds_load_2addr_b64 v[0:3], v10 offset0:192 offset1:224
	ds_load_b128 v[12:15], v71 offset:368
	s_wait_dscnt 0x0
	v_dual_lshrrev_b32 v88, 16, v12 :: v_dual_lshrrev_b32 v89, 16, v13
	v_and_b32_e32 v12, 0xffff, v12
	v_and_b32_e32 v13, 0xffff, v13
	s_delay_alu instid0(VALU_DEP_3) | instskip(NEXT) | instid1(VALU_DEP_4)
	v_mul_u32_u24_e32 v88, 0x10001, v88
	v_mul_u32_u24_e32 v89, 0x10001, v89
	s_delay_alu instid0(VALU_DEP_4) | instskip(NEXT) | instid1(VALU_DEP_4)
	v_mul_u32_u24_e32 v12, 0x10001, v12
	v_mul_u32_u24_e32 v13, 0x10001, v13
	s_delay_alu instid0(VALU_DEP_4) | instskip(SKIP_1) | instid1(VALU_DEP_4)
	v_pk_fma_f16 v5, v1, v88, v5
	v_pk_fma_f16 v83, v0, v88, v83
	;; [unrolled: 1-line block ×4, first 2 shown]
	v_lshrrev_b32_e32 v12, 16, v14
	v_pk_fma_f16 v85, v0, v13, v85
	v_pk_fma_f16 v11, v1, v13, v11
	v_lshrrev_b32_e32 v13, 16, v15
	v_and_b32_e32 v14, 0xffff, v14
	v_mul_u32_u24_e32 v12, 0x10001, v12
	v_and_b32_e32 v15, 0xffff, v15
	v_pk_fma_f16 v0, v0, v89, v86
	v_pk_fma_f16 v1, v1, v89, v87
	v_mul_u32_u24_e32 v14, 0x10001, v14
	v_mul_u32_u24_e32 v13, 0x10001, v13
	;; [unrolled: 1-line block ×3, first 2 shown]
	v_pk_fma_f16 v87, v3, v12, v5
	v_add_nc_u32_e32 v5, 0x3000, v68
	v_pk_fma_f16 v84, v2, v14, v84
	v_pk_fma_f16 v83, v2, v12, v83
	;; [unrolled: 1-line block ×7, first 2 shown]
	ds_load_2addr_b64 v[0:3], v5 offset1:32
	ds_load_b128 v[12:15], v71 offset:384
	s_wait_dscnt 0x0
	v_dual_lshrrev_b32 v89, 16, v12 :: v_dual_lshrrev_b32 v90, 16, v13
	v_and_b32_e32 v12, 0xffff, v12
	v_and_b32_e32 v13, 0xffff, v13
	s_delay_alu instid0(VALU_DEP_3) | instskip(NEXT) | instid1(VALU_DEP_4)
	v_mul_u32_u24_e32 v89, 0x10001, v89
	v_mul_u32_u24_e32 v90, 0x10001, v90
	s_delay_alu instid0(VALU_DEP_4) | instskip(NEXT) | instid1(VALU_DEP_4)
	v_mul_u32_u24_e32 v12, 0x10001, v12
	v_mul_u32_u24_e32 v13, 0x10001, v13
	s_delay_alu instid0(VALU_DEP_4) | instskip(NEXT) | instid1(VALU_DEP_3)
	v_pk_fma_f16 v83, v0, v89, v83
	v_pk_fma_f16 v84, v0, v12, v84
	s_delay_alu instid0(VALU_DEP_3)
	v_pk_fma_f16 v85, v0, v13, v85
	v_pk_fma_f16 v0, v0, v90, v86
	;; [unrolled: 1-line block ×3, first 2 shown]
	v_dual_lshrrev_b32 v13, 16, v14 :: v_dual_lshrrev_b32 v86, 16, v15
	v_and_b32_e32 v14, 0xffff, v14
	v_and_b32_e32 v15, 0xffff, v15
	v_pk_fma_f16 v4, v1, v12, v4
	v_pk_fma_f16 v12, v1, v89, v87
	;; [unrolled: 1-line block ×3, first 2 shown]
	v_mul_u32_u24_e32 v14, 0x10001, v14
	v_mul_u32_u24_e32 v13, 0x10001, v13
	;; [unrolled: 1-line block ×4, first 2 shown]
	s_delay_alu instid0(VALU_DEP_4) | instskip(NEXT) | instid1(VALU_DEP_4)
	v_pk_fma_f16 v84, v2, v14, v84
	v_pk_fma_f16 v83, v2, v13, v83
	s_delay_alu instid0(VALU_DEP_4) | instskip(NEXT) | instid1(VALU_DEP_4)
	v_pk_fma_f16 v85, v2, v15, v85
	v_pk_fma_f16 v87, v2, v86, v0
	;; [unrolled: 1-line block ×6, first 2 shown]
	ds_load_2addr_b64 v[0:3], v5 offset0:64 offset1:96
	ds_load_b128 v[12:15], v71 offset:400
	s_wait_dscnt 0x0
	v_dual_lshrrev_b32 v89, 16, v12 :: v_dual_lshrrev_b32 v90, 16, v13
	v_and_b32_e32 v12, 0xffff, v12
	v_and_b32_e32 v13, 0xffff, v13
	s_delay_alu instid0(VALU_DEP_3) | instskip(NEXT) | instid1(VALU_DEP_4)
	v_mul_u32_u24_e32 v89, 0x10001, v89
	v_mul_u32_u24_e32 v90, 0x10001, v90
	s_delay_alu instid0(VALU_DEP_4) | instskip(NEXT) | instid1(VALU_DEP_4)
	v_mul_u32_u24_e32 v12, 0x10001, v12
	v_mul_u32_u24_e32 v13, 0x10001, v13
	s_delay_alu instid0(VALU_DEP_4) | instskip(NEXT) | instid1(VALU_DEP_3)
	v_pk_fma_f16 v83, v0, v89, v83
	v_pk_fma_f16 v84, v0, v12, v84
	s_delay_alu instid0(VALU_DEP_3)
	v_pk_fma_f16 v85, v0, v13, v85
	v_pk_fma_f16 v4, v1, v12, v4
	;; [unrolled: 1-line block ×5, first 2 shown]
	v_dual_lshrrev_b32 v13, 16, v14 :: v_dual_lshrrev_b32 v86, 16, v15
	v_and_b32_e32 v14, 0xffff, v14
	v_and_b32_e32 v15, 0xffff, v15
	v_pk_fma_f16 v0, v0, v90, v87
	s_delay_alu instid0(VALU_DEP_4) | instskip(SKIP_3) | instid1(VALU_DEP_4)
	v_mul_u32_u24_e32 v13, 0x10001, v13
	v_mul_u32_u24_e32 v86, 0x10001, v86
	;; [unrolled: 1-line block ×4, first 2 shown]
	v_pk_fma_f16 v83, v2, v13, v83
	s_delay_alu instid0(VALU_DEP_4) | instskip(NEXT) | instid1(VALU_DEP_4)
	v_pk_fma_f16 v87, v2, v86, v0
	v_pk_fma_f16 v84, v2, v14, v84
	s_delay_alu instid0(VALU_DEP_4)
	v_pk_fma_f16 v85, v2, v15, v85
	v_pk_fma_f16 v4, v3, v14, v4
	;; [unrolled: 1-line block ×5, first 2 shown]
	ds_load_2addr_b64 v[0:3], v5 offset0:128 offset1:160
	ds_load_b128 v[12:15], v71 offset:416
	s_wait_dscnt 0x0
	v_dual_lshrrev_b32 v89, 16, v12 :: v_dual_lshrrev_b32 v90, 16, v13
	v_and_b32_e32 v12, 0xffff, v12
	v_and_b32_e32 v13, 0xffff, v13
	s_delay_alu instid0(VALU_DEP_3) | instskip(NEXT) | instid1(VALU_DEP_4)
	v_mul_u32_u24_e32 v89, 0x10001, v89
	v_mul_u32_u24_e32 v90, 0x10001, v90
	s_delay_alu instid0(VALU_DEP_4) | instskip(NEXT) | instid1(VALU_DEP_4)
	v_mul_u32_u24_e32 v12, 0x10001, v12
	v_mul_u32_u24_e32 v13, 0x10001, v13
	s_delay_alu instid0(VALU_DEP_4) | instskip(NEXT) | instid1(VALU_DEP_3)
	v_pk_fma_f16 v83, v0, v89, v83
	v_pk_fma_f16 v84, v0, v12, v84
	s_delay_alu instid0(VALU_DEP_3)
	v_pk_fma_f16 v85, v0, v13, v85
	v_pk_fma_f16 v4, v1, v12, v4
	;; [unrolled: 1-line block ×5, first 2 shown]
	v_dual_lshrrev_b32 v13, 16, v14 :: v_dual_lshrrev_b32 v86, 16, v15
	v_and_b32_e32 v14, 0xffff, v14
	v_and_b32_e32 v15, 0xffff, v15
	v_pk_fma_f16 v0, v0, v90, v87
	s_delay_alu instid0(VALU_DEP_4) | instskip(SKIP_3) | instid1(VALU_DEP_4)
	v_mul_u32_u24_e32 v13, 0x10001, v13
	v_mul_u32_u24_e32 v86, 0x10001, v86
	;; [unrolled: 1-line block ×4, first 2 shown]
	v_pk_fma_f16 v83, v2, v13, v83
	s_delay_alu instid0(VALU_DEP_4) | instskip(NEXT) | instid1(VALU_DEP_4)
	v_pk_fma_f16 v87, v2, v86, v0
	v_pk_fma_f16 v84, v2, v14, v84
	s_delay_alu instid0(VALU_DEP_4)
	v_pk_fma_f16 v85, v2, v15, v85
	v_pk_fma_f16 v4, v3, v14, v4
	v_pk_fma_f16 v88, v3, v13, v12
	v_pk_fma_f16 v11, v3, v15, v11
	v_pk_fma_f16 v86, v3, v86, v1
	ds_load_2addr_b64 v[0:3], v5 offset0:192 offset1:224
	ds_load_b128 v[12:15], v71 offset:432
	s_wait_dscnt 0x0
	v_dual_lshrrev_b32 v89, 16, v12 :: v_dual_lshrrev_b32 v90, 16, v13
	v_and_b32_e32 v13, 0xffff, v13
	v_and_b32_e32 v12, 0xffff, v12
	s_delay_alu instid0(VALU_DEP_3) | instskip(NEXT) | instid1(VALU_DEP_4)
	v_mul_u32_u24_e32 v89, 0x10001, v89
	v_mul_u32_u24_e32 v90, 0x10001, v90
	s_delay_alu instid0(VALU_DEP_4) | instskip(NEXT) | instid1(VALU_DEP_4)
	v_mul_u32_u24_e32 v13, 0x10001, v13
	v_mul_u32_u24_e32 v12, 0x10001, v12
	s_delay_alu instid0(VALU_DEP_4) | instskip(NEXT) | instid1(VALU_DEP_3)
	v_pk_fma_f16 v83, v0, v89, v83
	v_pk_fma_f16 v85, v0, v13, v85
	;; [unrolled: 1-line block ×3, first 2 shown]
	v_lshrrev_b32_e32 v13, 16, v14
	v_and_b32_e32 v14, 0xffff, v14
	v_pk_fma_f16 v84, v0, v12, v84
	v_pk_fma_f16 v4, v1, v12, v4
	;; [unrolled: 1-line block ×4, first 2 shown]
	v_lshrrev_b32_e32 v86, 16, v15
	v_mul_u32_u24_e32 v14, 0x10001, v14
	v_and_b32_e32 v15, 0xffff, v15
	v_pk_fma_f16 v0, v0, v90, v87
	v_mul_u32_u24_e32 v13, 0x10001, v13
	v_mul_u32_u24_e32 v86, 0x10001, v86
	v_pk_fma_f16 v88, v3, v14, v4
	v_mul_u32_u24_e32 v15, 0x10001, v15
	v_add_nc_u32_e32 v4, 0x3800, v68
	v_pk_fma_f16 v84, v2, v14, v84
	v_pk_fma_f16 v83, v2, v13, v83
	;; [unrolled: 1-line block ×7, first 2 shown]
	ds_load_2addr_b64 v[0:3], v4 offset1:32
	ds_load_b128 v[12:15], v71 offset:448
	s_wait_dscnt 0x0
	v_dual_lshrrev_b32 v90, 16, v12 :: v_dual_lshrrev_b32 v91, 16, v13
	v_and_b32_e32 v12, 0xffff, v12
	v_and_b32_e32 v13, 0xffff, v13
	s_delay_alu instid0(VALU_DEP_3) | instskip(NEXT) | instid1(VALU_DEP_4)
	v_mul_u32_u24_e32 v90, 0x10001, v90
	v_mul_u32_u24_e32 v91, 0x10001, v91
	s_delay_alu instid0(VALU_DEP_4) | instskip(NEXT) | instid1(VALU_DEP_4)
	v_mul_u32_u24_e32 v12, 0x10001, v12
	v_mul_u32_u24_e32 v13, 0x10001, v13
	s_delay_alu instid0(VALU_DEP_4) | instskip(NEXT) | instid1(VALU_DEP_3)
	v_pk_fma_f16 v83, v0, v90, v83
	v_pk_fma_f16 v84, v0, v12, v84
	s_delay_alu instid0(VALU_DEP_3)
	v_pk_fma_f16 v85, v0, v13, v85
	v_pk_fma_f16 v0, v0, v91, v87
	;; [unrolled: 1-line block ×6, first 2 shown]
	v_dual_lshrrev_b32 v13, 16, v14 :: v_dual_lshrrev_b32 v86, 16, v15
	v_and_b32_e32 v14, 0xffff, v14
	v_and_b32_e32 v15, 0xffff, v15
	s_delay_alu instid0(VALU_DEP_3) | instskip(NEXT) | instid1(VALU_DEP_4)
	v_mul_u32_u24_e32 v13, 0x10001, v13
	v_mul_u32_u24_e32 v86, 0x10001, v86
	s_delay_alu instid0(VALU_DEP_4) | instskip(NEXT) | instid1(VALU_DEP_4)
	v_mul_u32_u24_e32 v14, 0x10001, v14
	v_mul_u32_u24_e32 v15, 0x10001, v15
	s_delay_alu instid0(VALU_DEP_4) | instskip(NEXT) | instid1(VALU_DEP_4)
	v_pk_fma_f16 v83, v2, v13, v83
	v_pk_fma_f16 v88, v2, v86, v0
	s_delay_alu instid0(VALU_DEP_4) | instskip(NEXT) | instid1(VALU_DEP_4)
	v_pk_fma_f16 v84, v2, v14, v84
	v_pk_fma_f16 v85, v2, v15, v85
	;; [unrolled: 1-line block ×6, first 2 shown]
	ds_load_2addr_b64 v[0:3], v4 offset0:64 offset1:96
	ds_load_b128 v[12:15], v71 offset:464
	s_wait_dscnt 0x0
	v_dual_lshrrev_b32 v90, 16, v12 :: v_dual_lshrrev_b32 v91, 16, v13
	v_and_b32_e32 v12, 0xffff, v12
	v_and_b32_e32 v13, 0xffff, v13
	s_delay_alu instid0(VALU_DEP_3) | instskip(NEXT) | instid1(VALU_DEP_4)
	v_mul_u32_u24_e32 v90, 0x10001, v90
	v_mul_u32_u24_e32 v91, 0x10001, v91
	s_delay_alu instid0(VALU_DEP_4) | instskip(NEXT) | instid1(VALU_DEP_4)
	v_mul_u32_u24_e32 v12, 0x10001, v12
	v_mul_u32_u24_e32 v13, 0x10001, v13
	s_delay_alu instid0(VALU_DEP_4) | instskip(SKIP_1) | instid1(VALU_DEP_4)
	v_pk_fma_f16 v87, v1, v90, v87
	v_pk_fma_f16 v83, v0, v90, v83
	v_pk_fma_f16 v84, v0, v12, v84
	s_delay_alu instid0(VALU_DEP_4)
	v_pk_fma_f16 v85, v0, v13, v85
	v_pk_fma_f16 v12, v1, v12, v89
	v_pk_fma_f16 v11, v1, v13, v11
	v_pk_fma_f16 v1, v1, v91, v86
	v_dual_lshrrev_b32 v13, 16, v14 :: v_dual_lshrrev_b32 v86, 16, v15
	v_and_b32_e32 v14, 0xffff, v14
	v_and_b32_e32 v15, 0xffff, v15
	v_pk_fma_f16 v0, v0, v91, v88
	s_delay_alu instid0(VALU_DEP_4) | instskip(SKIP_3) | instid1(VALU_DEP_4)
	v_mul_u32_u24_e32 v13, 0x10001, v13
	v_mul_u32_u24_e32 v86, 0x10001, v86
	;; [unrolled: 1-line block ×4, first 2 shown]
	v_pk_fma_f16 v83, v2, v13, v83
	s_delay_alu instid0(VALU_DEP_4) | instskip(NEXT) | instid1(VALU_DEP_4)
	v_pk_fma_f16 v88, v2, v86, v0
	v_pk_fma_f16 v84, v2, v14, v84
	s_delay_alu instid0(VALU_DEP_4)
	v_pk_fma_f16 v85, v2, v15, v85
	v_pk_fma_f16 v89, v3, v14, v12
	;; [unrolled: 1-line block ×5, first 2 shown]
	ds_load_2addr_b64 v[0:3], v4 offset0:128 offset1:160
	ds_load_b128 v[12:15], v71 offset:480
	s_wait_dscnt 0x0
	v_dual_lshrrev_b32 v90, 16, v12 :: v_dual_lshrrev_b32 v91, 16, v13
	v_and_b32_e32 v12, 0xffff, v12
	v_and_b32_e32 v13, 0xffff, v13
	s_delay_alu instid0(VALU_DEP_3) | instskip(NEXT) | instid1(VALU_DEP_4)
	v_mul_u32_u24_e32 v90, 0x10001, v90
	v_mul_u32_u24_e32 v91, 0x10001, v91
	s_delay_alu instid0(VALU_DEP_4) | instskip(NEXT) | instid1(VALU_DEP_4)
	v_mul_u32_u24_e32 v12, 0x10001, v12
	v_mul_u32_u24_e32 v13, 0x10001, v13
	s_delay_alu instid0(VALU_DEP_4) | instskip(SKIP_1) | instid1(VALU_DEP_4)
	v_pk_fma_f16 v87, v1, v90, v87
	v_pk_fma_f16 v83, v0, v90, v83
	;; [unrolled: 1-line block ×3, first 2 shown]
	s_delay_alu instid0(VALU_DEP_4)
	v_pk_fma_f16 v85, v0, v13, v85
	v_pk_fma_f16 v12, v1, v12, v89
	v_pk_fma_f16 v11, v1, v13, v11
	v_pk_fma_f16 v1, v1, v91, v86
	v_dual_lshrrev_b32 v13, 16, v14 :: v_dual_lshrrev_b32 v86, 16, v15
	v_and_b32_e32 v14, 0xffff, v14
	v_and_b32_e32 v15, 0xffff, v15
	v_pk_fma_f16 v0, v0, v91, v88
	s_delay_alu instid0(VALU_DEP_4) | instskip(SKIP_3) | instid1(VALU_DEP_4)
	v_mul_u32_u24_e32 v13, 0x10001, v13
	v_mul_u32_u24_e32 v86, 0x10001, v86
	v_mul_u32_u24_e32 v14, 0x10001, v14
	v_mul_u32_u24_e32 v15, 0x10001, v15
	v_pk_fma_f16 v83, v2, v13, v83
	s_delay_alu instid0(VALU_DEP_4) | instskip(NEXT) | instid1(VALU_DEP_4)
	v_pk_fma_f16 v88, v2, v86, v0
	v_pk_fma_f16 v84, v2, v14, v84
	s_delay_alu instid0(VALU_DEP_4)
	v_pk_fma_f16 v85, v2, v15, v85
	v_pk_fma_f16 v89, v3, v14, v12
	;; [unrolled: 1-line block ×5, first 2 shown]
	ds_load_2addr_b64 v[0:3], v4 offset0:192 offset1:224
	ds_load_b128 v[12:15], v71 offset:496
	s_wait_dscnt 0x0
	s_barrier_signal -1
	s_barrier_wait -1
	v_dual_lshrrev_b32 v90, 16, v12 :: v_dual_lshrrev_b32 v91, 16, v13
	v_and_b32_e32 v12, 0xffff, v12
	v_and_b32_e32 v13, 0xffff, v13
	s_delay_alu instid0(VALU_DEP_3) | instskip(NEXT) | instid1(VALU_DEP_4)
	v_mul_u32_u24_e32 v90, 0x10001, v90
	v_mul_u32_u24_e32 v91, 0x10001, v91
	s_delay_alu instid0(VALU_DEP_4) | instskip(NEXT) | instid1(VALU_DEP_4)
	v_mul_u32_u24_e32 v12, 0x10001, v12
	v_mul_u32_u24_e32 v13, 0x10001, v13
	s_delay_alu instid0(VALU_DEP_4) | instskip(SKIP_1) | instid1(VALU_DEP_4)
	v_pk_fma_f16 v83, v0, v90, v83
	v_pk_fma_f16 v87, v1, v90, v87
	;; [unrolled: 1-line block ×3, first 2 shown]
	s_delay_alu instid0(VALU_DEP_4)
	v_pk_fma_f16 v85, v0, v13, v85
	v_pk_fma_f16 v0, v0, v91, v88
	;; [unrolled: 1-line block ×4, first 2 shown]
	v_dual_lshrrev_b32 v11, 16, v14 :: v_dual_lshrrev_b32 v12, 16, v15
	v_pk_fma_f16 v1, v1, v91, v86
	v_and_b32_e32 v13, 0xffff, v14
	s_delay_alu instid0(VALU_DEP_3) | instskip(SKIP_2) | instid1(VALU_DEP_4)
	v_mul_u32_u24_e32 v90, 0x10001, v11
	v_and_b32_e32 v11, 0xffff, v15
	v_mul_u32_u24_e32 v92, 0x10001, v12
	v_mul_u32_u24_e32 v86, 0x10001, v13
	s_delay_alu instid0(VALU_DEP_4) | instskip(NEXT) | instid1(VALU_DEP_4)
	v_pk_fma_f16 v12, v2, v90, v83
	v_mul_u32_u24_e32 v91, 0x10001, v11
	s_delay_alu instid0(VALU_DEP_4) | instskip(NEXT) | instid1(VALU_DEP_4)
	v_pk_fma_f16 v14, v2, v92, v0
	v_pk_fma_f16 v11, v2, v86, v84
	;; [unrolled: 1-line block ×6, first 2 shown]
	v_add_nc_u64_e32 v[0:1], s[30:31], v[48:49]
	v_pk_fma_f16 v84, v3, v91, v89
	s_delay_alu instid0(VALU_DEP_2) | instskip(SKIP_4) | instid1(VALU_DEP_1)
	v_add_nc_u64_e32 v[0:1], v[0:1], v[26:27]
	global_load_b128 v[0:3], v[0:1], off
	s_wait_loadcnt 0x0
	ds_store_b128 v73, v[0:3]
	v_add_nc_u64_e32 v[0:1], s[30:31], v[52:53]
	v_add_nc_u64_e32 v[0:1], v[0:1], v[26:27]
	global_load_b128 v[0:3], v[0:1], off
	s_wait_loadcnt 0x0
	ds_store_b128 v77, v[0:3]
	v_add_nc_u64_e32 v[0:1], s[30:31], v[54:55]
	s_delay_alu instid0(VALU_DEP_1) | instskip(SKIP_4) | instid1(VALU_DEP_1)
	v_add_nc_u64_e32 v[0:1], v[0:1], v[26:27]
	global_load_b128 v[0:3], v[0:1], off
	s_wait_loadcnt 0x0
	ds_store_b128 v78, v[0:3]
	v_add_nc_u64_e32 v[0:1], s[30:31], v[56:57]
	v_add_nc_u64_e32 v[0:1], v[0:1], v[26:27]
	global_load_b128 v[0:3], v[0:1], off
	s_wait_loadcnt 0x0
	ds_store_b128 v79, v[0:3]
	s_wait_dscnt 0x0
	s_barrier_signal -1
	s_barrier_wait -1
	ds_load_2addr_b64 v[86:89], v68 offset1:32
	ds_load_b128 v[90:93], v71 offset:512
	ds_load_b128 v[94:97], v71 offset:528
	;; [unrolled: 1-line block ×4, first 2 shown]
	s_wait_dscnt 0x3
	v_dual_lshrrev_b32 v102, 16, v90 :: v_dual_lshrrev_b32 v103, 16, v91
	v_and_b32_e32 v90, 0xffff, v90
	v_and_b32_e32 v91, 0xffff, v91
	s_delay_alu instid0(VALU_DEP_3) | instskip(NEXT) | instid1(VALU_DEP_4)
	v_mul_u32_u24_e32 v102, 0x10001, v102
	v_mul_u32_u24_e32 v103, 0x10001, v103
	s_delay_alu instid0(VALU_DEP_4) | instskip(NEXT) | instid1(VALU_DEP_4)
	v_mul_u32_u24_e32 v90, 0x10001, v90
	v_mul_u32_u24_e32 v91, 0x10001, v91
	s_delay_alu instid0(VALU_DEP_4) | instskip(NEXT) | instid1(VALU_DEP_4)
	v_pk_fma_f16 v12, v86, v102, v12
	v_pk_fma_f16 v14, v86, v103, v14
	s_delay_alu instid0(VALU_DEP_4) | instskip(NEXT) | instid1(VALU_DEP_4)
	v_pk_fma_f16 v11, v86, v90, v11
	v_pk_fma_f16 v13, v86, v91, v13
	;; [unrolled: 1-line block ×6, first 2 shown]
	v_dual_lshrrev_b32 v86, 16, v92 :: v_dual_lshrrev_b32 v87, 16, v93
	v_and_b32_e32 v90, 0xffff, v92
	v_and_b32_e32 v91, 0xffff, v93
	s_delay_alu instid0(VALU_DEP_3) | instskip(NEXT) | instid1(VALU_DEP_4)
	v_mul_u32_u24_e32 v86, 0x10001, v86
	v_mul_u32_u24_e32 v87, 0x10001, v87
	s_delay_alu instid0(VALU_DEP_4) | instskip(NEXT) | instid1(VALU_DEP_4)
	v_mul_u32_u24_e32 v90, 0x10001, v90
	v_mul_u32_u24_e32 v91, 0x10001, v91
	s_delay_alu instid0(VALU_DEP_4) | instskip(SKIP_1) | instid1(VALU_DEP_4)
	v_pk_fma_f16 v92, v88, v86, v12
	v_pk_fma_f16 v83, v89, v86, v83
	;; [unrolled: 1-line block ×3, first 2 shown]
	s_delay_alu instid0(VALU_DEP_4)
	v_pk_fma_f16 v93, v88, v91, v13
	v_pk_fma_f16 v88, v88, v87, v14
	;; [unrolled: 1-line block ×3, first 2 shown]
	ds_load_2addr_b64 v[12:15], v68 offset0:64 offset1:96
	v_pk_fma_f16 v84, v89, v91, v84
	v_pk_fma_f16 v85, v89, v87, v85
	s_wait_dscnt 0x3
	v_dual_lshrrev_b32 v86, 16, v94 :: v_dual_lshrrev_b32 v87, 16, v95
	v_and_b32_e32 v89, 0xffff, v94
	v_and_b32_e32 v91, 0xffff, v95
	s_delay_alu instid0(VALU_DEP_3) | instskip(NEXT) | instid1(VALU_DEP_4)
	v_mul_u32_u24_e32 v86, 0x10001, v86
	v_mul_u32_u24_e32 v87, 0x10001, v87
	s_delay_alu instid0(VALU_DEP_4) | instskip(NEXT) | instid1(VALU_DEP_4)
	v_mul_u32_u24_e32 v89, 0x10001, v89
	v_mul_u32_u24_e32 v91, 0x10001, v91
	s_wait_dscnt 0x0
	s_delay_alu instid0(VALU_DEP_2) | instskip(SKIP_1) | instid1(VALU_DEP_3)
	v_pk_fma_f16 v11, v12, v89, v11
	v_pk_fma_f16 v92, v12, v86, v92
	;; [unrolled: 1-line block ×8, first 2 shown]
	v_dual_lshrrev_b32 v85, 16, v96 :: v_dual_lshrrev_b32 v86, 16, v97
	v_and_b32_e32 v87, 0xffff, v96
	v_and_b32_e32 v89, 0xffff, v97
	s_delay_alu instid0(VALU_DEP_3) | instskip(NEXT) | instid1(VALU_DEP_4)
	v_mul_u32_u24_e32 v85, 0x10001, v85
	v_mul_u32_u24_e32 v86, 0x10001, v86
	s_delay_alu instid0(VALU_DEP_4) | instskip(NEXT) | instid1(VALU_DEP_4)
	v_mul_u32_u24_e32 v87, 0x10001, v87
	v_mul_u32_u24_e32 v89, 0x10001, v89
	s_delay_alu instid0(VALU_DEP_4) | instskip(NEXT) | instid1(VALU_DEP_4)
	v_pk_fma_f16 v90, v14, v85, v92
	v_pk_fma_f16 v92, v14, v86, v12
	s_delay_alu instid0(VALU_DEP_4) | instskip(NEXT) | instid1(VALU_DEP_4)
	v_pk_fma_f16 v11, v14, v87, v11
	v_pk_fma_f16 v91, v14, v89, v93
	v_pk_fma_f16 v87, v15, v87, v88
	v_pk_fma_f16 v83, v15, v85, v83
	v_pk_fma_f16 v84, v15, v89, v84
	v_pk_fma_f16 v85, v15, v86, v13
	ds_load_2addr_b64 v[12:15], v68 offset0:128 offset1:160
	v_dual_lshrrev_b32 v86, 16, v98 :: v_dual_lshrrev_b32 v88, 16, v99
	v_and_b32_e32 v89, 0xffff, v98
	v_and_b32_e32 v93, 0xffff, v99
	s_delay_alu instid0(VALU_DEP_3) | instskip(NEXT) | instid1(VALU_DEP_4)
	v_mul_u32_u24_e32 v86, 0x10001, v86
	v_mul_u32_u24_e32 v88, 0x10001, v88
	s_delay_alu instid0(VALU_DEP_4) | instskip(NEXT) | instid1(VALU_DEP_4)
	v_mul_u32_u24_e32 v89, 0x10001, v89
	v_mul_u32_u24_e32 v93, 0x10001, v93
	s_wait_dscnt 0x0
	s_delay_alu instid0(VALU_DEP_2) | instskip(SKIP_1) | instid1(VALU_DEP_3)
	v_pk_fma_f16 v11, v12, v89, v11
	v_pk_fma_f16 v90, v12, v86, v90
	;; [unrolled: 1-line block ×8, first 2 shown]
	v_dual_lshrrev_b32 v85, 16, v100 :: v_dual_lshrrev_b32 v86, 16, v101
	v_and_b32_e32 v88, 0xffff, v100
	v_and_b32_e32 v89, 0xffff, v101
	s_delay_alu instid0(VALU_DEP_3) | instskip(NEXT) | instid1(VALU_DEP_4)
	v_mul_u32_u24_e32 v85, 0x10001, v85
	v_mul_u32_u24_e32 v86, 0x10001, v86
	s_delay_alu instid0(VALU_DEP_4) | instskip(NEXT) | instid1(VALU_DEP_4)
	v_mul_u32_u24_e32 v88, 0x10001, v88
	v_mul_u32_u24_e32 v89, 0x10001, v89
	s_delay_alu instid0(VALU_DEP_4) | instskip(NEXT) | instid1(VALU_DEP_4)
	v_pk_fma_f16 v90, v14, v85, v90
	v_pk_fma_f16 v92, v14, v86, v12
	s_delay_alu instid0(VALU_DEP_4) | instskip(NEXT) | instid1(VALU_DEP_4)
	v_pk_fma_f16 v11, v14, v88, v11
	v_pk_fma_f16 v91, v14, v89, v91
	v_pk_fma_f16 v87, v15, v88, v87
	v_pk_fma_f16 v83, v15, v85, v83
	v_pk_fma_f16 v84, v15, v89, v84
	v_pk_fma_f16 v85, v15, v86, v13
	ds_load_2addr_b64 v[12:15], v68 offset0:192 offset1:224
	v_dual_lshrrev_b32 v86, 16, v0 :: v_dual_lshrrev_b32 v88, 16, v1
	v_and_b32_e32 v0, 0xffff, v0
	v_and_b32_e32 v1, 0xffff, v1
	s_delay_alu instid0(VALU_DEP_3) | instskip(NEXT) | instid1(VALU_DEP_4)
	v_mul_u32_u24_e32 v86, 0x10001, v86
	v_mul_u32_u24_e32 v88, 0x10001, v88
	s_delay_alu instid0(VALU_DEP_4) | instskip(NEXT) | instid1(VALU_DEP_4)
	v_mul_u32_u24_e32 v0, 0x10001, v0
	v_mul_u32_u24_e32 v1, 0x10001, v1
	s_wait_dscnt 0x0
	s_delay_alu instid0(VALU_DEP_2) | instskip(SKIP_1) | instid1(VALU_DEP_3)
	v_pk_fma_f16 v11, v12, v0, v11
	v_pk_fma_f16 v89, v12, v86, v90
	;; [unrolled: 1-line block ×7, first 2 shown]
	v_dual_lshrrev_b32 v84, 16, v2 :: v_dual_lshrrev_b32 v85, 16, v3
	v_and_b32_e32 v2, 0xffff, v2
	v_and_b32_e32 v3, 0xffff, v3
	v_pk_fma_f16 v12, v12, v88, v92
	s_delay_alu instid0(VALU_DEP_4) | instskip(SKIP_3) | instid1(VALU_DEP_4)
	v_mul_u32_u24_e32 v84, 0x10001, v84
	v_mul_u32_u24_e32 v85, 0x10001, v85
	;; [unrolled: 1-line block ×4, first 2 shown]
	v_pk_fma_f16 v86, v14, v84, v89
	s_delay_alu instid0(VALU_DEP_4) | instskip(NEXT) | instid1(VALU_DEP_4)
	v_pk_fma_f16 v88, v14, v85, v12
	v_pk_fma_f16 v11, v14, v2, v11
	s_delay_alu instid0(VALU_DEP_4)
	v_pk_fma_f16 v87, v14, v3, v90
	v_pk_fma_f16 v89, v15, v2, v0
	;; [unrolled: 1-line block ×5, first 2 shown]
	ds_load_2addr_b64 v[0:3], v6 offset1:32
	ds_load_b128 v[12:15], v71 offset:576
	s_wait_dscnt 0x0
	v_dual_lshrrev_b32 v90, 16, v12 :: v_dual_lshrrev_b32 v91, 16, v13
	v_and_b32_e32 v12, 0xffff, v12
	v_and_b32_e32 v13, 0xffff, v13
	s_delay_alu instid0(VALU_DEP_3) | instskip(NEXT) | instid1(VALU_DEP_4)
	v_mul_u32_u24_e32 v90, 0x10001, v90
	v_mul_u32_u24_e32 v91, 0x10001, v91
	s_delay_alu instid0(VALU_DEP_4) | instskip(NEXT) | instid1(VALU_DEP_4)
	v_mul_u32_u24_e32 v12, 0x10001, v12
	v_mul_u32_u24_e32 v13, 0x10001, v13
	s_delay_alu instid0(VALU_DEP_4) | instskip(SKIP_1) | instid1(VALU_DEP_4)
	v_pk_fma_f16 v83, v1, v90, v83
	v_pk_fma_f16 v86, v0, v90, v86
	v_pk_fma_f16 v11, v0, v12, v11
	s_delay_alu instid0(VALU_DEP_4)
	v_pk_fma_f16 v87, v0, v13, v87
	v_pk_fma_f16 v12, v1, v12, v89
	v_pk_fma_f16 v13, v1, v13, v84
	v_pk_fma_f16 v1, v1, v91, v85
	v_dual_lshrrev_b32 v84, 16, v14 :: v_dual_lshrrev_b32 v85, 16, v15
	v_and_b32_e32 v14, 0xffff, v14
	v_and_b32_e32 v15, 0xffff, v15
	v_pk_fma_f16 v0, v0, v91, v88
	s_delay_alu instid0(VALU_DEP_4) | instskip(SKIP_3) | instid1(VALU_DEP_4)
	v_mul_u32_u24_e32 v84, 0x10001, v84
	v_mul_u32_u24_e32 v85, 0x10001, v85
	v_mul_u32_u24_e32 v14, 0x10001, v14
	v_mul_u32_u24_e32 v15, 0x10001, v15
	v_pk_fma_f16 v86, v2, v84, v86
	s_delay_alu instid0(VALU_DEP_4) | instskip(NEXT) | instid1(VALU_DEP_4)
	v_pk_fma_f16 v88, v2, v85, v0
	v_pk_fma_f16 v11, v2, v14, v11
	s_delay_alu instid0(VALU_DEP_4)
	v_pk_fma_f16 v87, v2, v15, v87
	v_pk_fma_f16 v89, v3, v14, v12
	v_pk_fma_f16 v83, v3, v84, v83
	v_pk_fma_f16 v84, v3, v15, v13
	v_pk_fma_f16 v85, v3, v85, v1
	ds_load_2addr_b64 v[0:3], v6 offset0:64 offset1:96
	ds_load_b128 v[12:15], v71 offset:592
	s_wait_dscnt 0x0
	v_dual_lshrrev_b32 v90, 16, v12 :: v_dual_lshrrev_b32 v91, 16, v13
	v_and_b32_e32 v12, 0xffff, v12
	v_and_b32_e32 v13, 0xffff, v13
	s_delay_alu instid0(VALU_DEP_3) | instskip(NEXT) | instid1(VALU_DEP_4)
	v_mul_u32_u24_e32 v90, 0x10001, v90
	v_mul_u32_u24_e32 v91, 0x10001, v91
	s_delay_alu instid0(VALU_DEP_4) | instskip(NEXT) | instid1(VALU_DEP_4)
	v_mul_u32_u24_e32 v12, 0x10001, v12
	v_mul_u32_u24_e32 v13, 0x10001, v13
	s_delay_alu instid0(VALU_DEP_4) | instskip(SKIP_1) | instid1(VALU_DEP_4)
	v_pk_fma_f16 v83, v1, v90, v83
	v_pk_fma_f16 v86, v0, v90, v86
	v_pk_fma_f16 v11, v0, v12, v11
	s_delay_alu instid0(VALU_DEP_4)
	v_pk_fma_f16 v87, v0, v13, v87
	v_pk_fma_f16 v12, v1, v12, v89
	v_pk_fma_f16 v13, v1, v13, v84
	v_pk_fma_f16 v1, v1, v91, v85
	v_dual_lshrrev_b32 v84, 16, v14 :: v_dual_lshrrev_b32 v85, 16, v15
	v_and_b32_e32 v14, 0xffff, v14
	v_and_b32_e32 v15, 0xffff, v15
	v_pk_fma_f16 v0, v0, v91, v88
	s_delay_alu instid0(VALU_DEP_4) | instskip(SKIP_3) | instid1(VALU_DEP_4)
	v_mul_u32_u24_e32 v84, 0x10001, v84
	v_mul_u32_u24_e32 v85, 0x10001, v85
	v_mul_u32_u24_e32 v14, 0x10001, v14
	v_mul_u32_u24_e32 v15, 0x10001, v15
	v_pk_fma_f16 v86, v2, v84, v86
	s_delay_alu instid0(VALU_DEP_4) | instskip(NEXT) | instid1(VALU_DEP_4)
	v_pk_fma_f16 v88, v2, v85, v0
	v_pk_fma_f16 v11, v2, v14, v11
	s_delay_alu instid0(VALU_DEP_4)
	v_pk_fma_f16 v87, v2, v15, v87
	v_pk_fma_f16 v89, v3, v14, v12
	v_pk_fma_f16 v83, v3, v84, v83
	v_pk_fma_f16 v84, v3, v15, v13
	v_pk_fma_f16 v85, v3, v85, v1
	ds_load_2addr_b64 v[0:3], v6 offset0:128 offset1:160
	;; [unrolled: 40-line block ×3, first 2 shown]
	ds_load_b128 v[12:15], v71 offset:624
	s_wait_dscnt 0x0
	v_dual_lshrrev_b32 v6, 16, v12 :: v_dual_lshrrev_b32 v90, 16, v13
	v_and_b32_e32 v13, 0xffff, v13
	v_and_b32_e32 v12, 0xffff, v12
	s_delay_alu instid0(VALU_DEP_3) | instskip(NEXT) | instid1(VALU_DEP_4)
	v_mul_u32_u24_e32 v6, 0x10001, v6
	v_mul_u32_u24_e32 v90, 0x10001, v90
	s_delay_alu instid0(VALU_DEP_4) | instskip(NEXT) | instid1(VALU_DEP_4)
	v_mul_u32_u24_e32 v13, 0x10001, v13
	v_mul_u32_u24_e32 v12, 0x10001, v12
	s_delay_alu instid0(VALU_DEP_4) | instskip(SKIP_1) | instid1(VALU_DEP_4)
	v_pk_fma_f16 v86, v0, v6, v86
	v_pk_fma_f16 v6, v1, v6, v83
	;; [unrolled: 1-line block ×4, first 2 shown]
	v_dual_lshrrev_b32 v83, 16, v14 :: v_dual_lshrrev_b32 v84, 16, v15
	v_and_b32_e32 v14, 0xffff, v14
	v_and_b32_e32 v15, 0xffff, v15
	v_pk_fma_f16 v11, v0, v12, v11
	v_pk_fma_f16 v0, v0, v90, v88
	;; [unrolled: 1-line block ×4, first 2 shown]
	v_mul_u32_u24_e32 v14, 0x10001, v14
	v_mul_u32_u24_e32 v83, 0x10001, v83
	;; [unrolled: 1-line block ×4, first 2 shown]
	s_delay_alu instid0(VALU_DEP_4) | instskip(NEXT) | instid1(VALU_DEP_4)
	v_pk_fma_f16 v11, v2, v14, v11
	v_pk_fma_f16 v85, v2, v83, v86
	s_delay_alu instid0(VALU_DEP_4) | instskip(NEXT) | instid1(VALU_DEP_4)
	v_pk_fma_f16 v86, v2, v15, v87
	v_pk_fma_f16 v87, v2, v84, v0
	;; [unrolled: 1-line block ×6, first 2 shown]
	ds_load_2addr_b64 v[0:3], v7 offset1:32
	ds_load_b128 v[12:15], v71 offset:640
	s_wait_dscnt 0x0
	v_dual_lshrrev_b32 v89, 16, v12 :: v_dual_lshrrev_b32 v90, 16, v13
	v_and_b32_e32 v12, 0xffff, v12
	v_and_b32_e32 v13, 0xffff, v13
	s_delay_alu instid0(VALU_DEP_3) | instskip(NEXT) | instid1(VALU_DEP_4)
	v_mul_u32_u24_e32 v89, 0x10001, v89
	v_mul_u32_u24_e32 v90, 0x10001, v90
	s_delay_alu instid0(VALU_DEP_4) | instskip(NEXT) | instid1(VALU_DEP_4)
	v_mul_u32_u24_e32 v12, 0x10001, v12
	v_mul_u32_u24_e32 v13, 0x10001, v13
	s_delay_alu instid0(VALU_DEP_4) | instskip(SKIP_1) | instid1(VALU_DEP_4)
	v_pk_fma_f16 v6, v1, v89, v6
	v_pk_fma_f16 v85, v0, v89, v85
	v_pk_fma_f16 v11, v0, v12, v11
	s_delay_alu instid0(VALU_DEP_4)
	v_pk_fma_f16 v86, v0, v13, v86
	v_pk_fma_f16 v12, v1, v12, v88
	v_pk_fma_f16 v13, v1, v13, v83
	v_pk_fma_f16 v1, v1, v90, v84
	v_dual_lshrrev_b32 v83, 16, v14 :: v_dual_lshrrev_b32 v84, 16, v15
	v_and_b32_e32 v14, 0xffff, v14
	v_and_b32_e32 v15, 0xffff, v15
	v_pk_fma_f16 v0, v0, v90, v87
	s_delay_alu instid0(VALU_DEP_4) | instskip(SKIP_3) | instid1(VALU_DEP_4)
	v_mul_u32_u24_e32 v83, 0x10001, v83
	v_mul_u32_u24_e32 v84, 0x10001, v84
	v_mul_u32_u24_e32 v14, 0x10001, v14
	v_mul_u32_u24_e32 v15, 0x10001, v15
	v_pk_fma_f16 v85, v2, v83, v85
	s_delay_alu instid0(VALU_DEP_4) | instskip(NEXT) | instid1(VALU_DEP_4)
	v_pk_fma_f16 v87, v2, v84, v0
	v_pk_fma_f16 v11, v2, v14, v11
	s_delay_alu instid0(VALU_DEP_4)
	v_pk_fma_f16 v86, v2, v15, v86
	v_pk_fma_f16 v88, v3, v14, v12
	v_pk_fma_f16 v6, v3, v83, v6
	v_pk_fma_f16 v83, v3, v15, v13
	v_pk_fma_f16 v84, v3, v84, v1
	ds_load_2addr_b64 v[0:3], v7 offset0:64 offset1:96
	ds_load_b128 v[12:15], v71 offset:656
	s_wait_dscnt 0x0
	v_dual_lshrrev_b32 v89, 16, v12 :: v_dual_lshrrev_b32 v90, 16, v13
	v_and_b32_e32 v12, 0xffff, v12
	v_and_b32_e32 v13, 0xffff, v13
	s_delay_alu instid0(VALU_DEP_3) | instskip(NEXT) | instid1(VALU_DEP_4)
	v_mul_u32_u24_e32 v89, 0x10001, v89
	v_mul_u32_u24_e32 v90, 0x10001, v90
	s_delay_alu instid0(VALU_DEP_4) | instskip(NEXT) | instid1(VALU_DEP_4)
	v_mul_u32_u24_e32 v12, 0x10001, v12
	v_mul_u32_u24_e32 v13, 0x10001, v13
	s_delay_alu instid0(VALU_DEP_4) | instskip(SKIP_1) | instid1(VALU_DEP_4)
	v_pk_fma_f16 v6, v1, v89, v6
	v_pk_fma_f16 v85, v0, v89, v85
	v_pk_fma_f16 v11, v0, v12, v11
	s_delay_alu instid0(VALU_DEP_4)
	v_pk_fma_f16 v86, v0, v13, v86
	v_pk_fma_f16 v12, v1, v12, v88
	v_pk_fma_f16 v13, v1, v13, v83
	v_pk_fma_f16 v1, v1, v90, v84
	v_dual_lshrrev_b32 v83, 16, v14 :: v_dual_lshrrev_b32 v84, 16, v15
	v_and_b32_e32 v14, 0xffff, v14
	v_and_b32_e32 v15, 0xffff, v15
	v_pk_fma_f16 v0, v0, v90, v87
	s_delay_alu instid0(VALU_DEP_4) | instskip(SKIP_3) | instid1(VALU_DEP_4)
	v_mul_u32_u24_e32 v83, 0x10001, v83
	v_mul_u32_u24_e32 v84, 0x10001, v84
	v_mul_u32_u24_e32 v14, 0x10001, v14
	v_mul_u32_u24_e32 v15, 0x10001, v15
	v_pk_fma_f16 v85, v2, v83, v85
	s_delay_alu instid0(VALU_DEP_4) | instskip(NEXT) | instid1(VALU_DEP_4)
	v_pk_fma_f16 v87, v2, v84, v0
	v_pk_fma_f16 v11, v2, v14, v11
	s_delay_alu instid0(VALU_DEP_4)
	v_pk_fma_f16 v86, v2, v15, v86
	v_pk_fma_f16 v88, v3, v14, v12
	v_pk_fma_f16 v6, v3, v83, v6
	v_pk_fma_f16 v83, v3, v15, v13
	v_pk_fma_f16 v84, v3, v84, v1
	ds_load_2addr_b64 v[0:3], v7 offset0:128 offset1:160
	;; [unrolled: 40-line block ×3, first 2 shown]
	ds_load_b128 v[12:15], v71 offset:688
	s_wait_dscnt 0x0
	v_dual_lshrrev_b32 v7, 16, v12 :: v_dual_lshrrev_b32 v89, 16, v13
	v_and_b32_e32 v13, 0xffff, v13
	v_and_b32_e32 v12, 0xffff, v12
	s_delay_alu instid0(VALU_DEP_3) | instskip(NEXT) | instid1(VALU_DEP_4)
	v_mul_u32_u24_e32 v7, 0x10001, v7
	v_mul_u32_u24_e32 v89, 0x10001, v89
	s_delay_alu instid0(VALU_DEP_4) | instskip(NEXT) | instid1(VALU_DEP_4)
	v_mul_u32_u24_e32 v13, 0x10001, v13
	v_mul_u32_u24_e32 v12, 0x10001, v12
	s_delay_alu instid0(VALU_DEP_4) | instskip(SKIP_1) | instid1(VALU_DEP_4)
	v_pk_fma_f16 v85, v0, v7, v85
	v_pk_fma_f16 v6, v1, v7, v6
	;; [unrolled: 1-line block ×4, first 2 shown]
	v_dual_lshrrev_b32 v13, 16, v14 :: v_dual_lshrrev_b32 v83, 16, v15
	v_and_b32_e32 v14, 0xffff, v14
	v_and_b32_e32 v15, 0xffff, v15
	v_pk_fma_f16 v11, v0, v12, v11
	v_pk_fma_f16 v0, v0, v89, v87
	;; [unrolled: 1-line block ×4, first 2 shown]
	v_mul_u32_u24_e32 v14, 0x10001, v14
	v_mul_u32_u24_e32 v13, 0x10001, v13
	;; [unrolled: 1-line block ×4, first 2 shown]
	s_delay_alu instid0(VALU_DEP_4) | instskip(NEXT) | instid1(VALU_DEP_4)
	v_pk_fma_f16 v11, v2, v14, v11
	v_pk_fma_f16 v84, v2, v13, v85
	s_delay_alu instid0(VALU_DEP_4) | instskip(NEXT) | instid1(VALU_DEP_4)
	v_pk_fma_f16 v85, v2, v15, v86
	v_pk_fma_f16 v86, v2, v83, v0
	;; [unrolled: 1-line block ×6, first 2 shown]
	ds_load_2addr_b64 v[0:3], v8 offset1:32
	ds_load_b128 v[12:15], v71 offset:704
	s_wait_dscnt 0x0
	v_dual_lshrrev_b32 v88, 16, v12 :: v_dual_lshrrev_b32 v89, 16, v13
	v_and_b32_e32 v12, 0xffff, v12
	v_and_b32_e32 v13, 0xffff, v13
	s_delay_alu instid0(VALU_DEP_3) | instskip(NEXT) | instid1(VALU_DEP_4)
	v_mul_u32_u24_e32 v88, 0x10001, v88
	v_mul_u32_u24_e32 v89, 0x10001, v89
	s_delay_alu instid0(VALU_DEP_4) | instskip(NEXT) | instid1(VALU_DEP_4)
	v_mul_u32_u24_e32 v12, 0x10001, v12
	v_mul_u32_u24_e32 v13, 0x10001, v13
	s_delay_alu instid0(VALU_DEP_4) | instskip(SKIP_1) | instid1(VALU_DEP_4)
	v_pk_fma_f16 v6, v1, v88, v6
	v_pk_fma_f16 v84, v0, v88, v84
	v_pk_fma_f16 v11, v0, v12, v11
	s_delay_alu instid0(VALU_DEP_4)
	v_pk_fma_f16 v85, v0, v13, v85
	v_pk_fma_f16 v12, v1, v12, v87
	v_pk_fma_f16 v7, v1, v13, v7
	v_pk_fma_f16 v1, v1, v89, v83
	v_dual_lshrrev_b32 v13, 16, v14 :: v_dual_lshrrev_b32 v83, 16, v15
	v_and_b32_e32 v14, 0xffff, v14
	v_and_b32_e32 v15, 0xffff, v15
	v_pk_fma_f16 v0, v0, v89, v86
	s_delay_alu instid0(VALU_DEP_4) | instskip(SKIP_3) | instid1(VALU_DEP_4)
	v_mul_u32_u24_e32 v13, 0x10001, v13
	v_mul_u32_u24_e32 v83, 0x10001, v83
	v_mul_u32_u24_e32 v14, 0x10001, v14
	v_mul_u32_u24_e32 v15, 0x10001, v15
	v_pk_fma_f16 v84, v2, v13, v84
	s_delay_alu instid0(VALU_DEP_4) | instskip(NEXT) | instid1(VALU_DEP_4)
	v_pk_fma_f16 v86, v2, v83, v0
	v_pk_fma_f16 v11, v2, v14, v11
	s_delay_alu instid0(VALU_DEP_4)
	v_pk_fma_f16 v85, v2, v15, v85
	v_pk_fma_f16 v87, v3, v14, v12
	v_pk_fma_f16 v6, v3, v13, v6
	v_pk_fma_f16 v7, v3, v15, v7
	v_pk_fma_f16 v83, v3, v83, v1
	ds_load_2addr_b64 v[0:3], v8 offset0:64 offset1:96
	ds_load_b128 v[12:15], v71 offset:720
	s_wait_dscnt 0x0
	v_dual_lshrrev_b32 v88, 16, v12 :: v_dual_lshrrev_b32 v89, 16, v13
	v_and_b32_e32 v12, 0xffff, v12
	v_and_b32_e32 v13, 0xffff, v13
	s_delay_alu instid0(VALU_DEP_3) | instskip(NEXT) | instid1(VALU_DEP_4)
	v_mul_u32_u24_e32 v88, 0x10001, v88
	v_mul_u32_u24_e32 v89, 0x10001, v89
	s_delay_alu instid0(VALU_DEP_4) | instskip(NEXT) | instid1(VALU_DEP_4)
	v_mul_u32_u24_e32 v12, 0x10001, v12
	v_mul_u32_u24_e32 v13, 0x10001, v13
	s_delay_alu instid0(VALU_DEP_4) | instskip(SKIP_1) | instid1(VALU_DEP_4)
	v_pk_fma_f16 v6, v1, v88, v6
	v_pk_fma_f16 v84, v0, v88, v84
	v_pk_fma_f16 v11, v0, v12, v11
	s_delay_alu instid0(VALU_DEP_4)
	v_pk_fma_f16 v85, v0, v13, v85
	v_pk_fma_f16 v12, v1, v12, v87
	v_pk_fma_f16 v7, v1, v13, v7
	v_pk_fma_f16 v1, v1, v89, v83
	v_dual_lshrrev_b32 v13, 16, v14 :: v_dual_lshrrev_b32 v83, 16, v15
	v_and_b32_e32 v14, 0xffff, v14
	v_and_b32_e32 v15, 0xffff, v15
	v_pk_fma_f16 v0, v0, v89, v86
	s_delay_alu instid0(VALU_DEP_4) | instskip(SKIP_3) | instid1(VALU_DEP_4)
	v_mul_u32_u24_e32 v13, 0x10001, v13
	v_mul_u32_u24_e32 v83, 0x10001, v83
	v_mul_u32_u24_e32 v14, 0x10001, v14
	v_mul_u32_u24_e32 v15, 0x10001, v15
	v_pk_fma_f16 v84, v2, v13, v84
	s_delay_alu instid0(VALU_DEP_4) | instskip(NEXT) | instid1(VALU_DEP_4)
	v_pk_fma_f16 v86, v2, v83, v0
	v_pk_fma_f16 v11, v2, v14, v11
	s_delay_alu instid0(VALU_DEP_4)
	v_pk_fma_f16 v85, v2, v15, v85
	v_pk_fma_f16 v87, v3, v14, v12
	v_pk_fma_f16 v6, v3, v13, v6
	v_pk_fma_f16 v7, v3, v15, v7
	v_pk_fma_f16 v83, v3, v83, v1
	ds_load_2addr_b64 v[0:3], v8 offset0:128 offset1:160
	;; [unrolled: 40-line block ×3, first 2 shown]
	ds_load_b128 v[12:15], v71 offset:752
	s_wait_dscnt 0x0
	v_dual_lshrrev_b32 v8, 16, v12 :: v_dual_lshrrev_b32 v88, 16, v13
	v_and_b32_e32 v13, 0xffff, v13
	v_and_b32_e32 v12, 0xffff, v12
	s_delay_alu instid0(VALU_DEP_3) | instskip(NEXT) | instid1(VALU_DEP_4)
	v_mul_u32_u24_e32 v8, 0x10001, v8
	v_mul_u32_u24_e32 v88, 0x10001, v88
	s_delay_alu instid0(VALU_DEP_4) | instskip(NEXT) | instid1(VALU_DEP_4)
	v_mul_u32_u24_e32 v13, 0x10001, v13
	v_mul_u32_u24_e32 v12, 0x10001, v12
	s_delay_alu instid0(VALU_DEP_4) | instskip(SKIP_1) | instid1(VALU_DEP_4)
	v_pk_fma_f16 v84, v0, v8, v84
	v_pk_fma_f16 v6, v1, v8, v6
	;; [unrolled: 1-line block ×4, first 2 shown]
	v_dual_lshrrev_b32 v8, 16, v14 :: v_dual_lshrrev_b32 v13, 16, v15
	v_and_b32_e32 v14, 0xffff, v14
	v_and_b32_e32 v15, 0xffff, v15
	v_pk_fma_f16 v11, v0, v12, v11
	v_pk_fma_f16 v0, v0, v88, v86
	;; [unrolled: 1-line block ×4, first 2 shown]
	v_mul_u32_u24_e32 v14, 0x10001, v14
	v_mul_u32_u24_e32 v8, 0x10001, v8
	v_mul_u32_u24_e32 v15, 0x10001, v15
	v_mul_u32_u24_e32 v13, 0x10001, v13
	s_delay_alu instid0(VALU_DEP_4) | instskip(NEXT) | instid1(VALU_DEP_4)
	v_pk_fma_f16 v11, v2, v14, v11
	v_pk_fma_f16 v83, v2, v8, v84
	s_delay_alu instid0(VALU_DEP_4) | instskip(NEXT) | instid1(VALU_DEP_4)
	v_pk_fma_f16 v84, v2, v15, v85
	v_pk_fma_f16 v85, v2, v13, v0
	v_pk_fma_f16 v86, v3, v14, v12
	v_pk_fma_f16 v6, v3, v8, v6
	v_pk_fma_f16 v7, v3, v15, v7
	v_pk_fma_f16 v8, v3, v13, v1
	ds_load_2addr_b64 v[0:3], v9 offset1:32
	ds_load_b128 v[12:15], v71 offset:768
	s_wait_dscnt 0x0
	v_dual_lshrrev_b32 v87, 16, v12 :: v_dual_lshrrev_b32 v88, 16, v13
	v_and_b32_e32 v12, 0xffff, v12
	v_and_b32_e32 v13, 0xffff, v13
	s_delay_alu instid0(VALU_DEP_3) | instskip(NEXT) | instid1(VALU_DEP_4)
	v_mul_u32_u24_e32 v87, 0x10001, v87
	v_mul_u32_u24_e32 v88, 0x10001, v88
	s_delay_alu instid0(VALU_DEP_4) | instskip(NEXT) | instid1(VALU_DEP_4)
	v_mul_u32_u24_e32 v12, 0x10001, v12
	v_mul_u32_u24_e32 v13, 0x10001, v13
	s_delay_alu instid0(VALU_DEP_4) | instskip(SKIP_1) | instid1(VALU_DEP_4)
	v_pk_fma_f16 v6, v1, v87, v6
	v_pk_fma_f16 v83, v0, v87, v83
	v_pk_fma_f16 v11, v0, v12, v11
	s_delay_alu instid0(VALU_DEP_4)
	v_pk_fma_f16 v84, v0, v13, v84
	v_pk_fma_f16 v12, v1, v12, v86
	v_pk_fma_f16 v7, v1, v13, v7
	v_pk_fma_f16 v1, v1, v88, v8
	v_dual_lshrrev_b32 v8, 16, v14 :: v_dual_lshrrev_b32 v13, 16, v15
	v_and_b32_e32 v14, 0xffff, v14
	v_and_b32_e32 v15, 0xffff, v15
	v_pk_fma_f16 v0, v0, v88, v85
	s_delay_alu instid0(VALU_DEP_4) | instskip(SKIP_3) | instid1(VALU_DEP_4)
	v_mul_u32_u24_e32 v8, 0x10001, v8
	v_mul_u32_u24_e32 v13, 0x10001, v13
	v_mul_u32_u24_e32 v14, 0x10001, v14
	v_mul_u32_u24_e32 v15, 0x10001, v15
	v_pk_fma_f16 v83, v2, v8, v83
	s_delay_alu instid0(VALU_DEP_4) | instskip(NEXT) | instid1(VALU_DEP_4)
	v_pk_fma_f16 v85, v2, v13, v0
	v_pk_fma_f16 v11, v2, v14, v11
	s_delay_alu instid0(VALU_DEP_4)
	v_pk_fma_f16 v84, v2, v15, v84
	v_pk_fma_f16 v86, v3, v14, v12
	v_pk_fma_f16 v6, v3, v8, v6
	v_pk_fma_f16 v7, v3, v15, v7
	v_pk_fma_f16 v8, v3, v13, v1
	ds_load_2addr_b64 v[0:3], v9 offset0:64 offset1:96
	ds_load_b128 v[12:15], v71 offset:784
	s_wait_dscnt 0x0
	v_dual_lshrrev_b32 v87, 16, v12 :: v_dual_lshrrev_b32 v88, 16, v13
	v_and_b32_e32 v12, 0xffff, v12
	v_and_b32_e32 v13, 0xffff, v13
	s_delay_alu instid0(VALU_DEP_3) | instskip(NEXT) | instid1(VALU_DEP_4)
	v_mul_u32_u24_e32 v87, 0x10001, v87
	v_mul_u32_u24_e32 v88, 0x10001, v88
	s_delay_alu instid0(VALU_DEP_4) | instskip(NEXT) | instid1(VALU_DEP_4)
	v_mul_u32_u24_e32 v12, 0x10001, v12
	v_mul_u32_u24_e32 v13, 0x10001, v13
	s_delay_alu instid0(VALU_DEP_4) | instskip(SKIP_1) | instid1(VALU_DEP_4)
	v_pk_fma_f16 v6, v1, v87, v6
	v_pk_fma_f16 v83, v0, v87, v83
	v_pk_fma_f16 v11, v0, v12, v11
	s_delay_alu instid0(VALU_DEP_4)
	v_pk_fma_f16 v84, v0, v13, v84
	v_pk_fma_f16 v12, v1, v12, v86
	v_pk_fma_f16 v7, v1, v13, v7
	v_pk_fma_f16 v1, v1, v88, v8
	v_dual_lshrrev_b32 v8, 16, v14 :: v_dual_lshrrev_b32 v13, 16, v15
	v_and_b32_e32 v14, 0xffff, v14
	v_and_b32_e32 v15, 0xffff, v15
	v_pk_fma_f16 v0, v0, v88, v85
	s_delay_alu instid0(VALU_DEP_4) | instskip(SKIP_3) | instid1(VALU_DEP_4)
	v_mul_u32_u24_e32 v8, 0x10001, v8
	v_mul_u32_u24_e32 v13, 0x10001, v13
	v_mul_u32_u24_e32 v14, 0x10001, v14
	v_mul_u32_u24_e32 v15, 0x10001, v15
	v_pk_fma_f16 v83, v2, v8, v83
	s_delay_alu instid0(VALU_DEP_4) | instskip(NEXT) | instid1(VALU_DEP_4)
	v_pk_fma_f16 v85, v2, v13, v0
	v_pk_fma_f16 v11, v2, v14, v11
	s_delay_alu instid0(VALU_DEP_4)
	v_pk_fma_f16 v84, v2, v15, v84
	v_pk_fma_f16 v86, v3, v14, v12
	v_pk_fma_f16 v6, v3, v8, v6
	v_pk_fma_f16 v7, v3, v15, v7
	v_pk_fma_f16 v8, v3, v13, v1
	ds_load_2addr_b64 v[0:3], v9 offset0:128 offset1:160
	;; [unrolled: 40-line block ×3, first 2 shown]
	ds_load_b128 v[6:9], v71 offset:816
	s_wait_dscnt 0x0
	v_dual_lshrrev_b32 v86, 16, v6 :: v_dual_lshrrev_b32 v87, 16, v7
	v_and_b32_e32 v6, 0xffff, v6
	v_and_b32_e32 v7, 0xffff, v7
	s_delay_alu instid0(VALU_DEP_3) | instskip(NEXT) | instid1(VALU_DEP_4)
	v_mul_u32_u24_e32 v86, 0x10001, v86
	v_mul_u32_u24_e32 v87, 0x10001, v87
	s_delay_alu instid0(VALU_DEP_4) | instskip(NEXT) | instid1(VALU_DEP_4)
	v_mul_u32_u24_e32 v6, 0x10001, v6
	v_mul_u32_u24_e32 v7, 0x10001, v7
	s_delay_alu instid0(VALU_DEP_4) | instskip(NEXT) | instid1(VALU_DEP_3)
	v_pk_fma_f16 v83, v0, v86, v83
	v_pk_fma_f16 v11, v0, v6, v11
	s_delay_alu instid0(VALU_DEP_3)
	v_pk_fma_f16 v84, v0, v7, v84
	v_pk_fma_f16 v6, v1, v6, v12
	;; [unrolled: 1-line block ×5, first 2 shown]
	v_dual_lshrrev_b32 v13, 16, v8 :: v_dual_lshrrev_b32 v14, 16, v9
	v_and_b32_e32 v8, 0xffff, v8
	v_and_b32_e32 v9, 0xffff, v9
	v_pk_fma_f16 v0, v0, v87, v85
	s_delay_alu instid0(VALU_DEP_4) | instskip(SKIP_3) | instid1(VALU_DEP_4)
	v_mul_u32_u24_e32 v13, 0x10001, v13
	v_mul_u32_u24_e32 v14, 0x10001, v14
	;; [unrolled: 1-line block ×4, first 2 shown]
	v_pk_fma_f16 v15, v2, v13, v83
	v_pk_fma_f16 v12, v3, v13, v12
	s_delay_alu instid0(VALU_DEP_4) | instskip(NEXT) | instid1(VALU_DEP_4)
	v_pk_fma_f16 v11, v2, v8, v11
	v_pk_fma_f16 v83, v2, v9, v84
	;; [unrolled: 1-line block ×6, first 2 shown]
	ds_load_2addr_b64 v[0:3], v10 offset1:32
	ds_load_b128 v[6:9], v71 offset:832
	s_wait_dscnt 0x0
	v_dual_lshrrev_b32 v86, 16, v6 :: v_dual_lshrrev_b32 v87, 16, v7
	v_and_b32_e32 v6, 0xffff, v6
	v_and_b32_e32 v7, 0xffff, v7
	s_delay_alu instid0(VALU_DEP_3) | instskip(NEXT) | instid1(VALU_DEP_4)
	v_mul_u32_u24_e32 v86, 0x10001, v86
	v_mul_u32_u24_e32 v87, 0x10001, v87
	s_delay_alu instid0(VALU_DEP_4) | instskip(NEXT) | instid1(VALU_DEP_4)
	v_mul_u32_u24_e32 v6, 0x10001, v6
	v_mul_u32_u24_e32 v7, 0x10001, v7
	s_delay_alu instid0(VALU_DEP_4) | instskip(SKIP_1) | instid1(VALU_DEP_4)
	v_pk_fma_f16 v12, v1, v86, v12
	v_pk_fma_f16 v15, v0, v86, v15
	v_pk_fma_f16 v11, v0, v6, v11
	s_delay_alu instid0(VALU_DEP_4)
	v_pk_fma_f16 v83, v0, v7, v83
	v_pk_fma_f16 v6, v1, v6, v85
	v_pk_fma_f16 v7, v1, v7, v13
	v_pk_fma_f16 v1, v1, v87, v14
	v_dual_lshrrev_b32 v13, 16, v8 :: v_dual_lshrrev_b32 v14, 16, v9
	v_and_b32_e32 v8, 0xffff, v8
	v_and_b32_e32 v9, 0xffff, v9
	v_pk_fma_f16 v0, v0, v87, v84
	s_delay_alu instid0(VALU_DEP_4) | instskip(SKIP_3) | instid1(VALU_DEP_4)
	v_mul_u32_u24_e32 v13, 0x10001, v13
	v_mul_u32_u24_e32 v14, 0x10001, v14
	v_mul_u32_u24_e32 v8, 0x10001, v8
	v_mul_u32_u24_e32 v9, 0x10001, v9
	v_pk_fma_f16 v15, v2, v13, v15
	s_delay_alu instid0(VALU_DEP_4) | instskip(NEXT) | instid1(VALU_DEP_4)
	v_pk_fma_f16 v84, v2, v14, v0
	v_pk_fma_f16 v11, v2, v8, v11
	s_delay_alu instid0(VALU_DEP_4)
	v_pk_fma_f16 v83, v2, v9, v83
	v_pk_fma_f16 v85, v3, v8, v6
	v_pk_fma_f16 v12, v3, v13, v12
	v_pk_fma_f16 v13, v3, v9, v7
	v_pk_fma_f16 v14, v3, v14, v1
	ds_load_2addr_b64 v[0:3], v10 offset0:64 offset1:96
	ds_load_b128 v[6:9], v71 offset:848
	s_wait_dscnt 0x0
	v_dual_lshrrev_b32 v86, 16, v6 :: v_dual_lshrrev_b32 v87, 16, v7
	v_and_b32_e32 v6, 0xffff, v6
	v_and_b32_e32 v7, 0xffff, v7
	s_delay_alu instid0(VALU_DEP_3) | instskip(NEXT) | instid1(VALU_DEP_4)
	v_mul_u32_u24_e32 v86, 0x10001, v86
	v_mul_u32_u24_e32 v87, 0x10001, v87
	s_delay_alu instid0(VALU_DEP_4) | instskip(NEXT) | instid1(VALU_DEP_4)
	v_mul_u32_u24_e32 v6, 0x10001, v6
	v_mul_u32_u24_e32 v7, 0x10001, v7
	s_delay_alu instid0(VALU_DEP_4) | instskip(SKIP_1) | instid1(VALU_DEP_4)
	v_pk_fma_f16 v12, v1, v86, v12
	v_pk_fma_f16 v15, v0, v86, v15
	v_pk_fma_f16 v11, v0, v6, v11
	s_delay_alu instid0(VALU_DEP_4)
	v_pk_fma_f16 v83, v0, v7, v83
	v_pk_fma_f16 v6, v1, v6, v85
	v_pk_fma_f16 v7, v1, v7, v13
	v_pk_fma_f16 v1, v1, v87, v14
	v_dual_lshrrev_b32 v13, 16, v8 :: v_dual_lshrrev_b32 v14, 16, v9
	v_and_b32_e32 v8, 0xffff, v8
	v_and_b32_e32 v9, 0xffff, v9
	v_pk_fma_f16 v0, v0, v87, v84
	s_delay_alu instid0(VALU_DEP_4) | instskip(SKIP_3) | instid1(VALU_DEP_4)
	v_mul_u32_u24_e32 v13, 0x10001, v13
	v_mul_u32_u24_e32 v14, 0x10001, v14
	v_mul_u32_u24_e32 v8, 0x10001, v8
	v_mul_u32_u24_e32 v9, 0x10001, v9
	v_pk_fma_f16 v15, v2, v13, v15
	s_delay_alu instid0(VALU_DEP_4) | instskip(NEXT) | instid1(VALU_DEP_4)
	v_pk_fma_f16 v84, v2, v14, v0
	v_pk_fma_f16 v11, v2, v8, v11
	s_delay_alu instid0(VALU_DEP_4)
	v_pk_fma_f16 v83, v2, v9, v83
	v_pk_fma_f16 v85, v3, v8, v6
	v_pk_fma_f16 v12, v3, v13, v12
	v_pk_fma_f16 v13, v3, v9, v7
	v_pk_fma_f16 v14, v3, v14, v1
	ds_load_2addr_b64 v[0:3], v10 offset0:128 offset1:160
	;; [unrolled: 40-line block ×3, first 2 shown]
	ds_load_b128 v[6:9], v71 offset:880
	s_wait_dscnt 0x0
	v_dual_lshrrev_b32 v10, 16, v6 :: v_dual_lshrrev_b32 v86, 16, v7
	v_and_b32_e32 v7, 0xffff, v7
	v_and_b32_e32 v6, 0xffff, v6
	s_delay_alu instid0(VALU_DEP_3) | instskip(NEXT) | instid1(VALU_DEP_4)
	v_mul_u32_u24_e32 v10, 0x10001, v10
	v_mul_u32_u24_e32 v86, 0x10001, v86
	s_delay_alu instid0(VALU_DEP_4) | instskip(NEXT) | instid1(VALU_DEP_4)
	v_mul_u32_u24_e32 v7, 0x10001, v7
	v_mul_u32_u24_e32 v6, 0x10001, v6
	s_delay_alu instid0(VALU_DEP_4) | instskip(SKIP_1) | instid1(VALU_DEP_4)
	v_pk_fma_f16 v15, v0, v10, v15
	v_pk_fma_f16 v10, v1, v10, v12
	;; [unrolled: 1-line block ×4, first 2 shown]
	v_dual_lshrrev_b32 v12, 16, v8 :: v_dual_lshrrev_b32 v13, 16, v9
	v_and_b32_e32 v8, 0xffff, v8
	v_and_b32_e32 v9, 0xffff, v9
	v_pk_fma_f16 v11, v0, v6, v11
	v_pk_fma_f16 v0, v0, v86, v84
	v_pk_fma_f16 v6, v1, v6, v85
	v_pk_fma_f16 v1, v1, v86, v14
	v_mul_u32_u24_e32 v8, 0x10001, v8
	v_mul_u32_u24_e32 v12, 0x10001, v12
	;; [unrolled: 1-line block ×4, first 2 shown]
	s_delay_alu instid0(VALU_DEP_4) | instskip(NEXT) | instid1(VALU_DEP_4)
	v_pk_fma_f16 v11, v2, v8, v11
	v_pk_fma_f16 v14, v2, v12, v15
	s_delay_alu instid0(VALU_DEP_4) | instskip(NEXT) | instid1(VALU_DEP_4)
	v_pk_fma_f16 v15, v2, v9, v83
	v_pk_fma_f16 v83, v2, v13, v0
	;; [unrolled: 1-line block ×6, first 2 shown]
	ds_load_2addr_b64 v[0:3], v5 offset1:32
	ds_load_b128 v[6:9], v71 offset:896
	s_wait_dscnt 0x0
	v_dual_lshrrev_b32 v85, 16, v6 :: v_dual_lshrrev_b32 v86, 16, v7
	v_and_b32_e32 v6, 0xffff, v6
	v_and_b32_e32 v7, 0xffff, v7
	s_delay_alu instid0(VALU_DEP_3) | instskip(NEXT) | instid1(VALU_DEP_4)
	v_mul_u32_u24_e32 v85, 0x10001, v85
	v_mul_u32_u24_e32 v86, 0x10001, v86
	s_delay_alu instid0(VALU_DEP_4) | instskip(NEXT) | instid1(VALU_DEP_4)
	v_mul_u32_u24_e32 v6, 0x10001, v6
	v_mul_u32_u24_e32 v7, 0x10001, v7
	s_delay_alu instid0(VALU_DEP_4) | instskip(SKIP_1) | instid1(VALU_DEP_4)
	v_pk_fma_f16 v10, v1, v85, v10
	v_pk_fma_f16 v14, v0, v85, v14
	v_pk_fma_f16 v11, v0, v6, v11
	s_delay_alu instid0(VALU_DEP_4)
	v_pk_fma_f16 v15, v0, v7, v15
	v_pk_fma_f16 v6, v1, v6, v84
	v_pk_fma_f16 v7, v1, v7, v12
	v_pk_fma_f16 v1, v1, v86, v13
	v_dual_lshrrev_b32 v12, 16, v8 :: v_dual_lshrrev_b32 v13, 16, v9
	v_and_b32_e32 v8, 0xffff, v8
	v_and_b32_e32 v9, 0xffff, v9
	v_pk_fma_f16 v0, v0, v86, v83
	s_delay_alu instid0(VALU_DEP_4) | instskip(SKIP_3) | instid1(VALU_DEP_4)
	v_mul_u32_u24_e32 v12, 0x10001, v12
	v_mul_u32_u24_e32 v13, 0x10001, v13
	v_mul_u32_u24_e32 v8, 0x10001, v8
	v_mul_u32_u24_e32 v9, 0x10001, v9
	v_pk_fma_f16 v14, v2, v12, v14
	s_delay_alu instid0(VALU_DEP_4) | instskip(NEXT) | instid1(VALU_DEP_4)
	v_pk_fma_f16 v83, v2, v13, v0
	v_pk_fma_f16 v11, v2, v8, v11
	s_delay_alu instid0(VALU_DEP_4)
	v_pk_fma_f16 v15, v2, v9, v15
	v_pk_fma_f16 v84, v3, v8, v6
	v_pk_fma_f16 v10, v3, v12, v10
	v_pk_fma_f16 v12, v3, v9, v7
	v_pk_fma_f16 v13, v3, v13, v1
	ds_load_2addr_b64 v[0:3], v5 offset0:64 offset1:96
	ds_load_b128 v[6:9], v71 offset:912
	s_wait_dscnt 0x0
	v_dual_lshrrev_b32 v85, 16, v6 :: v_dual_lshrrev_b32 v86, 16, v7
	v_and_b32_e32 v6, 0xffff, v6
	v_and_b32_e32 v7, 0xffff, v7
	s_delay_alu instid0(VALU_DEP_3) | instskip(NEXT) | instid1(VALU_DEP_4)
	v_mul_u32_u24_e32 v85, 0x10001, v85
	v_mul_u32_u24_e32 v86, 0x10001, v86
	s_delay_alu instid0(VALU_DEP_4) | instskip(NEXT) | instid1(VALU_DEP_4)
	v_mul_u32_u24_e32 v6, 0x10001, v6
	v_mul_u32_u24_e32 v7, 0x10001, v7
	s_delay_alu instid0(VALU_DEP_4) | instskip(SKIP_1) | instid1(VALU_DEP_4)
	v_pk_fma_f16 v10, v1, v85, v10
	v_pk_fma_f16 v14, v0, v85, v14
	v_pk_fma_f16 v11, v0, v6, v11
	s_delay_alu instid0(VALU_DEP_4)
	v_pk_fma_f16 v15, v0, v7, v15
	v_pk_fma_f16 v6, v1, v6, v84
	v_pk_fma_f16 v7, v1, v7, v12
	v_pk_fma_f16 v1, v1, v86, v13
	v_dual_lshrrev_b32 v12, 16, v8 :: v_dual_lshrrev_b32 v13, 16, v9
	v_and_b32_e32 v8, 0xffff, v8
	v_and_b32_e32 v9, 0xffff, v9
	v_pk_fma_f16 v0, v0, v86, v83
	s_delay_alu instid0(VALU_DEP_4) | instskip(SKIP_3) | instid1(VALU_DEP_4)
	v_mul_u32_u24_e32 v12, 0x10001, v12
	v_mul_u32_u24_e32 v13, 0x10001, v13
	v_mul_u32_u24_e32 v8, 0x10001, v8
	v_mul_u32_u24_e32 v9, 0x10001, v9
	v_pk_fma_f16 v14, v2, v12, v14
	s_delay_alu instid0(VALU_DEP_4) | instskip(NEXT) | instid1(VALU_DEP_4)
	v_pk_fma_f16 v83, v2, v13, v0
	v_pk_fma_f16 v11, v2, v8, v11
	s_delay_alu instid0(VALU_DEP_4)
	v_pk_fma_f16 v15, v2, v9, v15
	v_pk_fma_f16 v84, v3, v8, v6
	v_pk_fma_f16 v10, v3, v12, v10
	v_pk_fma_f16 v12, v3, v9, v7
	v_pk_fma_f16 v13, v3, v13, v1
	ds_load_2addr_b64 v[0:3], v5 offset0:128 offset1:160
	;; [unrolled: 40-line block ×3, first 2 shown]
	ds_load_b128 v[6:9], v71 offset:944
	s_wait_dscnt 0x0
	v_dual_lshrrev_b32 v5, 16, v6 :: v_dual_lshrrev_b32 v85, 16, v7
	v_and_b32_e32 v7, 0xffff, v7
	v_and_b32_e32 v6, 0xffff, v6
	s_delay_alu instid0(VALU_DEP_3) | instskip(NEXT) | instid1(VALU_DEP_4)
	v_mul_u32_u24_e32 v5, 0x10001, v5
	v_mul_u32_u24_e32 v85, 0x10001, v85
	s_delay_alu instid0(VALU_DEP_4) | instskip(NEXT) | instid1(VALU_DEP_4)
	v_mul_u32_u24_e32 v7, 0x10001, v7
	v_mul_u32_u24_e32 v6, 0x10001, v6
	s_delay_alu instid0(VALU_DEP_4) | instskip(SKIP_1) | instid1(VALU_DEP_4)
	v_pk_fma_f16 v14, v0, v5, v14
	v_pk_fma_f16 v5, v1, v5, v10
	;; [unrolled: 1-line block ×4, first 2 shown]
	v_dual_lshrrev_b32 v10, 16, v8 :: v_dual_lshrrev_b32 v12, 16, v9
	v_and_b32_e32 v8, 0xffff, v8
	v_and_b32_e32 v9, 0xffff, v9
	v_pk_fma_f16 v11, v0, v6, v11
	v_pk_fma_f16 v0, v0, v85, v83
	;; [unrolled: 1-line block ×4, first 2 shown]
	v_mul_u32_u24_e32 v8, 0x10001, v8
	v_mul_u32_u24_e32 v10, 0x10001, v10
	;; [unrolled: 1-line block ×4, first 2 shown]
	s_delay_alu instid0(VALU_DEP_4) | instskip(NEXT) | instid1(VALU_DEP_4)
	v_pk_fma_f16 v11, v2, v8, v11
	v_pk_fma_f16 v13, v2, v10, v14
	s_delay_alu instid0(VALU_DEP_4) | instskip(NEXT) | instid1(VALU_DEP_4)
	v_pk_fma_f16 v14, v2, v9, v15
	v_pk_fma_f16 v15, v2, v12, v0
	;; [unrolled: 1-line block ×6, first 2 shown]
	ds_load_2addr_b64 v[0:3], v4 offset1:32
	ds_load_b128 v[6:9], v71 offset:960
	s_wait_dscnt 0x0
	v_dual_lshrrev_b32 v84, 16, v6 :: v_dual_lshrrev_b32 v85, 16, v7
	v_and_b32_e32 v6, 0xffff, v6
	v_and_b32_e32 v7, 0xffff, v7
	s_delay_alu instid0(VALU_DEP_3) | instskip(NEXT) | instid1(VALU_DEP_4)
	v_mul_u32_u24_e32 v84, 0x10001, v84
	v_mul_u32_u24_e32 v85, 0x10001, v85
	s_delay_alu instid0(VALU_DEP_4) | instskip(NEXT) | instid1(VALU_DEP_4)
	v_mul_u32_u24_e32 v6, 0x10001, v6
	v_mul_u32_u24_e32 v7, 0x10001, v7
	s_delay_alu instid0(VALU_DEP_4) | instskip(SKIP_1) | instid1(VALU_DEP_4)
	v_pk_fma_f16 v5, v1, v84, v5
	v_pk_fma_f16 v13, v0, v84, v13
	v_pk_fma_f16 v11, v0, v6, v11
	s_delay_alu instid0(VALU_DEP_4)
	v_pk_fma_f16 v14, v0, v7, v14
	v_pk_fma_f16 v6, v1, v6, v83
	v_pk_fma_f16 v7, v1, v7, v10
	v_pk_fma_f16 v1, v1, v85, v12
	v_dual_lshrrev_b32 v10, 16, v8 :: v_dual_lshrrev_b32 v12, 16, v9
	v_and_b32_e32 v8, 0xffff, v8
	v_and_b32_e32 v9, 0xffff, v9
	v_pk_fma_f16 v0, v0, v85, v15
	s_delay_alu instid0(VALU_DEP_4) | instskip(SKIP_3) | instid1(VALU_DEP_4)
	v_mul_u32_u24_e32 v10, 0x10001, v10
	v_mul_u32_u24_e32 v12, 0x10001, v12
	v_mul_u32_u24_e32 v8, 0x10001, v8
	v_mul_u32_u24_e32 v9, 0x10001, v9
	v_pk_fma_f16 v13, v2, v10, v13
	s_delay_alu instid0(VALU_DEP_4) | instskip(NEXT) | instid1(VALU_DEP_4)
	v_pk_fma_f16 v15, v2, v12, v0
	v_pk_fma_f16 v11, v2, v8, v11
	s_delay_alu instid0(VALU_DEP_4)
	v_pk_fma_f16 v14, v2, v9, v14
	v_pk_fma_f16 v83, v3, v8, v6
	v_pk_fma_f16 v5, v3, v10, v5
	v_pk_fma_f16 v10, v3, v9, v7
	v_pk_fma_f16 v12, v3, v12, v1
	ds_load_2addr_b64 v[0:3], v4 offset0:64 offset1:96
	ds_load_b128 v[6:9], v71 offset:976
	s_wait_dscnt 0x0
	v_dual_lshrrev_b32 v84, 16, v6 :: v_dual_lshrrev_b32 v85, 16, v7
	v_and_b32_e32 v6, 0xffff, v6
	v_and_b32_e32 v7, 0xffff, v7
	s_delay_alu instid0(VALU_DEP_3) | instskip(NEXT) | instid1(VALU_DEP_4)
	v_mul_u32_u24_e32 v84, 0x10001, v84
	v_mul_u32_u24_e32 v85, 0x10001, v85
	s_delay_alu instid0(VALU_DEP_4) | instskip(NEXT) | instid1(VALU_DEP_4)
	v_mul_u32_u24_e32 v6, 0x10001, v6
	v_mul_u32_u24_e32 v7, 0x10001, v7
	s_delay_alu instid0(VALU_DEP_4) | instskip(SKIP_1) | instid1(VALU_DEP_4)
	v_pk_fma_f16 v5, v1, v84, v5
	v_pk_fma_f16 v13, v0, v84, v13
	v_pk_fma_f16 v11, v0, v6, v11
	s_delay_alu instid0(VALU_DEP_4)
	v_pk_fma_f16 v14, v0, v7, v14
	v_pk_fma_f16 v6, v1, v6, v83
	v_pk_fma_f16 v7, v1, v7, v10
	v_pk_fma_f16 v1, v1, v85, v12
	v_dual_lshrrev_b32 v10, 16, v8 :: v_dual_lshrrev_b32 v12, 16, v9
	v_and_b32_e32 v8, 0xffff, v8
	v_and_b32_e32 v9, 0xffff, v9
	v_pk_fma_f16 v0, v0, v85, v15
	s_delay_alu instid0(VALU_DEP_4) | instskip(SKIP_3) | instid1(VALU_DEP_4)
	v_mul_u32_u24_e32 v10, 0x10001, v10
	v_mul_u32_u24_e32 v12, 0x10001, v12
	v_mul_u32_u24_e32 v8, 0x10001, v8
	v_mul_u32_u24_e32 v9, 0x10001, v9
	v_pk_fma_f16 v13, v2, v10, v13
	s_delay_alu instid0(VALU_DEP_4) | instskip(NEXT) | instid1(VALU_DEP_4)
	v_pk_fma_f16 v15, v2, v12, v0
	v_pk_fma_f16 v11, v2, v8, v11
	s_delay_alu instid0(VALU_DEP_4)
	v_pk_fma_f16 v14, v2, v9, v14
	v_pk_fma_f16 v83, v3, v8, v6
	v_pk_fma_f16 v5, v3, v10, v5
	v_pk_fma_f16 v10, v3, v9, v7
	v_pk_fma_f16 v12, v3, v12, v1
	ds_load_2addr_b64 v[0:3], v4 offset0:128 offset1:160
	;; [unrolled: 40-line block ×3, first 2 shown]
	ds_load_b128 v[4:7], v71 offset:1008
	s_wait_dscnt 0x0
	s_barrier_signal -1
	s_barrier_wait -1
	s_load_b32 s25, s[8:9], 0x4
	v_dual_lshrrev_b32 v83, 16, v4 :: v_dual_lshrrev_b32 v84, 16, v5
	v_and_b32_e32 v4, 0xffff, v4
	v_and_b32_e32 v5, 0xffff, v5
	s_delay_alu instid0(VALU_DEP_3) | instskip(NEXT) | instid1(VALU_DEP_4)
	v_mul_u32_u24_e32 v83, 0x10001, v83
	v_mul_u32_u24_e32 v84, 0x10001, v84
	s_delay_alu instid0(VALU_DEP_4) | instskip(NEXT) | instid1(VALU_DEP_4)
	v_mul_u32_u24_e32 v4, 0x10001, v4
	v_mul_u32_u24_e32 v5, 0x10001, v5
	s_wait_kmcnt 0x0
	s_lshl_b32 s25, s25, 7
	v_pk_fma_f16 v13, v0, v83, v13
	s_add_co_i32 s24, s25, s24
	v_pk_fma_f16 v11, v0, v4, v11
	v_pk_fma_f16 v14, v0, v5, v14
	;; [unrolled: 1-line block ×5, first 2 shown]
	v_dual_lshrrev_b32 v9, 16, v6 :: v_dual_lshrrev_b32 v10, 16, v7
	v_and_b32_e32 v6, 0xffff, v6
	v_and_b32_e32 v7, 0xffff, v7
	v_pk_fma_f16 v0, v0, v84, v15
	v_pk_fma_f16 v1, v1, v84, v12
	v_mul_u32_u24_e32 v9, 0x10001, v9
	v_mul_u32_u24_e32 v6, 0x10001, v6
	;; [unrolled: 1-line block ×4, first 2 shown]
	s_cmp_lt_i32 s24, s3
	v_pk_fma_f16 v84, v2, v9, v13
	v_pk_fma_f16 v85, v2, v6, v11
	;; [unrolled: 1-line block ×8, first 2 shown]
	s_cbranch_scc0 .LBB56_44
; %bb.42:                               ;   in Loop: Header=BB56_8 Depth=1
	v_dual_mov_b32 v93, v20 :: v_dual_mov_b32 v94, v21
	v_dual_mov_b32 v92, v22 :: v_dual_mov_b32 v91, v23
	s_branch .LBB56_8
.LBB56_43:
	v_dual_mov_b32 v20, 0xfeffffff :: v_dual_mov_b32 v85, 0
	v_dual_mov_b32 v18, 0 :: v_dual_mov_b32 v17, 0
	s_delay_alu instid0(VALU_DEP_2)
	v_dual_mov_b32 v16, 0 :: v_dual_mov_b32 v21, v20
	v_dual_mov_b32 v22, v20 :: v_dual_mov_b32 v23, v20
	;; [unrolled: 1-line block ×5, first 2 shown]
	v_mov_b32_e32 v87, 0
.LBB56_44:
	s_cmp_gt_i32 s2, s24
	s_cbranch_scc1 .LBB56_47
; %bb.45:
	v_mbcnt_lo_u32_b32 v0, -1, 0
	v_mov_b32_e32 v43, 32
	s_delay_alu instid0(VALU_DEP_2)
	v_xor_b32_e32 v44, 16, v0
	v_xor_b32_e32 v41, 8, v0
	;; [unrolled: 1-line block ×5, first 2 shown]
	s_cbranch_execz .LBB56_48
; %bb.46:
	v_mov_b32_e32 v66, v0
	s_branch .LBB56_125
.LBB56_47:
                                        ; implicit-def: $vgpr0
                                        ; implicit-def: $vgpr43
                                        ; implicit-def: $vgpr44
                                        ; implicit-def: $vgpr41
                                        ; implicit-def: $vgpr40
                                        ; implicit-def: $vgpr39
                                        ; implicit-def: $vgpr42
.LBB56_48:
	v_dual_add_nc_u32 v8, v25, v64 :: v_dual_lshlrev_b32 v1, 20, v66
	s_ashr_i32 s25, s24, 31
	s_ashr_i32 s5, s4, 31
	v_dual_mov_b32 v41, 0 :: v_dual_lshlrev_b32 v40, 2, v24
	s_delay_alu instid0(VALU_DEP_2)
	v_mul_lo_u32 v4, s4, v8
	s_mul_u64 s[8:9], s[24:25], s[4:5]
	v_mov_b32_e32 v0, 0
	s_lshl_b64 s[8:9], s[8:9], 2
	s_lshl_b32 s4, s4, 5
	s_add_nc_u64 s[8:9], s[26:27], s[8:9]
	s_sub_co_i32 s26, s2, s24
	s_mov_b32 s44, 0
	v_cmp_gt_i32_e32 vcc_lo, s26, v8
	s_mov_b32 s45, s44
	s_mov_b32 s46, s44
	v_ashrrev_i32_e32 v5, 31, v4
	v_add_nc_u64_e32 v[42:43], src_flat_scratch_base_lo, v[0:1]
	v_dual_mov_b32 v24, s44 :: v_dual_mov_b32 v25, s45
	v_mad_u32_u24 v27, 0x90, v8, v40
	s_delay_alu instid0(VALU_DEP_4) | instskip(SKIP_3) | instid1(VALU_DEP_4)
	v_lshl_add_u64 v[2:3], v[4:5], 2, s[8:9]
	v_dual_add_nc_u32 v4, s4, v4 :: v_dual_mov_b32 v14, v41
	v_mov_b32_e32 v15, v41
	v_mad_u32 v38, v38, s28, s24
	v_add_nc_u64_e32 v[44:45], v[2:3], v[40:41]
	s_delay_alu instid0(VALU_DEP_4) | instskip(SKIP_1) | instid1(VALU_DEP_1)
	v_dual_mov_b32 v26, s46 :: v_dual_ashrrev_i32 v5, 31, v4
	s_cmp_lg_u64 s[36:37], 0
	v_lshl_add_u64 v[6:7], v[4:5], 2, s[8:9]
	s_delay_alu instid0(VALU_DEP_3)
	v_dual_add_nc_u32 v5, 32, v8 :: v_dual_cndmask_b32 v1, v43, v45, vcc_lo
	s_clause 0x1
	scratch_store_b32 off, v41, off
	scratch_store_b96 off, v[24:26], off offset:4
	v_add_nc_u64_e32 v[46:47], v[6:7], v[40:41]
	v_cmp_gt_i32_e64 s2, s26, v5
	v_cndmask_b32_e32 v0, v42, v44, vcc_lo
	v_add_nc_u64_e32 v[44:45], 0x80, v[44:45]
	s_delay_alu instid0(VALU_DEP_3)
	v_cndmask_b32_e64 v7, v43, v47, s2
	flat_load_b128 v[0:3], v[0:1]
	v_cndmask_b32_e64 v6, v42, v46, s2
	s_clause 0x1
	scratch_store_b32 off, v41, off
	scratch_store_b96 off, v[24:26], off offset:4
	v_add_nc_u32_e32 v4, s4, v4
	v_add_nc_u64_e32 v[46:47], 0x80, v[46:47]
	v_dual_cndmask_b32 v45, v43, v45 :: v_dual_cndmask_b32 v44, v42, v44
	s_delay_alu instid0(VALU_DEP_2) | instskip(NEXT) | instid1(VALU_DEP_3)
	v_dual_ashrrev_i32 v5, 31, v4 :: v_dual_cndmask_b32 v47, v43, v47, s2
	v_cndmask_b32_e64 v46, v42, v46, s2
	v_cmp_gt_i32_e64 s2, s26, v28
	s_wait_loadcnt_dscnt 0x0
	ds_store_b128 v27, v[0:3]
	flat_load_b128 v[0:3], v[6:7]
	s_wait_xcnt 0x0
	v_lshl_add_u64 v[6:7], v[4:5], 2, s[8:9]
	v_add_nc_u32_e32 v5, 64, v8
	v_add_nc_u32_e32 v4, s4, v4
	s_clause 0x1
	scratch_store_b32 off, v41, off
	scratch_store_b96 off, v[24:26], off offset:4
	v_add_nc_u64_e32 v[48:49], v[6:7], v[40:41]
	v_cmp_gt_i32_e64 s3, s26, v5
	v_ashrrev_i32_e32 v5, 31, v4
	s_delay_alu instid0(VALU_DEP_1) | instskip(NEXT) | instid1(VALU_DEP_3)
	v_lshl_add_u64 v[4:5], v[4:5], 2, s[8:9]
	v_cndmask_b32_e64 v7, v43, v49, s3
	s_delay_alu instid0(VALU_DEP_2) | instskip(SKIP_2) | instid1(VALU_DEP_1)
	v_add_nc_u64_e32 v[50:51], v[4:5], v[40:41]
	v_cndmask_b32_e64 v6, v42, v48, s3
	v_add_nc_u64_e32 v[48:49], 0x80, v[48:49]
	v_dual_cndmask_b32 v49, v43, v49, s3 :: v_dual_cndmask_b32 v48, v42, v48, s3
	s_wait_loadcnt_dscnt 0x0
	ds_store_b128 v27, v[0:3] offset:4608
	flat_load_b128 v[0:3], v[6:7]
	s_wait_xcnt 0x0
	v_add_nc_u32_e32 v6, 0x60, v8
	s_clause 0x1
	scratch_store_b32 off, v41, off
	scratch_store_b96 off, v[24:26], off offset:4
	v_cmp_gt_i32_e64 s4, s26, v6
	s_delay_alu instid0(VALU_DEP_1) | instskip(SKIP_1) | instid1(VALU_DEP_1)
	v_dual_cndmask_b32 v5, v43, v51, s4 :: v_dual_cndmask_b32 v4, v42, v50, s4
	v_add_nc_u64_e32 v[50:51], 0x80, v[50:51]
	v_dual_cndmask_b32 v51, v43, v51, s4 :: v_dual_cndmask_b32 v50, v42, v50, s4
	s_cselect_b32 s4, -1, 0
	s_wait_loadcnt_dscnt 0x0
	ds_store_b128 v27, v[0:3] offset:9216
	flat_load_b128 v[0:3], v[4:5]
	s_wait_xcnt 0x0
	v_dual_mov_b32 v4, v41 :: v_dual_mov_b32 v5, v41
	s_wait_loadcnt_dscnt 0x0
	ds_store_b128 v27, v[0:3] offset:13824
	s_wait_storecnt_dscnt 0x0
	s_barrier_signal -1
	s_barrier_wait -1
	ds_load_b128 v[6:9], v29
	ds_load_b128 v[52:55], v67 offset:26624
	ds_load_b128 v[74:77], v67 offset:26880
	;; [unrolled: 1-line block ×3, first 2 shown]
	v_mov_b32_e32 v0, v41
	ds_load_b128 v[92:95], v67 offset:27392
	ds_load_b128 v[10:13], v29 offset:4608
	;; [unrolled: 1-line block ×4, first 2 shown]
	v_dual_mov_b32 v1, v41 :: v_dual_mov_b32 v2, v41
	v_mov_b32_e32 v3, v41
	s_wait_dscnt 0x6
	;;#ASMSTART
	v_dot2_f32_f16 v0, v6, v52, v0
	;;#ASMEND
	;;#ASMSTART
	v_dot2_f32_f16 v0, v7, v53, v0
	;;#ASMEND
	;;#ASMSTART
	v_dot2_f32_f16 v0, v8, v54, v0
	;;#ASMEND
	;;#ASMSTART
	v_dot2_f32_f16 v0, v9, v55, v0
	;;#ASMEND
	s_wait_dscnt 0x5
	;;#ASMSTART
	v_dot2_f32_f16 v1, v6, v74, v1
	;;#ASMEND
	;;#ASMSTART
	v_dot2_f32_f16 v1, v7, v75, v1
	;;#ASMEND
	;;#ASMSTART
	v_dot2_f32_f16 v1, v8, v76, v1
	;;#ASMEND
	;;#ASMSTART
	v_dot2_f32_f16 v1, v9, v77, v1
	;;#ASMEND
	s_wait_dscnt 0x4
	;;#ASMSTART
	v_dot2_f32_f16 v2, v6, v78, v2
	;;#ASMEND
	;;#ASMSTART
	v_dot2_f32_f16 v2, v7, v79, v2
	;;#ASMEND
	;;#ASMSTART
	v_dot2_f32_f16 v2, v8, v80, v2
	;;#ASMEND
	;;#ASMSTART
	v_dot2_f32_f16 v2, v9, v81, v2
	;;#ASMEND
	s_wait_dscnt 0x3
	;;#ASMSTART
	v_dot2_f32_f16 v3, v6, v92, v3
	;;#ASMEND
	;;#ASMSTART
	v_dot2_f32_f16 v3, v7, v93, v3
	;;#ASMEND
	;;#ASMSTART
	v_dot2_f32_f16 v3, v8, v94, v3
	;;#ASMEND
	;;#ASMSTART
	v_dot2_f32_f16 v3, v9, v95, v3
	;;#ASMEND
	s_wait_dscnt 0x2
	;;#ASMSTART
	v_dot2_f32_f16 v4, v10, v52, v4
	;;#ASMEND
	;;#ASMSTART
	v_dot2_f32_f16 v4, v11, v53, v4
	;;#ASMEND
	;;#ASMSTART
	v_dot2_f32_f16 v4, v12, v54, v4
	;;#ASMEND
	;;#ASMSTART
	v_dot2_f32_f16 v4, v13, v55, v4
	;;#ASMEND
	;;#ASMSTART
	v_dot2_f32_f16 v5, v10, v74, v5
	;;#ASMEND
	;;#ASMSTART
	v_dot2_f32_f16 v5, v11, v75, v5
	;;#ASMEND
	;;#ASMSTART
	v_dot2_f32_f16 v5, v12, v76, v5
	;;#ASMEND
	v_dual_mov_b32 v6, v41 :: v_dual_mov_b32 v7, v41
	;;#ASMSTART
	v_dot2_f32_f16 v5, v13, v77, v5
	;;#ASMEND
	;;#ASMSTART
	v_dot2_f32_f16 v6, v10, v78, v6
	;;#ASMEND
	;; [unrolled: 3-line block ×8, first 2 shown]
	v_dual_mov_b32 v8, v41 :: v_dual_mov_b32 v9, v41
	;;#ASMSTART
	v_dot2_f32_f16 v7, v13, v95, v7
	;;#ASMEND
	s_wait_dscnt 0x1
	;;#ASMSTART
	v_dot2_f32_f16 v8, v96, v52, v8
	;;#ASMEND
	;;#ASMSTART
	v_dot2_f32_f16 v8, v97, v53, v8
	;;#ASMEND
	;;#ASMSTART
	v_dot2_f32_f16 v8, v98, v54, v8
	;;#ASMEND
	;;#ASMSTART
	v_dot2_f32_f16 v8, v99, v55, v8
	;;#ASMEND
	;;#ASMSTART
	v_dot2_f32_f16 v9, v96, v74, v9
	;;#ASMEND
	;;#ASMSTART
	v_dot2_f32_f16 v9, v97, v75, v9
	;;#ASMEND
	;;#ASMSTART
	v_dot2_f32_f16 v9, v98, v76, v9
	;;#ASMEND
	v_dual_mov_b32 v10, v41 :: v_dual_mov_b32 v11, v41
	;;#ASMSTART
	v_dot2_f32_f16 v9, v99, v77, v9
	;;#ASMEND
	;;#ASMSTART
	v_dot2_f32_f16 v10, v96, v78, v10
	;;#ASMEND
	;; [unrolled: 3-line block ×8, first 2 shown]
	v_dual_mov_b32 v12, v41 :: v_dual_mov_b32 v13, v41
	;;#ASMSTART
	v_dot2_f32_f16 v11, v99, v95, v11
	;;#ASMEND
	s_wait_dscnt 0x0
	;;#ASMSTART
	v_dot2_f32_f16 v12, v100, v52, v12
	;;#ASMEND
	;;#ASMSTART
	v_dot2_f32_f16 v12, v101, v53, v12
	;;#ASMEND
	;; [unrolled: 3-line block ×16, first 2 shown]
	ds_load_b128 v[52:55], v29 offset:16
	ds_load_b128 v[74:77], v67 offset:26640
	;; [unrolled: 1-line block ×8, first 2 shown]
	s_wait_dscnt 0x6
	;;#ASMSTART
	v_dot2_f32_f16 v0, v52, v74, v0
	;;#ASMEND
	;;#ASMSTART
	v_dot2_f32_f16 v0, v53, v75, v0
	;;#ASMEND
	;;#ASMSTART
	v_dot2_f32_f16 v0, v54, v76, v0
	;;#ASMEND
	;;#ASMSTART
	v_dot2_f32_f16 v0, v55, v77, v0
	;;#ASMEND
	s_wait_dscnt 0x5
	;;#ASMSTART
	v_dot2_f32_f16 v1, v52, v78, v1
	;;#ASMEND
	;;#ASMSTART
	v_dot2_f32_f16 v1, v53, v79, v1
	;;#ASMEND
	;;#ASMSTART
	v_dot2_f32_f16 v1, v54, v80, v1
	;;#ASMEND
	;;#ASMSTART
	v_dot2_f32_f16 v1, v55, v81, v1
	;;#ASMEND
	;; [unrolled: 13-line block ×5, first 2 shown]
	;;#ASMSTART
	v_dot2_f32_f16 v5, v100, v78, v5
	;;#ASMEND
	;;#ASMSTART
	v_dot2_f32_f16 v5, v101, v79, v5
	;;#ASMEND
	;;#ASMSTART
	v_dot2_f32_f16 v5, v102, v80, v5
	;;#ASMEND
	;;#ASMSTART
	v_dot2_f32_f16 v5, v103, v81, v5
	;;#ASMEND
	;;#ASMSTART
	v_dot2_f32_f16 v6, v100, v92, v6
	;;#ASMEND
	;;#ASMSTART
	v_dot2_f32_f16 v6, v101, v93, v6
	;;#ASMEND
	;;#ASMSTART
	v_dot2_f32_f16 v6, v102, v94, v6
	;;#ASMEND
	;;#ASMSTART
	v_dot2_f32_f16 v6, v103, v95, v6
	;;#ASMEND
	;;#ASMSTART
	v_dot2_f32_f16 v7, v100, v96, v7
	;;#ASMEND
	;;#ASMSTART
	v_dot2_f32_f16 v7, v101, v97, v7
	;;#ASMEND
	;;#ASMSTART
	v_dot2_f32_f16 v7, v102, v98, v7
	;;#ASMEND
	;;#ASMSTART
	v_dot2_f32_f16 v7, v103, v99, v7
	;;#ASMEND
	s_wait_dscnt 0x1
	;;#ASMSTART
	v_dot2_f32_f16 v8, v104, v74, v8
	;;#ASMEND
	;;#ASMSTART
	v_dot2_f32_f16 v8, v105, v75, v8
	;;#ASMEND
	;; [unrolled: 3-line block ×16, first 2 shown]
	s_wait_dscnt 0x0
	;;#ASMSTART
	v_dot2_f32_f16 v12, v108, v74, v12
	;;#ASMEND
	;;#ASMSTART
	v_dot2_f32_f16 v12, v109, v75, v12
	;;#ASMEND
	;; [unrolled: 3-line block ×16, first 2 shown]
	ds_load_b128 v[52:55], v29 offset:32
	ds_load_b128 v[74:77], v67 offset:26656
	;; [unrolled: 1-line block ×8, first 2 shown]
	s_wait_dscnt 0x6
	;;#ASMSTART
	v_dot2_f32_f16 v0, v52, v74, v0
	;;#ASMEND
	;;#ASMSTART
	v_dot2_f32_f16 v0, v53, v75, v0
	;;#ASMEND
	;;#ASMSTART
	v_dot2_f32_f16 v0, v54, v76, v0
	;;#ASMEND
	;;#ASMSTART
	v_dot2_f32_f16 v0, v55, v77, v0
	;;#ASMEND
	s_wait_dscnt 0x5
	;;#ASMSTART
	v_dot2_f32_f16 v1, v52, v78, v1
	;;#ASMEND
	;;#ASMSTART
	v_dot2_f32_f16 v1, v53, v79, v1
	;;#ASMEND
	;;#ASMSTART
	v_dot2_f32_f16 v1, v54, v80, v1
	;;#ASMEND
	;;#ASMSTART
	v_dot2_f32_f16 v1, v55, v81, v1
	;;#ASMEND
	;; [unrolled: 13-line block ×5, first 2 shown]
	;;#ASMSTART
	v_dot2_f32_f16 v5, v100, v78, v5
	;;#ASMEND
	;;#ASMSTART
	v_dot2_f32_f16 v5, v101, v79, v5
	;;#ASMEND
	;; [unrolled: 3-line block ×12, first 2 shown]
	s_wait_dscnt 0x1
	;;#ASMSTART
	v_dot2_f32_f16 v8, v104, v74, v8
	;;#ASMEND
	;;#ASMSTART
	v_dot2_f32_f16 v8, v105, v75, v8
	;;#ASMEND
	;; [unrolled: 3-line block ×16, first 2 shown]
	s_wait_dscnt 0x0
	;;#ASMSTART
	v_dot2_f32_f16 v12, v108, v74, v12
	;;#ASMEND
	;;#ASMSTART
	v_dot2_f32_f16 v12, v109, v75, v12
	;;#ASMEND
	;; [unrolled: 3-line block ×16, first 2 shown]
	ds_load_b128 v[52:55], v29 offset:48
	ds_load_b128 v[74:77], v67 offset:26672
	;; [unrolled: 1-line block ×8, first 2 shown]
	s_wait_dscnt 0x6
	;;#ASMSTART
	v_dot2_f32_f16 v0, v52, v74, v0
	;;#ASMEND
	;;#ASMSTART
	v_dot2_f32_f16 v0, v53, v75, v0
	;;#ASMEND
	;;#ASMSTART
	v_dot2_f32_f16 v0, v54, v76, v0
	;;#ASMEND
	;;#ASMSTART
	v_dot2_f32_f16 v0, v55, v77, v0
	;;#ASMEND
	s_wait_dscnt 0x5
	;;#ASMSTART
	v_dot2_f32_f16 v1, v52, v78, v1
	;;#ASMEND
	;;#ASMSTART
	v_dot2_f32_f16 v1, v53, v79, v1
	;;#ASMEND
	;;#ASMSTART
	v_dot2_f32_f16 v1, v54, v80, v1
	;;#ASMEND
	;;#ASMSTART
	v_dot2_f32_f16 v1, v55, v81, v1
	;;#ASMEND
	;; [unrolled: 13-line block ×5, first 2 shown]
	;;#ASMSTART
	v_dot2_f32_f16 v5, v100, v78, v5
	;;#ASMEND
	;;#ASMSTART
	v_dot2_f32_f16 v5, v101, v79, v5
	;;#ASMEND
	;;#ASMSTART
	v_dot2_f32_f16 v5, v102, v80, v5
	;;#ASMEND
	;;#ASMSTART
	v_dot2_f32_f16 v5, v103, v81, v5
	;;#ASMEND
	;;#ASMSTART
	v_dot2_f32_f16 v6, v100, v92, v6
	;;#ASMEND
	;;#ASMSTART
	v_dot2_f32_f16 v6, v101, v93, v6
	;;#ASMEND
	;;#ASMSTART
	v_dot2_f32_f16 v6, v102, v94, v6
	;;#ASMEND
	;;#ASMSTART
	v_dot2_f32_f16 v6, v103, v95, v6
	;;#ASMEND
	;;#ASMSTART
	v_dot2_f32_f16 v7, v100, v96, v7
	;;#ASMEND
	;;#ASMSTART
	v_dot2_f32_f16 v7, v101, v97, v7
	;;#ASMEND
	;;#ASMSTART
	v_dot2_f32_f16 v7, v102, v98, v7
	;;#ASMEND
	;;#ASMSTART
	v_dot2_f32_f16 v7, v103, v99, v7
	;;#ASMEND
	s_wait_dscnt 0x1
	;;#ASMSTART
	v_dot2_f32_f16 v8, v104, v74, v8
	;;#ASMEND
	;;#ASMSTART
	v_dot2_f32_f16 v8, v105, v75, v8
	;;#ASMEND
	;; [unrolled: 3-line block ×16, first 2 shown]
	s_wait_dscnt 0x0
	;;#ASMSTART
	v_dot2_f32_f16 v12, v108, v74, v12
	;;#ASMEND
	;;#ASMSTART
	v_dot2_f32_f16 v12, v109, v75, v12
	;;#ASMEND
	;; [unrolled: 3-line block ×16, first 2 shown]
	ds_load_b128 v[52:55], v29 offset:64
	ds_load_b128 v[74:77], v67 offset:26688
	;; [unrolled: 1-line block ×8, first 2 shown]
	s_wait_dscnt 0x6
	;;#ASMSTART
	v_dot2_f32_f16 v0, v52, v74, v0
	;;#ASMEND
	;;#ASMSTART
	v_dot2_f32_f16 v0, v53, v75, v0
	;;#ASMEND
	;;#ASMSTART
	v_dot2_f32_f16 v0, v54, v76, v0
	;;#ASMEND
	;;#ASMSTART
	v_dot2_f32_f16 v0, v55, v77, v0
	;;#ASMEND
	s_wait_dscnt 0x5
	;;#ASMSTART
	v_dot2_f32_f16 v1, v52, v78, v1
	;;#ASMEND
	;;#ASMSTART
	v_dot2_f32_f16 v1, v53, v79, v1
	;;#ASMEND
	;;#ASMSTART
	v_dot2_f32_f16 v1, v54, v80, v1
	;;#ASMEND
	;;#ASMSTART
	v_dot2_f32_f16 v1, v55, v81, v1
	;;#ASMEND
	;; [unrolled: 13-line block ×5, first 2 shown]
	;;#ASMSTART
	v_dot2_f32_f16 v5, v100, v78, v5
	;;#ASMEND
	;;#ASMSTART
	v_dot2_f32_f16 v5, v101, v79, v5
	;;#ASMEND
	;; [unrolled: 3-line block ×12, first 2 shown]
	s_wait_dscnt 0x1
	;;#ASMSTART
	v_dot2_f32_f16 v8, v104, v74, v8
	;;#ASMEND
	;;#ASMSTART
	v_dot2_f32_f16 v8, v105, v75, v8
	;;#ASMEND
	;; [unrolled: 3-line block ×16, first 2 shown]
	s_wait_dscnt 0x0
	;;#ASMSTART
	v_dot2_f32_f16 v12, v108, v74, v12
	;;#ASMEND
	;;#ASMSTART
	v_dot2_f32_f16 v12, v109, v75, v12
	;;#ASMEND
	;; [unrolled: 3-line block ×16, first 2 shown]
	ds_load_b128 v[52:55], v29 offset:80
	ds_load_b128 v[74:77], v67 offset:26704
	ds_load_b128 v[78:81], v67 offset:26960
	ds_load_b128 v[92:95], v67 offset:27216
	ds_load_b128 v[96:99], v67 offset:27472
	ds_load_b128 v[100:103], v29 offset:4688
	ds_load_b128 v[104:107], v29 offset:9296
	ds_load_b128 v[108:111], v29 offset:13904
	s_wait_dscnt 0x6
	;;#ASMSTART
	v_dot2_f32_f16 v0, v52, v74, v0
	;;#ASMEND
	;;#ASMSTART
	v_dot2_f32_f16 v0, v53, v75, v0
	;;#ASMEND
	;;#ASMSTART
	v_dot2_f32_f16 v0, v54, v76, v0
	;;#ASMEND
	;;#ASMSTART
	v_dot2_f32_f16 v0, v55, v77, v0
	;;#ASMEND
	s_wait_dscnt 0x5
	;;#ASMSTART
	v_dot2_f32_f16 v1, v52, v78, v1
	;;#ASMEND
	;;#ASMSTART
	v_dot2_f32_f16 v1, v53, v79, v1
	;;#ASMEND
	;;#ASMSTART
	v_dot2_f32_f16 v1, v54, v80, v1
	;;#ASMEND
	;;#ASMSTART
	v_dot2_f32_f16 v1, v55, v81, v1
	;;#ASMEND
	;; [unrolled: 13-line block ×5, first 2 shown]
	;;#ASMSTART
	v_dot2_f32_f16 v5, v100, v78, v5
	;;#ASMEND
	;;#ASMSTART
	v_dot2_f32_f16 v5, v101, v79, v5
	;;#ASMEND
	;; [unrolled: 3-line block ×12, first 2 shown]
	s_wait_dscnt 0x1
	;;#ASMSTART
	v_dot2_f32_f16 v8, v104, v74, v8
	;;#ASMEND
	;;#ASMSTART
	v_dot2_f32_f16 v8, v105, v75, v8
	;;#ASMEND
	;; [unrolled: 3-line block ×16, first 2 shown]
	s_wait_dscnt 0x0
	;;#ASMSTART
	v_dot2_f32_f16 v12, v108, v74, v12
	;;#ASMEND
	;;#ASMSTART
	v_dot2_f32_f16 v12, v109, v75, v12
	;;#ASMEND
	;; [unrolled: 3-line block ×16, first 2 shown]
	ds_load_b128 v[52:55], v29 offset:96
	ds_load_b128 v[74:77], v67 offset:26720
	;; [unrolled: 1-line block ×8, first 2 shown]
	s_wait_dscnt 0x6
	;;#ASMSTART
	v_dot2_f32_f16 v0, v52, v74, v0
	;;#ASMEND
	;;#ASMSTART
	v_dot2_f32_f16 v0, v53, v75, v0
	;;#ASMEND
	;;#ASMSTART
	v_dot2_f32_f16 v0, v54, v76, v0
	;;#ASMEND
	;;#ASMSTART
	v_dot2_f32_f16 v0, v55, v77, v0
	;;#ASMEND
	s_wait_dscnt 0x5
	;;#ASMSTART
	v_dot2_f32_f16 v1, v52, v78, v1
	;;#ASMEND
	;;#ASMSTART
	v_dot2_f32_f16 v1, v53, v79, v1
	;;#ASMEND
	;;#ASMSTART
	v_dot2_f32_f16 v1, v54, v80, v1
	;;#ASMEND
	;;#ASMSTART
	v_dot2_f32_f16 v1, v55, v81, v1
	;;#ASMEND
	;; [unrolled: 13-line block ×5, first 2 shown]
	;;#ASMSTART
	v_dot2_f32_f16 v5, v100, v78, v5
	;;#ASMEND
	;;#ASMSTART
	v_dot2_f32_f16 v5, v101, v79, v5
	;;#ASMEND
	;; [unrolled: 3-line block ×12, first 2 shown]
	s_wait_dscnt 0x1
	;;#ASMSTART
	v_dot2_f32_f16 v8, v104, v74, v8
	;;#ASMEND
	;;#ASMSTART
	v_dot2_f32_f16 v8, v105, v75, v8
	;;#ASMEND
	;; [unrolled: 3-line block ×16, first 2 shown]
	s_wait_dscnt 0x0
	;;#ASMSTART
	v_dot2_f32_f16 v12, v108, v74, v12
	;;#ASMEND
	;;#ASMSTART
	v_dot2_f32_f16 v12, v109, v75, v12
	;;#ASMEND
	;; [unrolled: 3-line block ×16, first 2 shown]
	ds_load_b128 v[52:55], v29 offset:112
	ds_load_b128 v[74:77], v67 offset:26736
	;; [unrolled: 1-line block ×8, first 2 shown]
	s_wait_dscnt 0x6
	;;#ASMSTART
	v_dot2_f32_f16 v0, v52, v74, v0
	;;#ASMEND
	;;#ASMSTART
	v_dot2_f32_f16 v0, v53, v75, v0
	;;#ASMEND
	;;#ASMSTART
	v_dot2_f32_f16 v0, v54, v76, v0
	;;#ASMEND
	;;#ASMSTART
	v_dot2_f32_f16 v0, v55, v77, v0
	;;#ASMEND
	s_wait_dscnt 0x5
	;;#ASMSTART
	v_dot2_f32_f16 v1, v52, v78, v1
	;;#ASMEND
	;;#ASMSTART
	v_dot2_f32_f16 v1, v53, v79, v1
	;;#ASMEND
	;;#ASMSTART
	v_dot2_f32_f16 v1, v54, v80, v1
	;;#ASMEND
	;;#ASMSTART
	v_dot2_f32_f16 v1, v55, v81, v1
	;;#ASMEND
	;; [unrolled: 13-line block ×5, first 2 shown]
	;;#ASMSTART
	v_dot2_f32_f16 v5, v100, v78, v5
	;;#ASMEND
	;;#ASMSTART
	v_dot2_f32_f16 v5, v101, v79, v5
	;;#ASMEND
	;; [unrolled: 3-line block ×12, first 2 shown]
	s_wait_dscnt 0x1
	;;#ASMSTART
	v_dot2_f32_f16 v8, v104, v74, v8
	;;#ASMEND
	;;#ASMSTART
	v_dot2_f32_f16 v8, v105, v75, v8
	;;#ASMEND
	;; [unrolled: 3-line block ×16, first 2 shown]
	s_wait_dscnt 0x0
	;;#ASMSTART
	v_dot2_f32_f16 v12, v108, v74, v12
	;;#ASMEND
	;;#ASMSTART
	v_dot2_f32_f16 v12, v109, v75, v12
	;;#ASMEND
	;; [unrolled: 3-line block ×16, first 2 shown]
	s_barrier_signal -1
	s_barrier_wait -1
	s_clause 0x1
	scratch_store_b32 off, v41, off
	scratch_store_b96 off, v[24:26], off offset:4
	flat_load_b128 v[42:45], v[44:45]
	s_wait_loadcnt_dscnt 0x0
	ds_store_b128 v27, v[42:45]
	s_clause 0x1
	scratch_store_b32 off, v41, off
	scratch_store_b96 off, v[24:26], off offset:4
	flat_load_b128 v[42:45], v[46:47]
	s_wait_loadcnt_dscnt 0x0
	ds_store_b128 v27, v[42:45] offset:4608
	s_clause 0x1
	scratch_store_b32 off, v41, off
	scratch_store_b96 off, v[24:26], off offset:4
	flat_load_b128 v[42:45], v[48:49]
	s_wait_loadcnt_dscnt 0x0
	ds_store_b128 v27, v[42:45] offset:9216
	s_clause 0x1
	scratch_store_b96 off, v[24:26], off offset:4
	scratch_store_b32 off, v41, off
	flat_load_b128 v[42:45], v[50:51]
	s_wait_loadcnt_dscnt 0x0
	ds_store_b128 v27, v[42:45] offset:13824
	s_wait_storecnt_dscnt 0x0
	s_barrier_signal -1
	s_barrier_wait -1
	s_wait_xcnt 0x2
	ds_load_b128 v[24:27], v29
	ds_load_b128 v[42:45], v67 offset:26752
	ds_load_b128 v[46:49], v67 offset:27008
	s_wait_xcnt 0x0
	ds_load_b128 v[50:53], v67 offset:27264
	ds_load_b128 v[54:57], v67 offset:27520
	;; [unrolled: 1-line block ×5, first 2 shown]
	s_wait_dscnt 0x6
	;;#ASMSTART
	v_dot2_f32_f16 v0, v24, v42, v0
	;;#ASMEND
	;;#ASMSTART
	v_dot2_f32_f16 v0, v25, v43, v0
	;;#ASMEND
	;;#ASMSTART
	v_dot2_f32_f16 v0, v26, v44, v0
	;;#ASMEND
	;;#ASMSTART
	v_dot2_f32_f16 v0, v27, v45, v0
	;;#ASMEND
	s_wait_dscnt 0x5
	;;#ASMSTART
	v_dot2_f32_f16 v1, v24, v46, v1
	;;#ASMEND
	;;#ASMSTART
	v_dot2_f32_f16 v1, v25, v47, v1
	;;#ASMEND
	;;#ASMSTART
	v_dot2_f32_f16 v1, v26, v48, v1
	;;#ASMEND
	;;#ASMSTART
	v_dot2_f32_f16 v1, v27, v49, v1
	;;#ASMEND
	;; [unrolled: 13-line block ×5, first 2 shown]
	;;#ASMSTART
	v_dot2_f32_f16 v5, v74, v46, v5
	;;#ASMEND
	;;#ASMSTART
	v_dot2_f32_f16 v5, v75, v47, v5
	;;#ASMEND
	;; [unrolled: 3-line block ×12, first 2 shown]
	s_wait_dscnt 0x1
	;;#ASMSTART
	v_dot2_f32_f16 v8, v78, v42, v8
	;;#ASMEND
	;;#ASMSTART
	v_dot2_f32_f16 v8, v79, v43, v8
	;;#ASMEND
	;;#ASMSTART
	v_dot2_f32_f16 v8, v80, v44, v8
	;;#ASMEND
	;;#ASMSTART
	v_dot2_f32_f16 v8, v81, v45, v8
	;;#ASMEND
	;;#ASMSTART
	v_dot2_f32_f16 v9, v78, v46, v9
	;;#ASMEND
	;;#ASMSTART
	v_dot2_f32_f16 v9, v79, v47, v9
	;;#ASMEND
	;;#ASMSTART
	v_dot2_f32_f16 v9, v80, v48, v9
	;;#ASMEND
	;;#ASMSTART
	v_dot2_f32_f16 v9, v81, v49, v9
	;;#ASMEND
	;;#ASMSTART
	v_dot2_f32_f16 v10, v78, v50, v10
	;;#ASMEND
	;;#ASMSTART
	v_dot2_f32_f16 v10, v79, v51, v10
	;;#ASMEND
	;;#ASMSTART
	v_dot2_f32_f16 v10, v80, v52, v10
	;;#ASMEND
	;;#ASMSTART
	v_dot2_f32_f16 v10, v81, v53, v10
	;;#ASMEND
	;;#ASMSTART
	v_dot2_f32_f16 v11, v78, v54, v11
	;;#ASMEND
	;;#ASMSTART
	v_dot2_f32_f16 v11, v79, v55, v11
	;;#ASMEND
	;;#ASMSTART
	v_dot2_f32_f16 v11, v80, v56, v11
	;;#ASMEND
	;;#ASMSTART
	v_dot2_f32_f16 v11, v81, v57, v11
	;;#ASMEND
	s_wait_dscnt 0x0
	;;#ASMSTART
	v_dot2_f32_f16 v12, v92, v42, v12
	;;#ASMEND
	;;#ASMSTART
	v_dot2_f32_f16 v12, v93, v43, v12
	;;#ASMEND
	;; [unrolled: 3-line block ×16, first 2 shown]
	ds_load_b128 v[24:27], v29 offset:16
	ds_load_b128 v[42:45], v67 offset:26768
	;; [unrolled: 1-line block ×8, first 2 shown]
	s_wait_dscnt 0x6
	;;#ASMSTART
	v_dot2_f32_f16 v0, v24, v42, v0
	;;#ASMEND
	;;#ASMSTART
	v_dot2_f32_f16 v0, v25, v43, v0
	;;#ASMEND
	;;#ASMSTART
	v_dot2_f32_f16 v0, v26, v44, v0
	;;#ASMEND
	;;#ASMSTART
	v_dot2_f32_f16 v0, v27, v45, v0
	;;#ASMEND
	s_wait_dscnt 0x5
	;;#ASMSTART
	v_dot2_f32_f16 v1, v24, v46, v1
	;;#ASMEND
	;;#ASMSTART
	v_dot2_f32_f16 v1, v25, v47, v1
	;;#ASMEND
	;;#ASMSTART
	v_dot2_f32_f16 v1, v26, v48, v1
	;;#ASMEND
	;;#ASMSTART
	v_dot2_f32_f16 v1, v27, v49, v1
	;;#ASMEND
	;; [unrolled: 13-line block ×5, first 2 shown]
	;;#ASMSTART
	v_dot2_f32_f16 v5, v74, v46, v5
	;;#ASMEND
	;;#ASMSTART
	v_dot2_f32_f16 v5, v75, v47, v5
	;;#ASMEND
	;;#ASMSTART
	v_dot2_f32_f16 v5, v76, v48, v5
	;;#ASMEND
	;;#ASMSTART
	v_dot2_f32_f16 v5, v77, v49, v5
	;;#ASMEND
	;;#ASMSTART
	v_dot2_f32_f16 v6, v74, v50, v6
	;;#ASMEND
	;;#ASMSTART
	v_dot2_f32_f16 v6, v75, v51, v6
	;;#ASMEND
	;;#ASMSTART
	v_dot2_f32_f16 v6, v76, v52, v6
	;;#ASMEND
	;;#ASMSTART
	v_dot2_f32_f16 v6, v77, v53, v6
	;;#ASMEND
	;;#ASMSTART
	v_dot2_f32_f16 v7, v74, v54, v7
	;;#ASMEND
	;;#ASMSTART
	v_dot2_f32_f16 v7, v75, v55, v7
	;;#ASMEND
	;;#ASMSTART
	v_dot2_f32_f16 v7, v76, v56, v7
	;;#ASMEND
	;;#ASMSTART
	v_dot2_f32_f16 v7, v77, v57, v7
	;;#ASMEND
	s_wait_dscnt 0x1
	;;#ASMSTART
	v_dot2_f32_f16 v8, v78, v42, v8
	;;#ASMEND
	;;#ASMSTART
	v_dot2_f32_f16 v8, v79, v43, v8
	;;#ASMEND
	;; [unrolled: 3-line block ×16, first 2 shown]
	s_wait_dscnt 0x0
	;;#ASMSTART
	v_dot2_f32_f16 v12, v92, v42, v12
	;;#ASMEND
	;;#ASMSTART
	v_dot2_f32_f16 v12, v93, v43, v12
	;;#ASMEND
	;; [unrolled: 3-line block ×16, first 2 shown]
	ds_load_b128 v[24:27], v29 offset:32
	ds_load_b128 v[42:45], v67 offset:26784
	;; [unrolled: 1-line block ×8, first 2 shown]
	s_wait_dscnt 0x6
	;;#ASMSTART
	v_dot2_f32_f16 v0, v24, v42, v0
	;;#ASMEND
	;;#ASMSTART
	v_dot2_f32_f16 v0, v25, v43, v0
	;;#ASMEND
	;;#ASMSTART
	v_dot2_f32_f16 v0, v26, v44, v0
	;;#ASMEND
	;;#ASMSTART
	v_dot2_f32_f16 v0, v27, v45, v0
	;;#ASMEND
	s_wait_dscnt 0x5
	;;#ASMSTART
	v_dot2_f32_f16 v1, v24, v46, v1
	;;#ASMEND
	;;#ASMSTART
	v_dot2_f32_f16 v1, v25, v47, v1
	;;#ASMEND
	;;#ASMSTART
	v_dot2_f32_f16 v1, v26, v48, v1
	;;#ASMEND
	;;#ASMSTART
	v_dot2_f32_f16 v1, v27, v49, v1
	;;#ASMEND
	;; [unrolled: 13-line block ×5, first 2 shown]
	;;#ASMSTART
	v_dot2_f32_f16 v5, v74, v46, v5
	;;#ASMEND
	;;#ASMSTART
	v_dot2_f32_f16 v5, v75, v47, v5
	;;#ASMEND
	;; [unrolled: 3-line block ×12, first 2 shown]
	s_wait_dscnt 0x1
	;;#ASMSTART
	v_dot2_f32_f16 v8, v78, v42, v8
	;;#ASMEND
	;;#ASMSTART
	v_dot2_f32_f16 v8, v79, v43, v8
	;;#ASMEND
	;; [unrolled: 3-line block ×16, first 2 shown]
	s_wait_dscnt 0x0
	;;#ASMSTART
	v_dot2_f32_f16 v12, v92, v42, v12
	;;#ASMEND
	;;#ASMSTART
	v_dot2_f32_f16 v12, v93, v43, v12
	;;#ASMEND
	;; [unrolled: 3-line block ×16, first 2 shown]
	ds_load_b128 v[24:27], v29 offset:48
	ds_load_b128 v[42:45], v67 offset:26800
	;; [unrolled: 1-line block ×8, first 2 shown]
	s_wait_dscnt 0x6
	;;#ASMSTART
	v_dot2_f32_f16 v0, v24, v42, v0
	;;#ASMEND
	;;#ASMSTART
	v_dot2_f32_f16 v0, v25, v43, v0
	;;#ASMEND
	;;#ASMSTART
	v_dot2_f32_f16 v0, v26, v44, v0
	;;#ASMEND
	;;#ASMSTART
	v_dot2_f32_f16 v0, v27, v45, v0
	;;#ASMEND
	s_wait_dscnt 0x5
	;;#ASMSTART
	v_dot2_f32_f16 v1, v24, v46, v1
	;;#ASMEND
	;;#ASMSTART
	v_dot2_f32_f16 v1, v25, v47, v1
	;;#ASMEND
	;;#ASMSTART
	v_dot2_f32_f16 v1, v26, v48, v1
	;;#ASMEND
	;;#ASMSTART
	v_dot2_f32_f16 v1, v27, v49, v1
	;;#ASMEND
	;; [unrolled: 13-line block ×5, first 2 shown]
	;;#ASMSTART
	v_dot2_f32_f16 v5, v74, v46, v5
	;;#ASMEND
	;;#ASMSTART
	v_dot2_f32_f16 v5, v75, v47, v5
	;;#ASMEND
	;; [unrolled: 3-line block ×12, first 2 shown]
	s_wait_dscnt 0x1
	;;#ASMSTART
	v_dot2_f32_f16 v8, v78, v42, v8
	;;#ASMEND
	;;#ASMSTART
	v_dot2_f32_f16 v8, v79, v43, v8
	;;#ASMEND
	;; [unrolled: 3-line block ×16, first 2 shown]
	s_wait_dscnt 0x0
	;;#ASMSTART
	v_dot2_f32_f16 v12, v92, v42, v12
	;;#ASMEND
	;;#ASMSTART
	v_dot2_f32_f16 v12, v93, v43, v12
	;;#ASMEND
	;; [unrolled: 3-line block ×16, first 2 shown]
	ds_load_b128 v[24:27], v29 offset:64
	ds_load_b128 v[42:45], v67 offset:26816
	;; [unrolled: 1-line block ×8, first 2 shown]
	s_wait_dscnt 0x6
	;;#ASMSTART
	v_dot2_f32_f16 v0, v24, v42, v0
	;;#ASMEND
	;;#ASMSTART
	v_dot2_f32_f16 v0, v25, v43, v0
	;;#ASMEND
	;;#ASMSTART
	v_dot2_f32_f16 v0, v26, v44, v0
	;;#ASMEND
	;;#ASMSTART
	v_dot2_f32_f16 v0, v27, v45, v0
	;;#ASMEND
	s_wait_dscnt 0x5
	;;#ASMSTART
	v_dot2_f32_f16 v1, v24, v46, v1
	;;#ASMEND
	;;#ASMSTART
	v_dot2_f32_f16 v1, v25, v47, v1
	;;#ASMEND
	;;#ASMSTART
	v_dot2_f32_f16 v1, v26, v48, v1
	;;#ASMEND
	;;#ASMSTART
	v_dot2_f32_f16 v1, v27, v49, v1
	;;#ASMEND
	;; [unrolled: 13-line block ×5, first 2 shown]
	;;#ASMSTART
	v_dot2_f32_f16 v5, v74, v46, v5
	;;#ASMEND
	;;#ASMSTART
	v_dot2_f32_f16 v5, v75, v47, v5
	;;#ASMEND
	;; [unrolled: 3-line block ×12, first 2 shown]
	s_wait_dscnt 0x1
	;;#ASMSTART
	v_dot2_f32_f16 v8, v78, v42, v8
	;;#ASMEND
	;;#ASMSTART
	v_dot2_f32_f16 v8, v79, v43, v8
	;;#ASMEND
	;; [unrolled: 3-line block ×16, first 2 shown]
	s_wait_dscnt 0x0
	;;#ASMSTART
	v_dot2_f32_f16 v12, v92, v42, v12
	;;#ASMEND
	;;#ASMSTART
	v_dot2_f32_f16 v12, v93, v43, v12
	;;#ASMEND
	;; [unrolled: 3-line block ×16, first 2 shown]
	ds_load_b128 v[24:27], v29 offset:80
	ds_load_b128 v[42:45], v67 offset:26832
	;; [unrolled: 1-line block ×8, first 2 shown]
	s_wait_dscnt 0x6
	;;#ASMSTART
	v_dot2_f32_f16 v0, v24, v42, v0
	;;#ASMEND
	;;#ASMSTART
	v_dot2_f32_f16 v0, v25, v43, v0
	;;#ASMEND
	;;#ASMSTART
	v_dot2_f32_f16 v0, v26, v44, v0
	;;#ASMEND
	;;#ASMSTART
	v_dot2_f32_f16 v0, v27, v45, v0
	;;#ASMEND
	s_wait_dscnt 0x5
	;;#ASMSTART
	v_dot2_f32_f16 v1, v24, v46, v1
	;;#ASMEND
	;;#ASMSTART
	v_dot2_f32_f16 v1, v25, v47, v1
	;;#ASMEND
	;;#ASMSTART
	v_dot2_f32_f16 v1, v26, v48, v1
	;;#ASMEND
	;;#ASMSTART
	v_dot2_f32_f16 v1, v27, v49, v1
	;;#ASMEND
	s_wait_dscnt 0x4
	;;#ASMSTART
	v_dot2_f32_f16 v2, v24, v50, v2
	;;#ASMEND
	;;#ASMSTART
	v_dot2_f32_f16 v2, v25, v51, v2
	;;#ASMEND
	;;#ASMSTART
	v_dot2_f32_f16 v2, v26, v52, v2
	;;#ASMEND
	;;#ASMSTART
	v_dot2_f32_f16 v2, v27, v53, v2
	;;#ASMEND
	s_wait_dscnt 0x3
	;;#ASMSTART
	v_dot2_f32_f16 v3, v24, v54, v3
	;;#ASMEND
	;;#ASMSTART
	v_dot2_f32_f16 v3, v25, v55, v3
	;;#ASMEND
	;;#ASMSTART
	v_dot2_f32_f16 v3, v26, v56, v3
	;;#ASMEND
	;;#ASMSTART
	v_dot2_f32_f16 v3, v27, v57, v3
	;;#ASMEND
	s_wait_dscnt 0x2
	;;#ASMSTART
	v_dot2_f32_f16 v4, v74, v42, v4
	;;#ASMEND
	;;#ASMSTART
	v_dot2_f32_f16 v4, v75, v43, v4
	;;#ASMEND
	;;#ASMSTART
	v_dot2_f32_f16 v4, v76, v44, v4
	;;#ASMEND
	;;#ASMSTART
	v_dot2_f32_f16 v4, v77, v45, v4
	;;#ASMEND
	;;#ASMSTART
	v_dot2_f32_f16 v5, v74, v46, v5
	;;#ASMEND
	;;#ASMSTART
	v_dot2_f32_f16 v5, v75, v47, v5
	;;#ASMEND
	;;#ASMSTART
	v_dot2_f32_f16 v5, v76, v48, v5
	;;#ASMEND
	;;#ASMSTART
	v_dot2_f32_f16 v5, v77, v49, v5
	;;#ASMEND
	;;#ASMSTART
	v_dot2_f32_f16 v6, v74, v50, v6
	;;#ASMEND
	;;#ASMSTART
	v_dot2_f32_f16 v6, v75, v51, v6
	;;#ASMEND
	;;#ASMSTART
	v_dot2_f32_f16 v6, v76, v52, v6
	;;#ASMEND
	;;#ASMSTART
	v_dot2_f32_f16 v6, v77, v53, v6
	;;#ASMEND
	;;#ASMSTART
	v_dot2_f32_f16 v7, v74, v54, v7
	;;#ASMEND
	;;#ASMSTART
	v_dot2_f32_f16 v7, v75, v55, v7
	;;#ASMEND
	;;#ASMSTART
	v_dot2_f32_f16 v7, v76, v56, v7
	;;#ASMEND
	;;#ASMSTART
	v_dot2_f32_f16 v7, v77, v57, v7
	;;#ASMEND
	s_wait_dscnt 0x1
	;;#ASMSTART
	v_dot2_f32_f16 v8, v78, v42, v8
	;;#ASMEND
	;;#ASMSTART
	v_dot2_f32_f16 v8, v79, v43, v8
	;;#ASMEND
	;; [unrolled: 3-line block ×16, first 2 shown]
	s_wait_dscnt 0x0
	;;#ASMSTART
	v_dot2_f32_f16 v12, v92, v42, v12
	;;#ASMEND
	;;#ASMSTART
	v_dot2_f32_f16 v12, v93, v43, v12
	;;#ASMEND
	;; [unrolled: 3-line block ×16, first 2 shown]
	ds_load_b128 v[24:27], v29 offset:96
	ds_load_b128 v[42:45], v67 offset:26848
	;; [unrolled: 1-line block ×8, first 2 shown]
	s_wait_dscnt 0x6
	;;#ASMSTART
	v_dot2_f32_f16 v0, v24, v42, v0
	;;#ASMEND
	;;#ASMSTART
	v_dot2_f32_f16 v0, v25, v43, v0
	;;#ASMEND
	;;#ASMSTART
	v_dot2_f32_f16 v0, v26, v44, v0
	;;#ASMEND
	;;#ASMSTART
	v_dot2_f32_f16 v0, v27, v45, v0
	;;#ASMEND
	s_wait_dscnt 0x5
	;;#ASMSTART
	v_dot2_f32_f16 v1, v24, v46, v1
	;;#ASMEND
	;;#ASMSTART
	v_dot2_f32_f16 v1, v25, v47, v1
	;;#ASMEND
	;;#ASMSTART
	v_dot2_f32_f16 v1, v26, v48, v1
	;;#ASMEND
	;;#ASMSTART
	v_dot2_f32_f16 v1, v27, v49, v1
	;;#ASMEND
	;; [unrolled: 13-line block ×5, first 2 shown]
	;;#ASMSTART
	v_dot2_f32_f16 v5, v74, v46, v5
	;;#ASMEND
	;;#ASMSTART
	v_dot2_f32_f16 v5, v75, v47, v5
	;;#ASMEND
	;; [unrolled: 3-line block ×12, first 2 shown]
	s_wait_dscnt 0x1
	;;#ASMSTART
	v_dot2_f32_f16 v8, v78, v42, v8
	;;#ASMEND
	;;#ASMSTART
	v_dot2_f32_f16 v8, v79, v43, v8
	;;#ASMEND
	;; [unrolled: 3-line block ×16, first 2 shown]
	s_wait_dscnt 0x0
	;;#ASMSTART
	v_dot2_f32_f16 v12, v92, v42, v12
	;;#ASMEND
	;;#ASMSTART
	v_dot2_f32_f16 v12, v93, v43, v12
	;;#ASMEND
	;; [unrolled: 3-line block ×16, first 2 shown]
	ds_load_b128 v[24:27], v29 offset:112
	ds_load_b128 v[42:45], v29 offset:4720
	;; [unrolled: 1-line block ×8, first 2 shown]
	s_wait_dscnt 0x3
	;;#ASMSTART
	v_dot2_f32_f16 v0, v24, v54, v0
	;;#ASMEND
	;;#ASMSTART
	v_dot2_f32_f16 v0, v25, v55, v0
	;;#ASMEND
	;;#ASMSTART
	v_dot2_f32_f16 v0, v26, v56, v0
	;;#ASMEND
	;;#ASMSTART
	v_dot2_f32_f16 v0, v27, v57, v0
	;;#ASMEND
	s_wait_dscnt 0x2
	;;#ASMSTART
	v_dot2_f32_f16 v1, v24, v74, v1
	;;#ASMEND
	;;#ASMSTART
	v_dot2_f32_f16 v1, v25, v75, v1
	;;#ASMEND
	;;#ASMSTART
	v_dot2_f32_f16 v1, v26, v76, v1
	;;#ASMEND
	;;#ASMSTART
	v_dot2_f32_f16 v1, v27, v77, v1
	;;#ASMEND
	;; [unrolled: 13-line block ×4, first 2 shown]
	;;#ASMSTART
	v_dot2_f32_f16 v4, v42, v54, v4
	;;#ASMEND
	;;#ASMSTART
	v_dot2_f32_f16 v4, v43, v55, v4
	;;#ASMEND
	;; [unrolled: 3-line block ×38, first 2 shown]
	v_mov_b64_e32 v[26:27], v[22:23]
	;;#ASMSTART
	v_dot2_f32_f16 v13, v52, v76, v13
	;;#ASMEND
	v_mov_b64_e32 v[24:25], v[20:21]
	;;#ASMSTART
	v_dot2_f32_f16 v13, v53, v77, v13
	;;#ASMEND
	;;#ASMSTART
	v_dot2_f32_f16 v14, v50, v78, v14
	;;#ASMEND
	;; [unrolled: 3-line block ×3, first 2 shown]
	v_cndmask_b32_e64 v48, 0, 1, s4
	;;#ASMSTART
	v_dot2_f32_f16 v14, v52, v80, v14
	;;#ASMEND
	;;#ASMSTART
	v_dot2_f32_f16 v14, v53, v81, v14
	;;#ASMEND
	;; [unrolled: 3-line block ×6, first 2 shown]
	s_and_saveexec_b32 s3, s2
	s_cbranch_execz .LBB56_52
; %bb.49:
	s_and_not1_b32 vcc_lo, exec_lo, s4
	s_cbranch_vccnz .LBB56_51
; %bb.50:
	v_add_nc_u32_e32 v24, v38, v28
	global_load_u16 v24, v24, s[36:37] scale_offset
	s_wait_loadcnt 0x0
	v_cvt_f32_f16_e32 v24, v24
	s_delay_alu instid0(VALU_DEP_1)
	v_mul_f32_e32 v41, v72, v24
.LBB56_51:
	v_max_num_f32_e32 v25, v20, v20
	s_delay_alu instid0(VALU_DEP_2) | instskip(NEXT) | instid1(VALU_DEP_1)
	v_add_f32_e32 v0, v0, v41
	v_add_f32_e32 v24, 0x40051340, v0
	s_delay_alu instid0(VALU_DEP_1) | instskip(SKIP_2) | instid1(VALU_DEP_3)
	v_max_num_f32_e32 v29, v25, v24
	v_mov_b64_e32 v[26:27], v[22:23]
	v_mov_b64_e32 v[24:25], v[20:21]
	v_mov_b32_e32 v24, v29
.LBB56_52:
	s_or_b32 exec_lo, exec_lo, s3
	v_add_nc_u32_e32 v45, 32, v28
	s_delay_alu instid0(VALU_DEP_1)
	v_cmp_gt_i32_e64 s3, s26, v45
	s_and_saveexec_b32 s4, s3
	s_cbranch_execz .LBB56_57
; %bb.53:
	v_cmp_ne_u32_e32 vcc_lo, 1, v48
	s_cbranch_vccnz .LBB56_55
; %bb.54:
	v_dual_ashrrev_i32 v39, 31, v38 :: v_dual_mov_b32 v29, 0
	s_delay_alu instid0(VALU_DEP_1) | instskip(NEXT) | instid1(VALU_DEP_1)
	v_add_nc_u64_e32 v[40:41], v[38:39], v[28:29]
	v_lshl_add_u64 v[40:41], v[40:41], 1, s[36:37]
	global_load_u16 v29, v[40:41], off offset:64
	s_wait_loadcnt 0x0
	v_cvt_f32_f16_e32 v29, v29
	s_delay_alu instid0(VALU_DEP_1)
	v_mul_f32_e32 v29, v72, v29
	s_branch .LBB56_56
.LBB56_55:
	v_mov_b32_e32 v29, 0
.LBB56_56:
	s_delay_alu instid0(VALU_DEP_1) | instskip(SKIP_1) | instid1(VALU_DEP_2)
	v_add_f32_e32 v4, v4, v29
	v_max_num_f32_e32 v24, v24, v24
	v_add_f32_e32 v29, 0x40051340, v4
	s_delay_alu instid0(VALU_DEP_1)
	v_max_num_f32_e32 v24, v24, v29
.LBB56_57:
	s_or_b32 exec_lo, exec_lo, s4
	v_add_nc_u32_e32 v46, 64, v28
	s_delay_alu instid0(VALU_DEP_1)
	v_cmp_gt_i32_e64 s4, s26, v46
	s_and_saveexec_b32 s5, s4
	s_cbranch_execz .LBB56_62
; %bb.58:
	v_cmp_ne_u32_e32 vcc_lo, 1, v48
	s_cbranch_vccnz .LBB56_60
; %bb.59:
	v_dual_ashrrev_i32 v39, 31, v38 :: v_dual_mov_b32 v29, 0
	s_delay_alu instid0(VALU_DEP_1) | instskip(NEXT) | instid1(VALU_DEP_1)
	v_add_nc_u64_e32 v[40:41], v[38:39], v[28:29]
	v_lshl_add_u64 v[40:41], v[40:41], 1, s[36:37]
	global_load_u16 v29, v[40:41], off offset:128
	s_wait_loadcnt 0x0
	v_cvt_f32_f16_e32 v29, v29
	s_delay_alu instid0(VALU_DEP_1)
	v_mul_f32_e32 v29, v72, v29
	s_branch .LBB56_61
.LBB56_60:
	v_mov_b32_e32 v29, 0
.LBB56_61:
	s_delay_alu instid0(VALU_DEP_1) | instskip(SKIP_1) | instid1(VALU_DEP_2)
	v_add_f32_e32 v8, v8, v29
	v_max_num_f32_e32 v24, v24, v24
	v_add_f32_e32 v29, 0x40051340, v8
	s_delay_alu instid0(VALU_DEP_1)
	v_max_num_f32_e32 v24, v24, v29
.LBB56_62:
	;; [unrolled: 30-line block ×3, first 2 shown]
	s_or_b32 exec_lo, exec_lo, s8
	v_xor_b32_e32 v44, 16, v66
	v_xor_b32_e32 v41, 8, v66
	;; [unrolled: 1-line block ×3, first 2 shown]
	v_dual_mov_b32 v37, 0 :: v_dual_bitop2_b32 v39, 2, v66 bitop3:0x14
	s_delay_alu instid0(VALU_DEP_4) | instskip(NEXT) | instid1(VALU_DEP_2)
	v_cmp_gt_i32_e32 vcc_lo, 32, v44
	v_mul_u64_e32 v[42:43], s[10:11], v[36:37]
	v_cndmask_b32_e32 v29, v66, v44, vcc_lo
	v_cmp_gt_i32_e32 vcc_lo, 32, v41
	s_delay_alu instid0(VALU_DEP_2)
	v_dual_lshlrev_b32 v38, 2, v29 :: v_dual_bitop2_b32 v42, 1, v66 bitop3:0x14
	v_cndmask_b32_e32 v33, v66, v41, vcc_lo
	v_cmp_gt_i32_e32 vcc_lo, 32, v40
	ds_bpermute_b32 v29, v38, v24
	v_dual_max_num_f32 v24, v24, v24 :: v_dual_lshlrev_b32 v49, 2, v33
	v_cndmask_b32_e32 v33, v66, v40, vcc_lo
	v_cmp_gt_i32_e32 vcc_lo, 32, v39
	s_delay_alu instid0(VALU_DEP_2) | instskip(SKIP_2) | instid1(VALU_DEP_1)
	v_lshlrev_b32_e32 v50, 2, v33
	s_wait_dscnt 0x0
	v_dual_max_num_f32 v29, v29, v29 :: v_dual_add_nc_u32 v35, v36, v43
	v_dual_mov_b32 v43, 32 :: v_dual_max_num_f32 v24, v24, v29
	ds_bpermute_b32 v29, v49, v24
	s_wait_dscnt 0x0
	v_max_num_f32_e32 v29, v29, v29
	s_delay_alu instid0(VALU_DEP_1)
	v_max_num_f32_e32 v24, v24, v29
	ds_bpermute_b32 v29, v50, v24
	v_cndmask_b32_e32 v33, v66, v39, vcc_lo
	v_cmp_gt_i32_e32 vcc_lo, 32, v42
	s_wait_dscnt 0x0
	v_max_num_f32_e32 v29, v29, v29
	s_delay_alu instid0(VALU_DEP_3) | instskip(NEXT) | instid1(VALU_DEP_2)
	v_dual_lshlrev_b32 v51, 2, v33 :: v_dual_cndmask_b32 v33, v66, v42, vcc_lo
	v_max_num_f32_e32 v24, v24, v29
	s_delay_alu instid0(VALU_DEP_2) | instskip(SKIP_3) | instid1(VALU_DEP_1)
	v_lshlrev_b32_e32 v52, 2, v33
	ds_bpermute_b32 v29, v51, v24
	s_wait_dscnt 0x0
	v_max_num_f32_e32 v29, v29, v29
	v_dual_max_num_f32 v24, v24, v29 :: v_dual_lshrrev_b32 v29, s21, v35
	ds_bpermute_b32 v33, v52, v24
	v_mul_lo_u32 v29, v29, s22
	s_delay_alu instid0(VALU_DEP_1) | instskip(NEXT) | instid1(VALU_DEP_1)
	v_sub_nc_u32_e32 v29, v36, v29
	v_mad_u32 v36, v29, s28, s24
	s_wait_dscnt 0x0
	v_max_num_f32_e32 v29, v33, v33
	s_delay_alu instid0(VALU_DEP_1)
	v_max_num_f32_e32 v24, v24, v29
	s_and_saveexec_b32 s8, s2
	s_cbranch_execnz .LBB56_71
; %bb.68:
	s_or_b32 exec_lo, exec_lo, s8
	s_and_saveexec_b32 s8, s3
	s_cbranch_execnz .LBB56_74
.LBB56_69:
	s_or_b32 exec_lo, exec_lo, s8
	s_and_saveexec_b32 s8, s4
	s_cbranch_execnz .LBB56_78
.LBB56_70:
	s_or_b32 exec_lo, exec_lo, s8
	s_and_saveexec_b32 s8, s5
	s_cbranch_execnz .LBB56_82
	s_branch .LBB56_86
.LBB56_71:
	v_cmp_ne_u32_e32 vcc_lo, 1, v48
	s_cbranch_vccnz .LBB56_73
; %bb.72:
	s_delay_alu instid0(VALU_DEP_4) | instskip(SKIP_3) | instid1(VALU_DEP_1)
	v_add_nc_u32_e32 v29, v36, v28
	global_load_u16 v29, v29, s[36:37] scale_offset
	s_wait_loadcnt 0x0
	v_cvt_f32_f16_e32 v29, v29
	v_mul_f32_e32 v37, v72, v29
.LBB56_73:
	s_delay_alu instid0(VALU_DEP_1) | instskip(SKIP_1) | instid1(VALU_DEP_2)
	v_add_f32_e32 v1, v1, v37
	v_max_num_f32_e32 v25, v25, v25
	v_add_f32_e32 v29, 0x40051340, v1
	s_delay_alu instid0(VALU_DEP_1)
	v_max_num_f32_e32 v25, v25, v29
	s_or_b32 exec_lo, exec_lo, s8
	s_and_saveexec_b32 s8, s3
	s_cbranch_execz .LBB56_69
.LBB56_74:
	v_cmp_ne_u32_e32 vcc_lo, 1, v48
	s_cbranch_vccnz .LBB56_76
; %bb.75:
	v_dual_ashrrev_i32 v37, 31, v36 :: v_dual_mov_b32 v29, 0
	s_delay_alu instid0(VALU_DEP_1) | instskip(NEXT) | instid1(VALU_DEP_1)
	v_add_nc_u64_e32 v[54:55], v[36:37], v[28:29]
	v_lshl_add_u64 v[54:55], v[54:55], 1, s[36:37]
	global_load_u16 v29, v[54:55], off offset:64
	s_wait_loadcnt 0x0
	v_cvt_f32_f16_e32 v29, v29
	s_delay_alu instid0(VALU_DEP_1)
	v_mul_f32_e32 v29, v72, v29
	s_branch .LBB56_77
.LBB56_76:
	v_mov_b32_e32 v29, 0
.LBB56_77:
	s_delay_alu instid0(VALU_DEP_1) | instskip(SKIP_1) | instid1(VALU_DEP_2)
	v_add_f32_e32 v5, v5, v29
	v_max_num_f32_e32 v25, v25, v25
	v_add_f32_e32 v29, 0x40051340, v5
	s_delay_alu instid0(VALU_DEP_1)
	v_max_num_f32_e32 v25, v25, v29
	s_or_b32 exec_lo, exec_lo, s8
	s_and_saveexec_b32 s8, s4
	s_cbranch_execz .LBB56_70
.LBB56_78:
	v_cmp_ne_u32_e32 vcc_lo, 1, v48
	s_cbranch_vccnz .LBB56_80
; %bb.79:
	v_dual_ashrrev_i32 v37, 31, v36 :: v_dual_mov_b32 v29, 0
	s_delay_alu instid0(VALU_DEP_1) | instskip(NEXT) | instid1(VALU_DEP_1)
	v_add_nc_u64_e32 v[54:55], v[36:37], v[28:29]
	v_lshl_add_u64 v[54:55], v[54:55], 1, s[36:37]
	global_load_u16 v29, v[54:55], off offset:128
	s_wait_loadcnt 0x0
	v_cvt_f32_f16_e32 v29, v29
	s_delay_alu instid0(VALU_DEP_1)
	v_mul_f32_e32 v29, v72, v29
	s_branch .LBB56_81
.LBB56_80:
	v_mov_b32_e32 v29, 0
.LBB56_81:
	s_delay_alu instid0(VALU_DEP_1) | instskip(SKIP_1) | instid1(VALU_DEP_2)
	v_add_f32_e32 v9, v9, v29
	v_max_num_f32_e32 v25, v25, v25
	v_add_f32_e32 v29, 0x40051340, v9
	s_delay_alu instid0(VALU_DEP_1)
	v_max_num_f32_e32 v25, v25, v29
	s_or_b32 exec_lo, exec_lo, s8
	s_and_saveexec_b32 s8, s5
	s_cbranch_execz .LBB56_86
.LBB56_82:
	v_cmp_ne_u32_e32 vcc_lo, 1, v48
	s_cbranch_vccnz .LBB56_84
; %bb.83:
	v_dual_ashrrev_i32 v37, 31, v36 :: v_dual_mov_b32 v29, 0
	s_delay_alu instid0(VALU_DEP_1) | instskip(NEXT) | instid1(VALU_DEP_1)
	v_add_nc_u64_e32 v[36:37], v[36:37], v[28:29]
	v_lshl_add_u64 v[36:37], v[36:37], 1, s[36:37]
	global_load_u16 v29, v[36:37], off offset:192
	s_wait_loadcnt 0x0
	v_cvt_f32_f16_e32 v29, v29
	s_delay_alu instid0(VALU_DEP_1)
	v_mul_f32_e32 v29, v72, v29
	s_branch .LBB56_85
.LBB56_84:
	v_mov_b32_e32 v29, 0
.LBB56_85:
	s_delay_alu instid0(VALU_DEP_1) | instskip(SKIP_1) | instid1(VALU_DEP_2)
	v_add_f32_e32 v13, v13, v29
	v_max_num_f32_e32 v25, v25, v25
	v_add_f32_e32 v29, 0x40051340, v13
	s_delay_alu instid0(VALU_DEP_1)
	v_max_num_f32_e32 v25, v25, v29
.LBB56_86:
	s_or_b32 exec_lo, exec_lo, s8
	ds_bpermute_b32 v29, v38, v25
	v_dual_max_num_f32 v25, v25, v25 :: v_dual_mov_b32 v35, 0
	s_delay_alu instid0(VALU_DEP_1) | instskip(SKIP_2) | instid1(VALU_DEP_1)
	v_mul_u64_e32 v[36:37], s[10:11], v[34:35]
	s_wait_dscnt 0x0
	v_max_num_f32_e32 v29, v29, v29
	v_max_num_f32_e32 v25, v25, v29
	ds_bpermute_b32 v29, v49, v25
	v_add_nc_u32_e32 v33, v34, v37
	s_wait_dscnt 0x0
	v_max_num_f32_e32 v29, v29, v29
	s_delay_alu instid0(VALU_DEP_1) | instskip(SKIP_3) | instid1(VALU_DEP_1)
	v_max_num_f32_e32 v25, v25, v29
	ds_bpermute_b32 v29, v50, v25
	s_wait_dscnt 0x0
	v_max_num_f32_e32 v29, v29, v29
	v_max_num_f32_e32 v25, v25, v29
	ds_bpermute_b32 v29, v51, v25
	s_wait_dscnt 0x0
	v_max_num_f32_e32 v29, v29, v29
	s_delay_alu instid0(VALU_DEP_1) | instskip(SKIP_3) | instid1(VALU_DEP_1)
	v_max_num_f32_e32 v25, v25, v29
	v_lshrrev_b32_e32 v29, s21, v33
	ds_bpermute_b32 v33, v52, v25
	v_mul_lo_u32 v29, v29, s22
	v_sub_nc_u32_e32 v29, v34, v29
	s_delay_alu instid0(VALU_DEP_1) | instskip(SKIP_2) | instid1(VALU_DEP_1)
	v_mad_u32 v34, v29, s28, s24
	s_wait_dscnt 0x0
	v_max_num_f32_e32 v29, v33, v33
	v_max_num_f32_e32 v25, v25, v29
	s_and_saveexec_b32 s8, s2
	s_cbranch_execnz .LBB56_90
; %bb.87:
	s_or_b32 exec_lo, exec_lo, s8
	s_and_saveexec_b32 s8, s3
	s_cbranch_execnz .LBB56_93
.LBB56_88:
	s_or_b32 exec_lo, exec_lo, s8
	s_and_saveexec_b32 s8, s4
	s_cbranch_execnz .LBB56_97
.LBB56_89:
	s_or_b32 exec_lo, exec_lo, s8
	s_and_saveexec_b32 s8, s5
	s_cbranch_execnz .LBB56_101
	s_branch .LBB56_105
.LBB56_90:
	v_cmp_ne_u32_e32 vcc_lo, 1, v48
	s_cbranch_vccnz .LBB56_92
; %bb.91:
	s_delay_alu instid0(VALU_DEP_4) | instskip(SKIP_3) | instid1(VALU_DEP_1)
	v_add_nc_u32_e32 v29, v34, v28
	global_load_u16 v29, v29, s[36:37] scale_offset
	s_wait_loadcnt 0x0
	v_cvt_f32_f16_e32 v29, v29
	v_mul_f32_e32 v35, v72, v29
.LBB56_92:
	s_delay_alu instid0(VALU_DEP_1) | instskip(SKIP_1) | instid1(VALU_DEP_2)
	v_add_f32_e32 v2, v2, v35
	v_max_num_f32_e32 v26, v26, v26
	v_add_f32_e32 v29, 0x40051340, v2
	s_delay_alu instid0(VALU_DEP_1)
	v_max_num_f32_e32 v26, v26, v29
	s_or_b32 exec_lo, exec_lo, s8
	s_and_saveexec_b32 s8, s3
	s_cbranch_execz .LBB56_88
.LBB56_93:
	v_cmp_ne_u32_e32 vcc_lo, 1, v48
	s_cbranch_vccnz .LBB56_95
; %bb.94:
	v_dual_ashrrev_i32 v35, 31, v34 :: v_dual_mov_b32 v29, 0
	s_delay_alu instid0(VALU_DEP_1) | instskip(NEXT) | instid1(VALU_DEP_1)
	v_add_nc_u64_e32 v[36:37], v[34:35], v[28:29]
	v_lshl_add_u64 v[36:37], v[36:37], 1, s[36:37]
	global_load_u16 v29, v[36:37], off offset:64
	s_wait_loadcnt 0x0
	v_cvt_f32_f16_e32 v29, v29
	s_delay_alu instid0(VALU_DEP_1)
	v_mul_f32_e32 v29, v72, v29
	s_branch .LBB56_96
.LBB56_95:
	v_mov_b32_e32 v29, 0
.LBB56_96:
	s_delay_alu instid0(VALU_DEP_1) | instskip(SKIP_1) | instid1(VALU_DEP_2)
	v_add_f32_e32 v6, v6, v29
	v_max_num_f32_e32 v26, v26, v26
	v_add_f32_e32 v29, 0x40051340, v6
	s_delay_alu instid0(VALU_DEP_1)
	v_max_num_f32_e32 v26, v26, v29
	s_or_b32 exec_lo, exec_lo, s8
	s_and_saveexec_b32 s8, s4
	s_cbranch_execz .LBB56_89
.LBB56_97:
	v_cmp_ne_u32_e32 vcc_lo, 1, v48
	s_cbranch_vccnz .LBB56_99
; %bb.98:
	v_dual_ashrrev_i32 v35, 31, v34 :: v_dual_mov_b32 v29, 0
	s_delay_alu instid0(VALU_DEP_1) | instskip(NEXT) | instid1(VALU_DEP_1)
	v_add_nc_u64_e32 v[36:37], v[34:35], v[28:29]
	v_lshl_add_u64 v[36:37], v[36:37], 1, s[36:37]
	global_load_u16 v29, v[36:37], off offset:128
	s_wait_loadcnt 0x0
	v_cvt_f32_f16_e32 v29, v29
	s_delay_alu instid0(VALU_DEP_1)
	v_mul_f32_e32 v29, v72, v29
	s_branch .LBB56_100
.LBB56_99:
	v_mov_b32_e32 v29, 0
.LBB56_100:
	s_delay_alu instid0(VALU_DEP_1) | instskip(SKIP_1) | instid1(VALU_DEP_2)
	v_add_f32_e32 v10, v10, v29
	v_max_num_f32_e32 v26, v26, v26
	v_add_f32_e32 v29, 0x40051340, v10
	s_delay_alu instid0(VALU_DEP_1)
	v_max_num_f32_e32 v26, v26, v29
	s_or_b32 exec_lo, exec_lo, s8
	s_and_saveexec_b32 s8, s5
	s_cbranch_execz .LBB56_105
.LBB56_101:
	v_cmp_ne_u32_e32 vcc_lo, 1, v48
	s_cbranch_vccnz .LBB56_103
; %bb.102:
	v_dual_ashrrev_i32 v35, 31, v34 :: v_dual_mov_b32 v29, 0
	s_delay_alu instid0(VALU_DEP_1) | instskip(NEXT) | instid1(VALU_DEP_1)
	v_add_nc_u64_e32 v[34:35], v[34:35], v[28:29]
	v_lshl_add_u64 v[34:35], v[34:35], 1, s[36:37]
	global_load_u16 v29, v[34:35], off offset:192
	s_wait_loadcnt 0x0
	v_cvt_f32_f16_e32 v29, v29
	s_delay_alu instid0(VALU_DEP_1)
	v_mul_f32_e32 v29, v72, v29
	s_branch .LBB56_104
.LBB56_103:
	v_mov_b32_e32 v29, 0
.LBB56_104:
	s_delay_alu instid0(VALU_DEP_1) | instskip(SKIP_1) | instid1(VALU_DEP_2)
	v_add_f32_e32 v14, v14, v29
	v_max_num_f32_e32 v26, v26, v26
	v_add_f32_e32 v29, 0x40051340, v14
	s_delay_alu instid0(VALU_DEP_1)
	v_max_num_f32_e32 v26, v26, v29
.LBB56_105:
	s_or_b32 exec_lo, exec_lo, s8
	ds_bpermute_b32 v29, v38, v26
	v_dual_max_num_f32 v26, v26, v26 :: v_dual_mov_b32 v33, 0
	s_delay_alu instid0(VALU_DEP_1) | instskip(SKIP_2) | instid1(VALU_DEP_1)
	v_mul_u64_e32 v[34:35], s[10:11], v[32:33]
	s_wait_dscnt 0x0
	v_max_num_f32_e32 v29, v29, v29
	v_max_num_f32_e32 v26, v26, v29
	ds_bpermute_b32 v29, v49, v26
	s_wait_dscnt 0x0
	v_dual_max_num_f32 v29, v29, v29 :: v_dual_add_nc_u32 v34, v32, v35
	s_delay_alu instid0(VALU_DEP_1) | instskip(SKIP_3) | instid1(VALU_DEP_1)
	v_max_num_f32_e32 v26, v26, v29
	ds_bpermute_b32 v29, v50, v26
	s_wait_dscnt 0x0
	v_max_num_f32_e32 v29, v29, v29
	v_max_num_f32_e32 v26, v26, v29
	ds_bpermute_b32 v29, v51, v26
	s_wait_dscnt 0x0
	v_max_num_f32_e32 v29, v29, v29
	s_delay_alu instid0(VALU_DEP_1) | instskip(SKIP_2) | instid1(VALU_DEP_1)
	v_dual_max_num_f32 v26, v26, v29 :: v_dual_lshrrev_b32 v29, s21, v34
	ds_bpermute_b32 v34, v52, v26
	v_mul_lo_u32 v29, v29, s22
	v_sub_nc_u32_e32 v29, v32, v29
	s_delay_alu instid0(VALU_DEP_1) | instskip(SKIP_2) | instid1(VALU_DEP_1)
	v_mad_u32 v32, v29, s28, s24
	s_wait_dscnt 0x0
	v_max_num_f32_e32 v29, v34, v34
	v_max_num_f32_e32 v26, v26, v29
	s_and_saveexec_b32 s8, s2
	s_cbranch_execnz .LBB56_109
; %bb.106:
	s_or_b32 exec_lo, exec_lo, s8
	s_and_saveexec_b32 s2, s3
	s_cbranch_execnz .LBB56_112
.LBB56_107:
	s_or_b32 exec_lo, exec_lo, s2
	s_and_saveexec_b32 s2, s4
	s_cbranch_execnz .LBB56_116
.LBB56_108:
	s_or_b32 exec_lo, exec_lo, s2
	s_and_saveexec_b32 s2, s5
	s_cbranch_execnz .LBB56_120
	s_branch .LBB56_124
.LBB56_109:
	v_cmp_ne_u32_e32 vcc_lo, 1, v48
	s_cbranch_vccnz .LBB56_111
; %bb.110:
	s_delay_alu instid0(VALU_DEP_4) | instskip(SKIP_3) | instid1(VALU_DEP_1)
	v_add_nc_u32_e32 v29, v32, v28
	global_load_u16 v29, v29, s[36:37] scale_offset
	s_wait_loadcnt 0x0
	v_cvt_f32_f16_e32 v29, v29
	v_mul_f32_e32 v33, v72, v29
.LBB56_111:
	s_delay_alu instid0(VALU_DEP_1) | instskip(SKIP_1) | instid1(VALU_DEP_2)
	v_add_f32_e32 v3, v3, v33
	v_max_num_f32_e32 v27, v27, v27
	v_add_f32_e32 v29, 0x40051340, v3
	s_delay_alu instid0(VALU_DEP_1)
	v_max_num_f32_e32 v27, v27, v29
	s_or_b32 exec_lo, exec_lo, s8
	s_and_saveexec_b32 s2, s3
	s_cbranch_execz .LBB56_107
.LBB56_112:
	v_cmp_ne_u32_e32 vcc_lo, 1, v48
	s_cbranch_vccnz .LBB56_114
; %bb.113:
	v_dual_ashrrev_i32 v33, 31, v32 :: v_dual_mov_b32 v29, 0
	s_delay_alu instid0(VALU_DEP_1) | instskip(NEXT) | instid1(VALU_DEP_1)
	v_add_nc_u64_e32 v[34:35], v[32:33], v[28:29]
	v_lshl_add_u64 v[34:35], v[34:35], 1, s[36:37]
	global_load_u16 v29, v[34:35], off offset:64
	s_wait_loadcnt 0x0
	v_cvt_f32_f16_e32 v29, v29
	s_delay_alu instid0(VALU_DEP_1)
	v_mul_f32_e32 v29, v72, v29
	s_branch .LBB56_115
.LBB56_114:
	v_mov_b32_e32 v29, 0
.LBB56_115:
	s_delay_alu instid0(VALU_DEP_1) | instskip(SKIP_1) | instid1(VALU_DEP_2)
	v_add_f32_e32 v7, v7, v29
	v_max_num_f32_e32 v27, v27, v27
	v_add_f32_e32 v29, 0x40051340, v7
	s_delay_alu instid0(VALU_DEP_1)
	v_max_num_f32_e32 v27, v27, v29
	s_or_b32 exec_lo, exec_lo, s2
	s_and_saveexec_b32 s2, s4
	s_cbranch_execz .LBB56_108
.LBB56_116:
	v_cmp_ne_u32_e32 vcc_lo, 1, v48
	s_cbranch_vccnz .LBB56_118
; %bb.117:
	v_dual_ashrrev_i32 v33, 31, v32 :: v_dual_mov_b32 v29, 0
	s_delay_alu instid0(VALU_DEP_1) | instskip(NEXT) | instid1(VALU_DEP_1)
	v_add_nc_u64_e32 v[34:35], v[32:33], v[28:29]
	v_lshl_add_u64 v[34:35], v[34:35], 1, s[36:37]
	global_load_u16 v29, v[34:35], off offset:128
	s_wait_loadcnt 0x0
	v_cvt_f32_f16_e32 v29, v29
	s_delay_alu instid0(VALU_DEP_1)
	v_mul_f32_e32 v29, v72, v29
	s_branch .LBB56_119
.LBB56_118:
	v_mov_b32_e32 v29, 0
.LBB56_119:
	s_delay_alu instid0(VALU_DEP_1) | instskip(SKIP_1) | instid1(VALU_DEP_2)
	v_add_f32_e32 v11, v11, v29
	v_max_num_f32_e32 v27, v27, v27
	v_add_f32_e32 v29, 0x40051340, v11
	s_delay_alu instid0(VALU_DEP_1)
	v_max_num_f32_e32 v27, v27, v29
	s_or_b32 exec_lo, exec_lo, s2
	s_and_saveexec_b32 s2, s5
	s_cbranch_execz .LBB56_124
.LBB56_120:
	v_cmp_ne_u32_e32 vcc_lo, 1, v48
	s_cbranch_vccnz .LBB56_122
; %bb.121:
	v_dual_ashrrev_i32 v33, 31, v32 :: v_dual_mov_b32 v29, 0
	s_delay_alu instid0(VALU_DEP_1) | instskip(NEXT) | instid1(VALU_DEP_1)
	v_add_nc_u64_e32 v[32:33], v[32:33], v[28:29]
	v_lshl_add_u64 v[32:33], v[32:33], 1, s[36:37]
	global_load_u16 v29, v[32:33], off offset:192
	s_wait_loadcnt 0x0
	v_cvt_f32_f16_e32 v29, v29
	s_delay_alu instid0(VALU_DEP_1)
	v_mul_f32_e32 v29, v72, v29
	s_branch .LBB56_123
.LBB56_122:
	v_mov_b32_e32 v29, 0
.LBB56_123:
	s_delay_alu instid0(VALU_DEP_1) | instskip(SKIP_1) | instid1(VALU_DEP_2)
	v_add_f32_e32 v15, v15, v29
	v_max_num_f32_e32 v27, v27, v27
	v_add_f32_e32 v29, 0x40051340, v15
	s_delay_alu instid0(VALU_DEP_1)
	v_max_num_f32_e32 v27, v27, v29
.LBB56_124:
	s_or_b32 exec_lo, exec_lo, s2
	ds_bpermute_b32 v29, v38, v27
	v_sub_f32_e32 v0, v0, v24
	v_cmp_gt_u32_e64 s3, s26, v28
	v_dual_sub_f32 v12, v12, v24 :: v_dual_sub_f32 v1, v1, v25
	v_cmp_gt_u32_e64 s2, s26, v45
	v_cmp_gt_u32_e64 s4, s26, v46
	v_sub_f32_e32 v9, v9, v25
	s_delay_alu instid0(VALU_DEP_4)
	v_cmp_ngt_f32_e64 s5, 0xc2ce8ed0, v12
	v_dual_sub_f32 v8, v8, v24 :: v_dual_sub_f32 v2, v2, v26
	v_dual_sub_f32 v13, v13, v25 :: v_dual_sub_f32 v10, v10, v26
	v_lshl_add_u32 v38, v69, 1, v70
	s_mov_b32 s8, 0
	s_wait_dscnt 0x0
	s_mov_b32 s9, s8
	s_mov_b32 s10, s8
	s_barrier_signal -1
	s_barrier_wait -1
	v_dual_max_num_f32 v29, v29, v29 :: v_dual_max_num_f32 v27, v27, v27
	s_ashr_i32 s15, s14, 31
	v_dual_sub_f32 v20, v20, v24 :: v_dual_sub_f32 v21, v21, v25
	s_delay_alu instid0(VALU_DEP_2) | instskip(SKIP_4) | instid1(VALU_DEP_1)
	v_dual_max_num_f32 v27, v27, v29 :: v_dual_sub_f32 v22, v22, v26
	v_add_nc_u32_e32 v37, 32, v38
	ds_bpermute_b32 v29, v49, v27
	s_wait_dscnt 0x0
	v_max_num_f32_e32 v29, v29, v29
	v_max_num_f32_e32 v27, v27, v29
	ds_bpermute_b32 v29, v50, v27
	s_wait_dscnt 0x0
	v_max_num_f32_e32 v29, v29, v29
	s_delay_alu instid0(VALU_DEP_1) | instskip(SKIP_3) | instid1(VALU_DEP_1)
	v_max_num_f32_e32 v27, v27, v29
	ds_bpermute_b32 v29, v51, v27
	s_wait_dscnt 0x0
	v_max_num_f32_e32 v29, v29, v29
	v_max_num_f32_e32 v27, v27, v29
	ds_bpermute_b32 v29, v52, v27
	s_wait_dscnt 0x0
	v_max_num_f32_e32 v29, v29, v29
	s_delay_alu instid0(VALU_DEP_1) | instskip(SKIP_1) | instid1(VALU_DEP_2)
	v_max_num_f32_e32 v27, v27, v29
	v_mul_f32_e32 v29, 0x3fb8aa3b, v0
	v_sub_f32_e32 v3, v3, v27
	s_delay_alu instid0(VALU_DEP_2) | instskip(SKIP_1) | instid1(VALU_DEP_1)
	v_fma_f32 v32, 0x3fb8aa3b, v0, -v29
	v_rndne_f32_e32 v33, v29
	v_dual_sub_f32 v11, v11, v27 :: v_dual_sub_f32 v29, v29, v33
	v_cmp_ngt_f32_e32 vcc_lo, 0xc2ce8ed0, v0
	s_delay_alu instid0(VALU_DEP_4) | instskip(NEXT) | instid1(VALU_DEP_1)
	v_fmac_f32_e32 v32, 0x32a5705f, v0
	v_add_f32_e32 v29, v29, v32
	v_cvt_i32_f32_e32 v32, v33
	s_delay_alu instid0(VALU_DEP_2) | instskip(SKIP_1) | instid1(TRANS32_DEP_1)
	v_exp_f32_e32 v29, v29
	v_nop
	v_ldexp_f32 v29, v29, v32
	s_delay_alu instid0(VALU_DEP_1) | instskip(SKIP_1) | instid1(VALU_DEP_2)
	v_cndmask_b32_e32 v29, 0, v29, vcc_lo
	v_cmp_nlt_f32_e32 vcc_lo, 0x42b17218, v0
	v_cndmask_b32_e32 v0, 0x7f800000, v29, vcc_lo
	s_delay_alu instid0(VALU_DEP_1) | instskip(SKIP_1) | instid1(VALU_DEP_1)
	v_cndmask_b32_e64 v33, 0, v0, s3
	v_sub_f32_e32 v0, v4, v24
	v_mul_f32_e32 v4, 0x3fb8aa3b, v0
	v_cmp_ngt_f32_e32 vcc_lo, 0xc2ce8ed0, v0
	s_delay_alu instid0(VALU_DEP_2) | instskip(SKIP_1) | instid1(VALU_DEP_2)
	v_fma_f32 v29, 0x3fb8aa3b, v0, -v4
	v_rndne_f32_e32 v32, v4
	v_fmac_f32_e32 v29, 0x32a5705f, v0
	s_delay_alu instid0(VALU_DEP_2) | instskip(NEXT) | instid1(VALU_DEP_1)
	v_sub_f32_e32 v4, v4, v32
	v_add_f32_e32 v4, v4, v29
	v_cvt_i32_f32_e32 v29, v32
	s_delay_alu instid0(VALU_DEP_2) | instskip(SKIP_1) | instid1(TRANS32_DEP_1)
	v_exp_f32_e32 v4, v4
	v_nop
	v_ldexp_f32 v4, v4, v29
	v_mul_f32_e32 v29, 0x3fb8aa3b, v8
	s_delay_alu instid0(VALU_DEP_2) | instskip(NEXT) | instid1(VALU_DEP_2)
	v_cndmask_b32_e32 v4, 0, v4, vcc_lo
	v_fma_f32 v32, 0x3fb8aa3b, v8, -v29
	v_rndne_f32_e32 v34, v29
	v_cmp_nlt_f32_e32 vcc_lo, 0x42b17218, v0
	s_delay_alu instid0(VALU_DEP_2) | instskip(SKIP_2) | instid1(VALU_DEP_3)
	v_dual_fmac_f32 v32, 0x32a5705f, v8 :: v_dual_sub_f32 v29, v29, v34
	v_cndmask_b32_e32 v0, 0x7f800000, v4, vcc_lo
	v_cmp_ngt_f32_e32 vcc_lo, 0xc2ce8ed0, v8
	v_add_f32_e32 v29, v29, v32
	v_cvt_i32_f32_e32 v32, v34
	s_delay_alu instid0(VALU_DEP_2) | instskip(SKIP_1) | instid1(TRANS32_DEP_1)
	v_exp_f32_e32 v29, v29
	v_nop
	v_ldexp_f32 v29, v29, v32
	s_delay_alu instid0(VALU_DEP_1) | instskip(SKIP_1) | instid1(VALU_DEP_2)
	v_cndmask_b32_e32 v29, 0, v29, vcc_lo
	v_cmp_nlt_f32_e32 vcc_lo, 0x42b17218, v8
	v_cndmask_b32_e32 v8, 0x7f800000, v29, vcc_lo
	v_cmp_gt_u32_e32 vcc_lo, s26, v47
	v_mul_f32_e32 v29, 0x3fb8aa3b, v12
	s_delay_alu instid0(VALU_DEP_1) | instskip(SKIP_1) | instid1(VALU_DEP_1)
	v_fma_f32 v32, 0x3fb8aa3b, v12, -v29
	v_rndne_f32_e32 v34, v29
	v_dual_fmac_f32 v32, 0x32a5705f, v12 :: v_dual_sub_f32 v29, v29, v34
	s_delay_alu instid0(VALU_DEP_1) | instskip(SKIP_2) | instid1(VALU_DEP_3)
	v_add_f32_e32 v29, v29, v32
	v_cvt_i32_f32_e32 v32, v34
	v_cndmask_b32_e64 v8, 0, v8, s4
	v_exp_f32_e32 v29, v29
	v_nop
	s_delay_alu instid0(TRANS32_DEP_1) | instskip(NEXT) | instid1(VALU_DEP_1)
	v_ldexp_f32 v29, v29, v32
	v_cndmask_b32_e64 v29, 0, v29, s5
	v_cmp_nlt_f32_e64 s5, 0x42b17218, v12
	s_delay_alu instid0(VALU_DEP_1) | instskip(SKIP_2) | instid1(VALU_DEP_3)
	v_cndmask_b32_e64 v12, 0x7f800000, v29, s5
	v_mul_f32_e32 v29, 0x3fb8aa3b, v20
	v_cmp_ngt_f32_e64 s5, 0xc2ce8ed0, v20
	v_cndmask_b32_e32 v12, 0, v12, vcc_lo
	s_delay_alu instid0(VALU_DEP_3) | instskip(SKIP_1) | instid1(VALU_DEP_1)
	v_fma_f32 v32, 0x3fb8aa3b, v20, -v29
	v_rndne_f32_e32 v34, v29
	v_dual_fmac_f32 v32, 0x32a5705f, v20 :: v_dual_sub_f32 v29, v29, v34
	v_cndmask_b32_e64 v4, 0, v0, s2
	s_delay_alu instid0(VALU_DEP_2) | instskip(SKIP_1) | instid1(VALU_DEP_2)
	v_add_f32_e32 v29, v29, v32
	v_cvt_i32_f32_e32 v32, v34
	v_exp_f32_e32 v29, v29
	v_nop
	s_delay_alu instid0(TRANS32_DEP_1) | instskip(NEXT) | instid1(VALU_DEP_1)
	v_ldexp_f32 v29, v29, v32
	v_dual_add_f32 v0, v33, v4 :: v_dual_cndmask_b32 v29, 0, v29, s5
	s_delay_alu instid0(VALU_DEP_1) | instskip(SKIP_1) | instid1(VALU_DEP_2)
	v_add_f32_e32 v0, v8, v0
	v_cmp_nlt_f32_e64 s5, 0x42b17218, v20
	v_add_f32_e32 v0, v12, v0
	s_delay_alu instid0(VALU_DEP_2) | instskip(SKIP_1) | instid1(VALU_DEP_2)
	v_cndmask_b32_e64 v20, 0x7f800000, v29, s5
	v_cmp_ngt_f32_e64 s5, 0xc2ce8ed0, v1
	v_fmac_f32_e32 v0, v16, v20
	v_cvt_f16_f32_e32 v16, v20
	s_delay_alu instid0(VALU_DEP_1) | instskip(NEXT) | instid1(VALU_DEP_1)
	v_and_b32_e32 v16, 0xffff, v16
	v_mul_u32_u24_e32 v29, 0x10001, v16
	v_mul_f32_e32 v16, 0x3fb8aa3b, v1
	s_delay_alu instid0(VALU_DEP_2) | instskip(NEXT) | instid1(VALU_DEP_2)
	v_pk_mul_f16 v20, v90, v29
	v_fma_f32 v32, 0x3fb8aa3b, v1, -v16
	v_rndne_f32_e32 v34, v16
	s_delay_alu instid0(VALU_DEP_2) | instskip(NEXT) | instid1(VALU_DEP_2)
	v_fmac_f32_e32 v32, 0x32a5705f, v1
	v_sub_f32_e32 v16, v16, v34
	s_delay_alu instid0(VALU_DEP_1) | instskip(SKIP_1) | instid1(VALU_DEP_2)
	v_add_f32_e32 v16, v16, v32
	v_cvt_i32_f32_e32 v32, v34
	v_exp_f32_e32 v16, v16
	v_nop
	s_delay_alu instid0(TRANS32_DEP_1) | instskip(NEXT) | instid1(VALU_DEP_1)
	v_ldexp_f32 v16, v16, v32
	v_cndmask_b32_e64 v16, 0, v16, s5
	v_cmp_nlt_f32_e64 s5, 0x42b17218, v1
	s_delay_alu instid0(VALU_DEP_1) | instskip(NEXT) | instid1(VALU_DEP_1)
	v_cndmask_b32_e64 v1, 0x7f800000, v16, s5
	v_cndmask_b32_e64 v16, 0, v1, s3
	v_sub_f32_e32 v1, v5, v25
	s_delay_alu instid0(VALU_DEP_1) | instskip(SKIP_1) | instid1(VALU_DEP_2)
	v_mul_f32_e32 v5, 0x3fb8aa3b, v1
	v_cmp_ngt_f32_e64 s5, 0xc2ce8ed0, v1
	v_fma_f32 v32, 0x3fb8aa3b, v1, -v5
	v_rndne_f32_e32 v34, v5
	s_delay_alu instid0(VALU_DEP_1) | instskip(NEXT) | instid1(VALU_DEP_1)
	v_dual_fmac_f32 v32, 0x32a5705f, v1 :: v_dual_sub_f32 v5, v5, v34
	v_add_f32_e32 v5, v5, v32
	v_cvt_i32_f32_e32 v32, v34
	s_delay_alu instid0(VALU_DEP_2) | instskip(SKIP_1) | instid1(TRANS32_DEP_1)
	v_exp_f32_e32 v5, v5
	v_nop
	v_ldexp_f32 v5, v5, v32
	v_mul_f32_e32 v32, 0x3fb8aa3b, v9
	s_delay_alu instid0(VALU_DEP_2) | instskip(SKIP_1) | instid1(VALU_DEP_3)
	v_cndmask_b32_e64 v5, 0, v5, s5
	v_cmp_nlt_f32_e64 s5, 0x42b17218, v1
	v_fma_f32 v34, 0x3fb8aa3b, v9, -v32
	v_rndne_f32_e32 v35, v32
	s_delay_alu instid0(VALU_DEP_3) | instskip(NEXT) | instid1(VALU_DEP_3)
	v_cndmask_b32_e64 v1, 0x7f800000, v5, s5
	v_fmac_f32_e32 v34, 0x32a5705f, v9
	s_delay_alu instid0(VALU_DEP_3) | instskip(SKIP_1) | instid1(VALU_DEP_2)
	v_sub_f32_e32 v32, v32, v35
	v_cmp_ngt_f32_e64 s5, 0xc2ce8ed0, v9
	v_dual_cndmask_b32 v5, 0, v1, s2 :: v_dual_add_f32 v32, v32, v34
	v_cvt_i32_f32_e32 v34, v35
	s_delay_alu instid0(VALU_DEP_2) | instskip(SKIP_1) | instid1(TRANS32_DEP_1)
	v_exp_f32_e32 v32, v32
	v_nop
	v_ldexp_f32 v32, v32, v34
	s_delay_alu instid0(VALU_DEP_1) | instskip(SKIP_1) | instid1(VALU_DEP_1)
	v_dual_add_f32 v1, v16, v5 :: v_dual_cndmask_b32 v32, 0, v32, s5
	v_cmp_nlt_f32_e64 s5, 0x42b17218, v9
	v_cndmask_b32_e64 v9, 0x7f800000, v32, s5
	v_mul_f32_e32 v32, 0x3fb8aa3b, v13
	v_cmp_ngt_f32_e64 s5, 0xc2ce8ed0, v13
	s_delay_alu instid0(VALU_DEP_2) | instskip(SKIP_1) | instid1(VALU_DEP_2)
	v_fma_f32 v34, 0x3fb8aa3b, v13, -v32
	v_rndne_f32_e32 v35, v32
	v_fmac_f32_e32 v34, 0x32a5705f, v13
	s_delay_alu instid0(VALU_DEP_2) | instskip(NEXT) | instid1(VALU_DEP_1)
	v_dual_sub_f32 v32, v32, v35 :: v_dual_cndmask_b32 v9, 0, v9, s4
	v_add_f32_e32 v32, v32, v34
	v_cvt_i32_f32_e32 v34, v35
	s_delay_alu instid0(VALU_DEP_3) | instskip(NEXT) | instid1(VALU_DEP_3)
	v_add_f32_e32 v1, v9, v1
	v_exp_f32_e32 v32, v32
	v_nop
	s_delay_alu instid0(TRANS32_DEP_1) | instskip(NEXT) | instid1(VALU_DEP_1)
	v_ldexp_f32 v32, v32, v34
	v_cndmask_b32_e64 v32, 0, v32, s5
	v_cmp_nlt_f32_e64 s5, 0x42b17218, v13
	s_delay_alu instid0(VALU_DEP_1) | instskip(SKIP_2) | instid1(VALU_DEP_3)
	v_cndmask_b32_e64 v13, 0x7f800000, v32, s5
	v_mul_f32_e32 v32, 0x3fb8aa3b, v21
	v_cmp_ngt_f32_e64 s5, 0xc2ce8ed0, v21
	v_cndmask_b32_e32 v13, 0, v13, vcc_lo
	s_delay_alu instid0(VALU_DEP_3) | instskip(SKIP_1) | instid1(VALU_DEP_3)
	v_fma_f32 v34, 0x3fb8aa3b, v21, -v32
	v_rndne_f32_e32 v35, v32
	v_add_f32_e32 v1, v13, v1
	s_delay_alu instid0(VALU_DEP_3) | instskip(NEXT) | instid1(VALU_DEP_3)
	v_fmac_f32_e32 v34, 0x32a5705f, v21
	v_sub_f32_e32 v32, v32, v35
	s_delay_alu instid0(VALU_DEP_1) | instskip(SKIP_1) | instid1(VALU_DEP_2)
	v_add_f32_e32 v32, v32, v34
	v_cvt_i32_f32_e32 v34, v35
	v_exp_f32_e32 v32, v32
	v_nop
	s_delay_alu instid0(TRANS32_DEP_1) | instskip(NEXT) | instid1(VALU_DEP_1)
	v_ldexp_f32 v32, v32, v34
	v_cndmask_b32_e64 v32, 0, v32, s5
	v_cmp_nlt_f32_e64 s5, 0x42b17218, v21
	s_delay_alu instid0(VALU_DEP_1) | instskip(SKIP_1) | instid1(VALU_DEP_2)
	v_cndmask_b32_e64 v21, 0x7f800000, v32, s5
	v_cmp_ngt_f32_e64 s5, 0xc2ce8ed0, v2
	v_fmac_f32_e32 v1, v17, v21
	v_cvt_f16_f32_e32 v17, v21
	s_delay_alu instid0(VALU_DEP_1) | instskip(NEXT) | instid1(VALU_DEP_1)
	v_and_b32_e32 v17, 0xffff, v17
	v_mul_u32_u24_e32 v32, 0x10001, v17
	v_mul_f32_e32 v17, 0x3fb8aa3b, v2
	s_delay_alu instid0(VALU_DEP_2) | instskip(NEXT) | instid1(VALU_DEP_2)
	v_pk_mul_f16 v21, v89, v32
	v_fma_f32 v34, 0x3fb8aa3b, v2, -v17
	v_rndne_f32_e32 v35, v17
	s_delay_alu instid0(VALU_DEP_1) | instskip(NEXT) | instid1(VALU_DEP_1)
	v_dual_fmac_f32 v34, 0x32a5705f, v2 :: v_dual_sub_f32 v17, v17, v35
	v_add_f32_e32 v17, v17, v34
	v_cvt_i32_f32_e32 v34, v35
	s_delay_alu instid0(VALU_DEP_2) | instskip(SKIP_1) | instid1(TRANS32_DEP_1)
	v_exp_f32_e32 v17, v17
	v_nop
	v_ldexp_f32 v17, v17, v34
	s_delay_alu instid0(VALU_DEP_1) | instskip(SKIP_1) | instid1(VALU_DEP_1)
	v_cndmask_b32_e64 v17, 0, v17, s5
	v_cmp_nlt_f32_e64 s5, 0x42b17218, v2
	v_cndmask_b32_e64 v2, 0x7f800000, v17, s5
	s_delay_alu instid0(VALU_DEP_1) | instskip(SKIP_1) | instid1(VALU_DEP_1)
	v_cndmask_b32_e64 v17, 0, v2, s3
	v_sub_f32_e32 v2, v6, v26
	v_mul_f32_e32 v6, 0x3fb8aa3b, v2
	v_cmp_ngt_f32_e64 s5, 0xc2ce8ed0, v2
	s_delay_alu instid0(VALU_DEP_2) | instskip(SKIP_1) | instid1(VALU_DEP_2)
	v_fma_f32 v34, 0x3fb8aa3b, v2, -v6
	v_rndne_f32_e32 v35, v6
	v_fmac_f32_e32 v34, 0x32a5705f, v2
	s_delay_alu instid0(VALU_DEP_2) | instskip(NEXT) | instid1(VALU_DEP_1)
	v_sub_f32_e32 v6, v6, v35
	v_add_f32_e32 v6, v6, v34
	v_cvt_i32_f32_e32 v34, v35
	s_delay_alu instid0(VALU_DEP_2) | instskip(SKIP_1) | instid1(TRANS32_DEP_1)
	v_exp_f32_e32 v6, v6
	v_nop
	v_ldexp_f32 v6, v6, v34
	v_mul_f32_e32 v34, 0x3fb8aa3b, v10
	s_delay_alu instid0(VALU_DEP_1) | instskip(SKIP_1) | instid1(VALU_DEP_4)
	v_fma_f32 v35, 0x3fb8aa3b, v10, -v34
	v_rndne_f32_e32 v36, v34
	v_cndmask_b32_e64 v6, 0, v6, s5
	v_cmp_nlt_f32_e64 s5, 0x42b17218, v2
	s_delay_alu instid0(VALU_DEP_3) | instskip(NEXT) | instid1(VALU_DEP_2)
	v_dual_fmac_f32 v35, 0x32a5705f, v10 :: v_dual_sub_f32 v34, v34, v36
	v_cndmask_b32_e64 v2, 0x7f800000, v6, s5
	v_cmp_ngt_f32_e64 s5, 0xc2ce8ed0, v10
	s_delay_alu instid0(VALU_DEP_3) | instskip(SKIP_1) | instid1(VALU_DEP_4)
	v_add_f32_e32 v34, v34, v35
	v_cvt_i32_f32_e32 v35, v36
	v_cndmask_b32_e64 v6, 0, v2, s2
	s_delay_alu instid0(VALU_DEP_3) | instskip(SKIP_1) | instid1(TRANS32_DEP_1)
	v_exp_f32_e32 v34, v34
	v_nop
	v_ldexp_f32 v34, v34, v35
	s_delay_alu instid0(VALU_DEP_1) | instskip(SKIP_1) | instid1(VALU_DEP_1)
	v_cndmask_b32_e64 v34, 0, v34, s5
	v_cmp_nlt_f32_e64 s5, 0x42b17218, v10
	v_cndmask_b32_e64 v10, 0x7f800000, v34, s5
	s_delay_alu instid0(VALU_DEP_1) | instskip(SKIP_1) | instid1(VALU_DEP_1)
	v_cndmask_b32_e64 v34, 0, v10, s4
	v_sub_f32_e32 v10, v14, v26
	v_mul_f32_e32 v14, 0x3fb8aa3b, v10
	v_cmp_ngt_f32_e64 s5, 0xc2ce8ed0, v10
	s_delay_alu instid0(VALU_DEP_2) | instskip(SKIP_2) | instid1(VALU_DEP_2)
	v_fma_f32 v35, 0x3fb8aa3b, v10, -v14
	v_rndne_f32_e32 v36, v14
	v_add_f32_e32 v2, v17, v6
	v_dual_fmac_f32 v35, 0x32a5705f, v10 :: v_dual_sub_f32 v14, v14, v36
	s_delay_alu instid0(VALU_DEP_1) | instskip(SKIP_1) | instid1(VALU_DEP_4)
	v_add_f32_e32 v14, v14, v35
	v_cvt_i32_f32_e32 v35, v36
	v_add_f32_e32 v2, v34, v2
	s_delay_alu instid0(VALU_DEP_3) | instskip(SKIP_1) | instid1(TRANS32_DEP_1)
	v_exp_f32_e32 v14, v14
	v_nop
	v_ldexp_f32 v14, v14, v35
	s_delay_alu instid0(VALU_DEP_1) | instskip(SKIP_1) | instid1(VALU_DEP_1)
	v_cndmask_b32_e64 v14, 0, v14, s5
	v_cmp_nlt_f32_e64 s5, 0x42b17218, v10
	v_cndmask_b32_e64 v10, 0x7f800000, v14, s5
	v_cmp_ngt_f32_e64 s5, 0xc2ce8ed0, v22
	s_delay_alu instid0(VALU_DEP_2) | instskip(SKIP_1) | instid1(VALU_DEP_1)
	v_cndmask_b32_e32 v14, 0, v10, vcc_lo
	v_mul_f32_e32 v10, 0x3fb8aa3b, v22
	v_fma_f32 v35, 0x3fb8aa3b, v22, -v10
	v_rndne_f32_e32 v36, v10
	s_delay_alu instid0(VALU_DEP_1) | instskip(NEXT) | instid1(VALU_DEP_1)
	v_dual_fmac_f32 v35, 0x32a5705f, v22 :: v_dual_sub_f32 v10, v10, v36
	v_add_f32_e32 v10, v10, v35
	v_cvt_i32_f32_e32 v35, v36
	v_add_f32_e32 v2, v14, v2
	s_delay_alu instid0(VALU_DEP_3) | instskip(SKIP_1) | instid1(TRANS32_DEP_1)
	v_exp_f32_e32 v10, v10
	v_nop
	v_ldexp_f32 v10, v10, v35
	s_delay_alu instid0(VALU_DEP_1) | instskip(SKIP_1) | instid1(VALU_DEP_1)
	v_cndmask_b32_e64 v10, 0, v10, s5
	v_cmp_nlt_f32_e64 s5, 0x42b17218, v22
	v_cndmask_b32_e64 v10, 0x7f800000, v10, s5
	v_cmp_ngt_f32_e64 s5, 0xc2ce8ed0, v3
	s_delay_alu instid0(VALU_DEP_2) | instskip(SKIP_2) | instid1(VALU_DEP_2)
	v_fmac_f32_e32 v2, v18, v10
	v_cvt_f16_f32_e32 v10, v10
	v_mul_f32_e32 v18, 0x3fb8aa3b, v3
	v_and_b32_e32 v10, 0xffff, v10
	s_delay_alu instid0(VALU_DEP_2) | instskip(NEXT) | instid1(VALU_DEP_2)
	v_rndne_f32_e32 v35, v18
	v_mul_u32_u24_e32 v48, 0x10001, v10
	v_sub_f32_e32 v10, v23, v27
	v_fma_f32 v23, 0x3fb8aa3b, v3, -v18
	s_delay_alu instid0(VALU_DEP_4) | instskip(NEXT) | instid1(VALU_DEP_4)
	v_sub_f32_e32 v18, v18, v35
	v_pk_mul_f16 v22, v88, v48
	s_delay_alu instid0(VALU_DEP_3) | instskip(NEXT) | instid1(VALU_DEP_1)
	v_fmac_f32_e32 v23, 0x32a5705f, v3
	v_add_f32_e32 v18, v18, v23
	v_cvt_i32_f32_e32 v23, v35
	s_delay_alu instid0(VALU_DEP_2) | instskip(SKIP_1) | instid1(TRANS32_DEP_1)
	v_exp_f32_e32 v18, v18
	v_nop
	v_ldexp_f32 v18, v18, v23
	s_delay_alu instid0(VALU_DEP_1) | instskip(SKIP_1) | instid1(VALU_DEP_1)
	v_cndmask_b32_e64 v18, 0, v18, s5
	v_cmp_nlt_f32_e64 s5, 0x42b17218, v3
	v_cndmask_b32_e64 v3, 0x7f800000, v18, s5
	s_delay_alu instid0(VALU_DEP_1) | instskip(SKIP_1) | instid1(VALU_DEP_1)
	v_cndmask_b32_e64 v18, 0, v3, s3
	v_sub_f32_e32 v3, v7, v27
	v_mul_f32_e32 v7, 0x3fb8aa3b, v3
	v_cmp_ngt_f32_e64 s3, 0xc2ce8ed0, v3
	s_delay_alu instid0(VALU_DEP_2) | instskip(SKIP_1) | instid1(VALU_DEP_2)
	v_fma_f32 v23, 0x3fb8aa3b, v3, -v7
	v_rndne_f32_e32 v35, v7
	v_fmac_f32_e32 v23, 0x32a5705f, v3
	s_delay_alu instid0(VALU_DEP_2) | instskip(NEXT) | instid1(VALU_DEP_1)
	v_sub_f32_e32 v7, v7, v35
	v_add_f32_e32 v7, v7, v23
	v_cvt_i32_f32_e32 v23, v35
	s_delay_alu instid0(VALU_DEP_2) | instskip(SKIP_1) | instid1(TRANS32_DEP_1)
	v_exp_f32_e32 v7, v7
	v_nop
	v_ldexp_f32 v7, v7, v23
	v_mul_f32_e32 v23, 0x3fb8aa3b, v11
	s_delay_alu instid0(VALU_DEP_2) | instskip(NEXT) | instid1(VALU_DEP_2)
	v_cndmask_b32_e64 v7, 0, v7, s3
	v_fma_f32 v35, 0x3fb8aa3b, v11, -v23
	v_rndne_f32_e32 v36, v23
	v_cmp_nlt_f32_e64 s3, 0x42b17218, v3
	s_delay_alu instid0(VALU_DEP_3) | instskip(NEXT) | instid1(VALU_DEP_3)
	v_fmac_f32_e32 v35, 0x32a5705f, v11
	v_sub_f32_e32 v23, v23, v36
	s_delay_alu instid0(VALU_DEP_3) | instskip(NEXT) | instid1(VALU_DEP_2)
	v_cndmask_b32_e64 v3, 0x7f800000, v7, s3
	v_add_f32_e32 v23, v23, v35
	v_cvt_i32_f32_e32 v35, v36
	s_delay_alu instid0(VALU_DEP_3) | instskip(SKIP_1) | instid1(VALU_DEP_4)
	v_cndmask_b32_e64 v7, 0, v3, s2
	v_cmp_ngt_f32_e64 s2, 0xc2ce8ed0, v11
	v_exp_f32_e32 v23, v23
	s_delay_alu instid0(VALU_DEP_2) | instskip(SKIP_3) | instid1(TRANS32_DEP_1)
	v_add_f32_e32 v3, v18, v7
	v_cvt_pk_f16_f32 v7, v6, v7
	v_cvt_pk_f16_f32 v6, v4, v5
	;; [unrolled: 1-line block ×3, first 2 shown]
	v_ldexp_f32 v23, v23, v35
	s_delay_alu instid0(VALU_DEP_1) | instskip(SKIP_1) | instid1(VALU_DEP_1)
	v_cndmask_b32_e64 v23, 0, v23, s2
	v_cmp_nlt_f32_e64 s2, 0x42b17218, v11
	v_cndmask_b32_e64 v11, 0x7f800000, v23, s2
	s_delay_alu instid0(VALU_DEP_1) | instskip(SKIP_2) | instid1(VALU_DEP_1)
	v_cndmask_b32_e64 v23, 0, v11, s4
	v_sub_f32_e32 v11, v15, v27
	s_sub_co_i32 s4, s26, 64
	v_mul_f32_e32 v15, 0x3fb8aa3b, v11
	v_cmp_ngt_f32_e64 s2, 0xc2ce8ed0, v11
	s_delay_alu instid0(VALU_DEP_2) | instskip(SKIP_1) | instid1(VALU_DEP_2)
	v_fma_f32 v35, 0x3fb8aa3b, v11, -v15
	v_rndne_f32_e32 v36, v15
	v_fmac_f32_e32 v35, 0x32a5705f, v11
	s_delay_alu instid0(VALU_DEP_2) | instskip(NEXT) | instid1(VALU_DEP_1)
	v_sub_f32_e32 v15, v15, v36
	v_add_f32_e32 v15, v15, v35
	v_cvt_i32_f32_e32 v35, v36
	s_delay_alu instid0(VALU_DEP_2) | instskip(SKIP_1) | instid1(TRANS32_DEP_1)
	v_exp_f32_e32 v15, v15
	v_nop
	v_ldexp_f32 v15, v15, v35
	s_delay_alu instid0(VALU_DEP_1) | instskip(SKIP_1) | instid1(VALU_DEP_1)
	v_cndmask_b32_e64 v15, 0, v15, s2
	v_cmp_nlt_f32_e64 s2, 0x42b17218, v11
	v_cndmask_b32_e64 v11, 0x7f800000, v15, s2
	s_lshl_b32 s2, s14, 4
	s_delay_alu instid0(VALU_DEP_1)
	v_cndmask_b32_e32 v15, 0, v11, vcc_lo
	v_mul_f32_e32 v11, 0x3fb8aa3b, v10
	v_add_f32_e32 v3, v23, v3
	v_cmp_ngt_f32_e32 vcc_lo, 0xc2ce8ed0, v10
	v_cvt_pk_f16_f32 v5, v34, v23
	v_add_nc_u32_e32 v34, 48, v38
	v_fma_f32 v35, 0x3fb8aa3b, v10, -v11
	v_rndne_f32_e32 v36, v11
	v_add_f32_e32 v3, v15, v3
	s_delay_alu instid0(VALU_DEP_3) | instskip(NEXT) | instid1(VALU_DEP_3)
	v_fmac_f32_e32 v35, 0x32a5705f, v10
	v_sub_f32_e32 v11, v11, v36
	s_delay_alu instid0(VALU_DEP_1) | instskip(SKIP_1) | instid1(VALU_DEP_2)
	v_add_f32_e32 v11, v11, v35
	v_cvt_i32_f32_e32 v35, v36
	v_exp_f32_e32 v11, v11
	v_nop
	s_delay_alu instid0(TRANS32_DEP_1) | instskip(NEXT) | instid1(VALU_DEP_1)
	v_ldexp_f32 v11, v11, v35
	v_cndmask_b32_e32 v11, 0, v11, vcc_lo
	v_cmp_nlt_f32_e32 vcc_lo, 0x42b17218, v10
	s_delay_alu instid0(VALU_DEP_2) | instskip(SKIP_2) | instid1(VALU_DEP_3)
	v_cndmask_b32_e32 v10, 0x7f800000, v11, vcc_lo
	v_cvt_pk_f16_f32 v11, v17, v18
	v_cmp_gt_i32_e32 vcc_lo, s26, v38
	v_fmac_f32_e32 v3, v19, v10
	v_add_nc_u32_e32 v19, v71, v68
	v_cvt_f16_f32_e32 v10, v10
	s_delay_alu instid0(VALU_DEP_1) | instskip(NEXT) | instid1(VALU_DEP_1)
	v_and_b32_e32 v10, 0xffff, v10
	v_mul_u32_u24_e32 v10, 0x10001, v10
	s_delay_alu instid0(VALU_DEP_1)
	v_pk_mul_f16 v49, v86, v10
	v_pk_mul_f16 v82, v87, v10
	v_cvt_pk_f16_f32 v10, v33, v16
	ds_store_b64 v19, v[10:11]
	v_lshl_add_u32 v10, v45, 3, v71
	v_dual_mov_b32 v11, 0 :: v_dual_add_nc_u32 v45, 16, v38
	ds_store_b64 v10, v[6:7]
	v_lshl_add_u32 v6, v46, 3, v71
	v_lshlrev_b32_e32 v10, 2, v30
	ds_store_b64 v6, v[4:5]
	v_cvt_pk_f16_f32 v4, v12, v13
	v_mul_lo_u32 v12, s14, v38
	v_lshl_add_u32 v6, v47, 3, v71
	v_cvt_pk_f16_f32 v5, v14, v15
	v_lshl_or_b32 v35, v38, 8, v10
	v_lshl_or_b32 v36, v45, 8, v10
	;; [unrolled: 1-line block ×4, first 2 shown]
	ds_store_b64 v6, v[4:5]
	v_mbcnt_lo_u32_b32 v4, -1, 0
	v_dual_add_nc_u32 v18, s2, v12 :: v_dual_ashrrev_i32 v13, 31, v12
	s_delay_alu instid0(VALU_DEP_2) | instskip(NEXT) | instid1(VALU_DEP_2)
	v_dual_mov_b32 v4, 0 :: v_dual_lshlrev_b32 v5, 20, v4
	v_add_nc_u32_e32 v46, s2, v18
	s_delay_alu instid0(VALU_DEP_3) | instskip(SKIP_1) | instid1(VALU_DEP_4)
	v_lshlrev_b64_e32 v[12:13], 2, v[12:13]
	v_ashrrev_i32_e32 v19, 31, v18
	v_add_nc_u64_e32 v[8:9], src_flat_scratch_base_lo, v[4:5]
	s_delay_alu instid0(VALU_DEP_4)
	v_dual_mov_b32 v4, s8 :: v_dual_add_nc_u32 v54, s2, v46
	v_mov_b32_e32 v5, s9
	s_mul_u64 s[2:3], s[24:25], s[14:15]
	v_mov_b32_e32 v6, s10
	s_lshl_b64 s[2:3], s[2:3], 2
	scratch_store_b32 off, v11, off
	s_add_nc_u64 s[2:3], s[6:7], s[2:3]
	v_lshlrev_b64_e32 v[18:19], 2, v[18:19]
	v_add_nc_u64_e32 v[14:15], s[2:3], v[12:13]
	scratch_store_b96 off, v[4:6], off offset:4
	v_ashrrev_i32_e32 v47, 31, v46
	v_add_nc_u64_e32 v[14:15], v[14:15], v[10:11]
	s_delay_alu instid0(VALU_DEP_1) | instskip(NEXT) | instid1(VALU_DEP_2)
	v_dual_ashrrev_i32 v55, 31, v54 :: v_dual_cndmask_b32 v15, v9, v15, vcc_lo
	v_cndmask_b32_e32 v14, v8, v14, vcc_lo
	v_cmp_gt_i32_e32 vcc_lo, s26, v45
	flat_load_b128 v[14:17], v[14:15]
	s_wait_loadcnt_dscnt 0x0
	ds_store_b128 v35, v[14:17]
	s_wait_xcnt 0x0
	v_add_nc_u64_e32 v[14:15], s[2:3], v[18:19]
	s_clause 0x1
	scratch_store_b32 off, v11, off
	scratch_store_b96 off, v[4:6], off offset:4
	v_add_nc_u64_e32 v[14:15], v[14:15], v[10:11]
	s_delay_alu instid0(VALU_DEP_1)
	v_dual_cndmask_b32 v15, v9, v15 :: v_dual_cndmask_b32 v14, v8, v14
	v_cmp_gt_i32_e32 vcc_lo, s26, v37
	flat_load_b128 v[14:17], v[14:15]
	s_wait_loadcnt_dscnt 0x0
	ds_store_b128 v36, v[14:17]
	v_lshlrev_b64_e32 v[16:17], 2, v[46:47]
	s_clause 0x1
	scratch_store_b32 off, v11, off
	scratch_store_b96 off, v[4:6], off offset:4
	s_wait_xcnt 0x2
	v_add_nc_u64_e32 v[14:15], s[2:3], v[16:17]
	s_delay_alu instid0(VALU_DEP_1) | instskip(NEXT) | instid1(VALU_DEP_1)
	v_add_nc_u64_e32 v[14:15], v[14:15], v[10:11]
	v_dual_cndmask_b32 v15, v9, v15 :: v_dual_cndmask_b32 v14, v8, v14
	v_cmp_gt_i32_e32 vcc_lo, s26, v34
	flat_load_b128 v[50:53], v[14:15]
	s_wait_xcnt 0x0
	v_lshlrev_b64_e32 v[14:15], 2, v[54:55]
	s_delay_alu instid0(VALU_DEP_1) | instskip(SKIP_1) | instid1(SALU_CYCLE_1)
	v_add_nc_u64_e32 v[46:47], s[2:3], v[14:15]
	s_or_b32 s2, s24, 64
	s_ashr_i32 s3, s2, 31
	s_delay_alu instid0(SALU_CYCLE_1) | instskip(NEXT) | instid1(VALU_DEP_1)
	s_mul_u64 s[2:3], s[2:3], s[14:15]
	v_add_nc_u64_e32 v[46:47], v[46:47], v[10:11]
	s_lshl_b64 s[2:3], s[2:3], 2
	s_delay_alu instid0(SALU_CYCLE_1) | instskip(NEXT) | instid1(SALU_CYCLE_1)
	s_add_nc_u64 s[2:3], s[6:7], s[2:3]
	v_add_nc_u64_e32 v[12:13], s[2:3], v[12:13]
	s_delay_alu instid0(VALU_DEP_2) | instskip(SKIP_1) | instid1(VALU_DEP_3)
	v_dual_cndmask_b32 v47, v9, v47 :: v_dual_cndmask_b32 v46, v8, v46
	v_cmp_gt_i32_e32 vcc_lo, s4, v38
	v_add_nc_u64_e32 v[12:13], v[12:13], v[10:11]
	s_delay_alu instid0(VALU_DEP_1)
	v_dual_cndmask_b32 v12, v8, v12 :: v_dual_cndmask_b32 v13, v9, v13
	v_cmp_gt_i32_e32 vcc_lo, s4, v45
	s_wait_loadcnt_dscnt 0x0
	ds_store_b128 v7, v[50:53]
	s_clause 0x1
	scratch_store_b32 off, v11, off
	scratch_store_b96 off, v[4:6], off offset:4
	flat_load_b128 v[50:53], v[46:47]
	s_wait_loadcnt_dscnt 0x0
	ds_store_b128 v30, v[50:53]
	s_wait_storecnt_dscnt 0x0
	s_barrier_signal -1
	s_barrier_wait -1
	ds_load_2addr_b64 v[50:53], v68 offset1:32
	ds_load_b128 v[54:57], v67 offset:18432
	ds_load_b128 v[70:73], v67 offset:18448
	;; [unrolled: 1-line block ×4, first 2 shown]
	s_wait_dscnt 0x3
	s_wait_xcnt 0x0
	v_and_b32_e32 v46, 0xffff, v54
	v_dual_lshrrev_b32 v23, 16, v54 :: v_dual_lshrrev_b32 v33, 16, v55
	v_and_b32_e32 v47, 0xffff, v55
	s_delay_alu instid0(VALU_DEP_3) | instskip(NEXT) | instid1(VALU_DEP_3)
	v_mul_u32_u24_e32 v46, 0x10001, v46
	v_mul_u32_u24_e32 v23, 0x10001, v23
	s_delay_alu instid0(VALU_DEP_4) | instskip(NEXT) | instid1(VALU_DEP_4)
	v_mul_u32_u24_e32 v33, 0x10001, v33
	v_mul_u32_u24_e32 v47, 0x10001, v47
	s_delay_alu instid0(VALU_DEP_4) | instskip(SKIP_1) | instid1(VALU_DEP_4)
	v_pk_mul_f16 v54, v50, v46
	v_pk_fma_f16 v20, v51, v46, v20
	v_pk_fma_f16 v49, v50, v33, v49
	;; [unrolled: 1-line block ×5, first 2 shown]
	v_pk_mul_f16 v54, v50, v23
	v_pk_fma_f16 v23, v51, v33, v82
	v_dual_lshrrev_b32 v33, 16, v56 :: v_dual_lshrrev_b32 v46, 16, v57
	s_wait_dscnt 0x2
	v_lshrrev_b32_e32 v51, 16, v70
	v_pk_fma_f16 v32, v84, v32, v54
	v_pk_mul_f16 v54, v50, v47
	v_and_b32_e32 v47, 0xffff, v56
	v_and_b32_e32 v50, 0xffff, v57
	v_mul_u32_u24_e32 v33, 0x10001, v33
	v_mul_u32_u24_e32 v46, 0x10001, v46
	v_pk_fma_f16 v48, v83, v48, v54
	v_mul_u32_u24_e32 v47, 0x10001, v47
	v_mul_u32_u24_e32 v50, 0x10001, v50
	v_pk_fma_f16 v32, v52, v33, v32
	v_pk_fma_f16 v49, v52, v46, v49
	v_pk_fma_f16 v33, v53, v33, v21
	v_pk_fma_f16 v29, v52, v47, v29
	v_pk_fma_f16 v48, v52, v50, v48
	v_pk_fma_f16 v47, v53, v47, v20
	v_pk_fma_f16 v50, v53, v50, v22
	v_pk_fma_f16 v46, v53, v46, v23
	ds_load_2addr_b64 v[20:23], v68 offset0:64 offset1:96
	v_lshrrev_b32_e32 v52, 16, v71
	v_and_b32_e32 v53, 0xffff, v70
	v_mul_u32_u24_e32 v51, 0x10001, v51
	v_and_b32_e32 v54, 0xffff, v71
	s_delay_alu instid0(VALU_DEP_4) | instskip(NEXT) | instid1(VALU_DEP_4)
	v_mul_u32_u24_e32 v52, 0x10001, v52
	v_mul_u32_u24_e32 v53, 0x10001, v53
	s_delay_alu instid0(VALU_DEP_3)
	v_mul_u32_u24_e32 v54, 0x10001, v54
	s_wait_dscnt 0x0
	v_pk_fma_f16 v32, v20, v51, v32
	v_pk_fma_f16 v33, v21, v51, v33
	v_and_b32_e32 v51, 0xffff, v72
	v_pk_fma_f16 v29, v20, v53, v29
	v_pk_fma_f16 v48, v20, v54, v48
	;; [unrolled: 1-line block ×6, first 2 shown]
	v_dual_lshrrev_b32 v46, 16, v72 :: v_dual_lshrrev_b32 v50, 16, v73
	v_mul_u32_u24_e32 v51, 0x10001, v51
	v_and_b32_e32 v52, 0xffff, v73
	v_and_b32_e32 v54, 0xffff, v75
	s_delay_alu instid0(VALU_DEP_4) | instskip(NEXT) | instid1(VALU_DEP_4)
	v_mul_u32_u24_e32 v46, 0x10001, v46
	v_pk_fma_f16 v29, v22, v51, v29
	s_delay_alu instid0(VALU_DEP_4)
	v_mul_u32_u24_e32 v52, 0x10001, v52
	v_pk_fma_f16 v47, v23, v51, v47
	v_lshrrev_b32_e32 v51, 16, v75
	v_mul_u32_u24_e32 v50, 0x10001, v50
	v_pk_fma_f16 v32, v22, v46, v32
	v_pk_fma_f16 v48, v22, v52, v48
	;; [unrolled: 1-line block ×6, first 2 shown]
	ds_load_2addr_b64 v[20:23], v68 offset0:128 offset1:160
	v_lshrrev_b32_e32 v50, 16, v74
	v_and_b32_e32 v52, 0xffff, v74
	v_mul_u32_u24_e32 v54, 0x10001, v54
	v_mul_u32_u24_e32 v51, 0x10001, v51
	s_delay_alu instid0(VALU_DEP_4) | instskip(NEXT) | instid1(VALU_DEP_4)
	v_mul_u32_u24_e32 v50, 0x10001, v50
	v_mul_u32_u24_e32 v52, 0x10001, v52
	s_wait_dscnt 0x0
	s_delay_alu instid0(VALU_DEP_1) | instskip(NEXT) | instid1(VALU_DEP_3)
	v_pk_fma_f16 v29, v20, v52, v29
	v_pk_fma_f16 v32, v20, v50, v32
	;; [unrolled: 1-line block ×8, first 2 shown]
	v_and_b32_e32 v51, 0xffff, v76
	v_dual_lshrrev_b32 v49, 16, v76 :: v_dual_lshrrev_b32 v50, 16, v77
	v_and_b32_e32 v52, 0xffff, v77
	v_and_b32_e32 v54, 0xffff, v79
	s_delay_alu instid0(VALU_DEP_4) | instskip(NEXT) | instid1(VALU_DEP_4)
	v_mul_u32_u24_e32 v51, 0x10001, v51
	v_mul_u32_u24_e32 v49, 0x10001, v49
	s_delay_alu instid0(VALU_DEP_4) | instskip(NEXT) | instid1(VALU_DEP_4)
	v_mul_u32_u24_e32 v52, 0x10001, v52
	v_mul_u32_u24_e32 v54, 0x10001, v54
	s_delay_alu instid0(VALU_DEP_4)
	v_pk_fma_f16 v29, v22, v51, v29
	v_pk_fma_f16 v47, v23, v51, v47
	v_lshrrev_b32_e32 v51, 16, v79
	v_mul_u32_u24_e32 v50, 0x10001, v50
	v_pk_fma_f16 v32, v22, v49, v32
	v_pk_fma_f16 v48, v22, v52, v48
	;; [unrolled: 1-line block ×6, first 2 shown]
	ds_load_2addr_b64 v[20:23], v68 offset0:192 offset1:224
	v_lshrrev_b32_e32 v50, 16, v78
	v_and_b32_e32 v52, 0xffff, v78
	v_mul_u32_u24_e32 v51, 0x10001, v51
	s_delay_alu instid0(VALU_DEP_3) | instskip(NEXT) | instid1(VALU_DEP_3)
	v_mul_u32_u24_e32 v50, 0x10001, v50
	v_mul_u32_u24_e32 v52, 0x10001, v52
	s_wait_dscnt 0x0
	s_delay_alu instid0(VALU_DEP_1) | instskip(NEXT) | instid1(VALU_DEP_3)
	v_pk_fma_f16 v47, v21, v52, v47
	v_pk_fma_f16 v33, v21, v50, v33
	;; [unrolled: 1-line block ×4, first 2 shown]
	v_lshrrev_b32_e32 v49, 16, v80
	v_pk_fma_f16 v29, v20, v52, v29
	v_pk_fma_f16 v32, v20, v50, v32
	;; [unrolled: 1-line block ×4, first 2 shown]
	v_lshrrev_b32_e32 v50, 16, v81
	v_and_b32_e32 v51, 0xffff, v80
	v_mul_u32_u24_e32 v49, 0x10001, v49
	v_and_b32_e32 v52, 0xffff, v81
	s_delay_alu instid0(VALU_DEP_4) | instskip(NEXT) | instid1(VALU_DEP_4)
	v_mul_u32_u24_e32 v50, 0x10001, v50
	v_mul_u32_u24_e32 v51, 0x10001, v51
	s_delay_alu instid0(VALU_DEP_4) | instskip(NEXT) | instid1(VALU_DEP_4)
	v_pk_fma_f16 v53, v22, v49, v32
	v_mul_u32_u24_e32 v52, 0x10001, v52
	v_add_nc_u32_e32 v32, 0x800, v68
	v_pk_fma_f16 v55, v22, v50, v20
	v_pk_fma_f16 v29, v22, v51, v29
	;; [unrolled: 1-line block ×7, first 2 shown]
	ds_load_2addr_b64 v[20:23], v32 offset1:32
	ds_load_b128 v[46:49], v67 offset:18496
	s_wait_dscnt 0x0
	v_dual_lshrrev_b32 v56, 16, v46 :: v_dual_lshrrev_b32 v57, 16, v47
	v_and_b32_e32 v46, 0xffff, v46
	v_and_b32_e32 v47, 0xffff, v47
	s_delay_alu instid0(VALU_DEP_3) | instskip(NEXT) | instid1(VALU_DEP_4)
	v_mul_u32_u24_e32 v56, 0x10001, v56
	v_mul_u32_u24_e32 v57, 0x10001, v57
	s_delay_alu instid0(VALU_DEP_4) | instskip(NEXT) | instid1(VALU_DEP_4)
	v_mul_u32_u24_e32 v46, 0x10001, v46
	v_mul_u32_u24_e32 v47, 0x10001, v47
	s_delay_alu instid0(VALU_DEP_4) | instskip(SKIP_1) | instid1(VALU_DEP_4)
	v_pk_fma_f16 v33, v21, v56, v33
	v_pk_fma_f16 v53, v20, v56, v53
	;; [unrolled: 1-line block ×3, first 2 shown]
	s_delay_alu instid0(VALU_DEP_4)
	v_pk_fma_f16 v54, v20, v47, v54
	v_pk_fma_f16 v46, v21, v46, v51
	;; [unrolled: 1-line block ×4, first 2 shown]
	v_dual_lshrrev_b32 v50, 16, v48 :: v_dual_lshrrev_b32 v51, 16, v49
	v_and_b32_e32 v48, 0xffff, v48
	v_and_b32_e32 v49, 0xffff, v49
	v_pk_fma_f16 v20, v20, v57, v55
	s_delay_alu instid0(VALU_DEP_4) | instskip(SKIP_3) | instid1(VALU_DEP_4)
	v_mul_u32_u24_e32 v50, 0x10001, v50
	v_mul_u32_u24_e32 v51, 0x10001, v51
	;; [unrolled: 1-line block ×4, first 2 shown]
	v_pk_fma_f16 v52, v22, v50, v53
	v_pk_fma_f16 v33, v23, v50, v33
	s_delay_alu instid0(VALU_DEP_4) | instskip(NEXT) | instid1(VALU_DEP_4)
	v_pk_fma_f16 v29, v22, v48, v29
	v_pk_fma_f16 v53, v22, v49, v54
	;; [unrolled: 1-line block ×6, first 2 shown]
	ds_load_2addr_b64 v[20:23], v32 offset0:64 offset1:96
	ds_load_b128 v[46:49], v67 offset:18512
	s_wait_dscnt 0x0
	v_lshrrev_b32_e32 v57, 16, v47
	v_and_b32_e32 v47, 0xffff, v47
	v_lshrrev_b32_e32 v56, 16, v46
	v_and_b32_e32 v46, 0xffff, v46
	s_delay_alu instid0(VALU_DEP_3) | instskip(NEXT) | instid1(VALU_DEP_3)
	v_mul_u32_u24_e32 v47, 0x10001, v47
	v_mul_u32_u24_e32 v56, 0x10001, v56
	s_delay_alu instid0(VALU_DEP_3) | instskip(NEXT) | instid1(VALU_DEP_3)
	v_mul_u32_u24_e32 v46, 0x10001, v46
	v_pk_fma_f16 v53, v20, v47, v53
	v_pk_fma_f16 v47, v21, v47, v50
	v_lshrrev_b32_e32 v50, 16, v48
	v_mul_u32_u24_e32 v57, 0x10001, v57
	v_pk_fma_f16 v29, v20, v46, v29
	v_pk_fma_f16 v46, v21, v46, v55
	;; [unrolled: 1-line block ×3, first 2 shown]
	v_and_b32_e32 v48, 0xffff, v48
	v_pk_fma_f16 v21, v21, v57, v51
	v_lshrrev_b32_e32 v51, 16, v49
	v_and_b32_e32 v49, 0xffff, v49
	v_pk_fma_f16 v52, v20, v56, v52
	v_pk_fma_f16 v20, v20, v57, v54
	v_mul_u32_u24_e32 v48, 0x10001, v48
	v_mul_u32_u24_e32 v50, 0x10001, v50
	;; [unrolled: 1-line block ×4, first 2 shown]
	s_delay_alu instid0(VALU_DEP_4) | instskip(NEXT) | instid1(VALU_DEP_4)
	v_pk_fma_f16 v29, v22, v48, v29
	v_pk_fma_f16 v52, v22, v50, v52
	s_delay_alu instid0(VALU_DEP_4) | instskip(NEXT) | instid1(VALU_DEP_4)
	v_pk_fma_f16 v53, v22, v49, v53
	v_pk_fma_f16 v54, v22, v51, v20
	;; [unrolled: 1-line block ×6, first 2 shown]
	ds_load_2addr_b64 v[20:23], v32 offset0:128 offset1:160
	ds_load_b128 v[46:49], v67 offset:18528
	s_wait_dscnt 0x0
	v_lshrrev_b32_e32 v57, 16, v47
	v_and_b32_e32 v47, 0xffff, v47
	v_lshrrev_b32_e32 v56, 16, v46
	v_and_b32_e32 v46, 0xffff, v46
	s_delay_alu instid0(VALU_DEP_3) | instskip(NEXT) | instid1(VALU_DEP_3)
	v_mul_u32_u24_e32 v47, 0x10001, v47
	v_mul_u32_u24_e32 v56, 0x10001, v56
	s_delay_alu instid0(VALU_DEP_3) | instskip(NEXT) | instid1(VALU_DEP_3)
	v_mul_u32_u24_e32 v46, 0x10001, v46
	v_pk_fma_f16 v53, v20, v47, v53
	v_pk_fma_f16 v47, v21, v47, v50
	v_lshrrev_b32_e32 v50, 16, v48
	v_mul_u32_u24_e32 v57, 0x10001, v57
	v_pk_fma_f16 v29, v20, v46, v29
	v_pk_fma_f16 v46, v21, v46, v55
	;; [unrolled: 1-line block ×3, first 2 shown]
	v_and_b32_e32 v48, 0xffff, v48
	v_pk_fma_f16 v21, v21, v57, v51
	v_lshrrev_b32_e32 v51, 16, v49
	v_and_b32_e32 v49, 0xffff, v49
	v_pk_fma_f16 v52, v20, v56, v52
	v_pk_fma_f16 v20, v20, v57, v54
	v_mul_u32_u24_e32 v48, 0x10001, v48
	v_mul_u32_u24_e32 v50, 0x10001, v50
	;; [unrolled: 1-line block ×4, first 2 shown]
	s_delay_alu instid0(VALU_DEP_4) | instskip(NEXT) | instid1(VALU_DEP_4)
	v_pk_fma_f16 v29, v22, v48, v29
	v_pk_fma_f16 v52, v22, v50, v52
	s_delay_alu instid0(VALU_DEP_4) | instskip(NEXT) | instid1(VALU_DEP_4)
	v_pk_fma_f16 v53, v22, v49, v53
	v_pk_fma_f16 v54, v22, v51, v20
	;; [unrolled: 1-line block ×6, first 2 shown]
	ds_load_2addr_b64 v[20:23], v32 offset0:192 offset1:224
	ds_load_b128 v[46:49], v67 offset:18544
	s_wait_dscnt 0x0
	v_lshrrev_b32_e32 v57, 16, v47
	v_and_b32_e32 v47, 0xffff, v47
	v_lshrrev_b32_e32 v56, 16, v46
	v_and_b32_e32 v46, 0xffff, v46
	s_delay_alu instid0(VALU_DEP_3) | instskip(NEXT) | instid1(VALU_DEP_3)
	v_mul_u32_u24_e32 v47, 0x10001, v47
	v_mul_u32_u24_e32 v56, 0x10001, v56
	s_delay_alu instid0(VALU_DEP_3) | instskip(NEXT) | instid1(VALU_DEP_3)
	v_mul_u32_u24_e32 v46, 0x10001, v46
	v_pk_fma_f16 v53, v20, v47, v53
	v_pk_fma_f16 v47, v21, v47, v50
	v_lshrrev_b32_e32 v50, 16, v48
	v_mul_u32_u24_e32 v57, 0x10001, v57
	v_pk_fma_f16 v29, v20, v46, v29
	v_pk_fma_f16 v52, v20, v56, v52
	;; [unrolled: 1-line block ×5, first 2 shown]
	v_lshrrev_b32_e32 v51, 16, v49
	v_and_b32_e32 v48, 0xffff, v48
	v_mul_u32_u24_e32 v50, 0x10001, v50
	v_and_b32_e32 v49, 0xffff, v49
	v_pk_fma_f16 v20, v20, v57, v54
	v_mul_u32_u24_e32 v51, 0x10001, v51
	v_mul_u32_u24_e32 v48, 0x10001, v48
	v_pk_fma_f16 v52, v22, v50, v52
	v_mul_u32_u24_e32 v49, 0x10001, v49
	v_pk_fma_f16 v50, v23, v50, v33
	v_add_nc_u32_e32 v33, 0x1000, v68
	v_pk_fma_f16 v29, v22, v48, v29
	v_pk_fma_f16 v54, v22, v51, v20
	v_pk_fma_f16 v53, v22, v49, v53
	v_pk_fma_f16 v55, v23, v48, v46
	v_pk_fma_f16 v56, v23, v49, v47
	v_pk_fma_f16 v51, v23, v51, v21
	ds_load_2addr_b64 v[20:23], v33 offset1:32
	ds_load_b128 v[46:49], v67 offset:18560
	s_wait_dscnt 0x0
	v_dual_lshrrev_b32 v57, 16, v46 :: v_dual_lshrrev_b32 v69, 16, v47
	v_and_b32_e32 v46, 0xffff, v46
	v_and_b32_e32 v47, 0xffff, v47
	s_delay_alu instid0(VALU_DEP_3) | instskip(NEXT) | instid1(VALU_DEP_4)
	v_mul_u32_u24_e32 v57, 0x10001, v57
	v_mul_u32_u24_e32 v69, 0x10001, v69
	s_delay_alu instid0(VALU_DEP_4) | instskip(NEXT) | instid1(VALU_DEP_4)
	v_mul_u32_u24_e32 v46, 0x10001, v46
	v_mul_u32_u24_e32 v47, 0x10001, v47
	s_delay_alu instid0(VALU_DEP_4) | instskip(SKIP_1) | instid1(VALU_DEP_4)
	v_pk_fma_f16 v52, v20, v57, v52
	v_pk_fma_f16 v50, v21, v57, v50
	;; [unrolled: 1-line block ×3, first 2 shown]
	s_delay_alu instid0(VALU_DEP_4)
	v_pk_fma_f16 v53, v20, v47, v53
	v_pk_fma_f16 v20, v20, v69, v54
	v_pk_fma_f16 v46, v21, v46, v55
	v_pk_fma_f16 v47, v21, v47, v56
	v_pk_fma_f16 v21, v21, v69, v51
	v_dual_lshrrev_b32 v51, 16, v48 :: v_dual_lshrrev_b32 v54, 16, v49
	v_and_b32_e32 v48, 0xffff, v48
	v_and_b32_e32 v49, 0xffff, v49
	s_delay_alu instid0(VALU_DEP_3) | instskip(NEXT) | instid1(VALU_DEP_4)
	v_mul_u32_u24_e32 v51, 0x10001, v51
	v_mul_u32_u24_e32 v54, 0x10001, v54
	s_delay_alu instid0(VALU_DEP_4) | instskip(NEXT) | instid1(VALU_DEP_4)
	v_mul_u32_u24_e32 v48, 0x10001, v48
	v_mul_u32_u24_e32 v49, 0x10001, v49
	s_delay_alu instid0(VALU_DEP_4) | instskip(NEXT) | instid1(VALU_DEP_4)
	v_pk_fma_f16 v52, v22, v51, v52
	v_pk_fma_f16 v55, v22, v54, v20
	s_delay_alu instid0(VALU_DEP_4) | instskip(NEXT) | instid1(VALU_DEP_4)
	v_pk_fma_f16 v29, v22, v48, v29
	v_pk_fma_f16 v53, v22, v49, v53
	;; [unrolled: 1-line block ×6, first 2 shown]
	ds_load_2addr_b64 v[20:23], v33 offset0:64 offset1:96
	ds_load_b128 v[46:49], v67 offset:18576
	s_wait_dscnt 0x0
	v_lshrrev_b32_e32 v69, 16, v47
	v_and_b32_e32 v47, 0xffff, v47
	v_lshrrev_b32_e32 v57, 16, v46
	v_and_b32_e32 v46, 0xffff, v46
	s_delay_alu instid0(VALU_DEP_3) | instskip(NEXT) | instid1(VALU_DEP_3)
	v_mul_u32_u24_e32 v47, 0x10001, v47
	v_mul_u32_u24_e32 v57, 0x10001, v57
	s_delay_alu instid0(VALU_DEP_3) | instskip(NEXT) | instid1(VALU_DEP_3)
	v_mul_u32_u24_e32 v46, 0x10001, v46
	v_pk_fma_f16 v53, v20, v47, v53
	v_pk_fma_f16 v47, v21, v47, v51
	v_lshrrev_b32_e32 v51, 16, v48
	v_mul_u32_u24_e32 v69, 0x10001, v69
	v_pk_fma_f16 v29, v20, v46, v29
	v_pk_fma_f16 v46, v21, v46, v56
	;; [unrolled: 1-line block ×3, first 2 shown]
	v_and_b32_e32 v48, 0xffff, v48
	v_pk_fma_f16 v21, v21, v69, v54
	v_lshrrev_b32_e32 v54, 16, v49
	v_and_b32_e32 v49, 0xffff, v49
	v_pk_fma_f16 v52, v20, v57, v52
	v_pk_fma_f16 v20, v20, v69, v55
	v_mul_u32_u24_e32 v48, 0x10001, v48
	v_mul_u32_u24_e32 v51, 0x10001, v51
	;; [unrolled: 1-line block ×4, first 2 shown]
	s_delay_alu instid0(VALU_DEP_4) | instskip(NEXT) | instid1(VALU_DEP_4)
	v_pk_fma_f16 v29, v22, v48, v29
	v_pk_fma_f16 v52, v22, v51, v52
	s_delay_alu instid0(VALU_DEP_4) | instskip(NEXT) | instid1(VALU_DEP_4)
	v_pk_fma_f16 v53, v22, v49, v53
	v_pk_fma_f16 v55, v22, v54, v20
	;; [unrolled: 1-line block ×6, first 2 shown]
	ds_load_2addr_b64 v[20:23], v33 offset0:128 offset1:160
	ds_load_b128 v[46:49], v67 offset:18592
	s_wait_dscnt 0x0
	v_lshrrev_b32_e32 v69, 16, v47
	v_and_b32_e32 v47, 0xffff, v47
	v_lshrrev_b32_e32 v57, 16, v46
	v_and_b32_e32 v46, 0xffff, v46
	s_delay_alu instid0(VALU_DEP_3) | instskip(NEXT) | instid1(VALU_DEP_3)
	v_mul_u32_u24_e32 v47, 0x10001, v47
	v_mul_u32_u24_e32 v57, 0x10001, v57
	s_delay_alu instid0(VALU_DEP_3) | instskip(NEXT) | instid1(VALU_DEP_3)
	v_mul_u32_u24_e32 v46, 0x10001, v46
	v_pk_fma_f16 v53, v20, v47, v53
	v_pk_fma_f16 v47, v21, v47, v51
	v_lshrrev_b32_e32 v51, 16, v48
	v_mul_u32_u24_e32 v69, 0x10001, v69
	v_pk_fma_f16 v29, v20, v46, v29
	v_pk_fma_f16 v46, v21, v46, v56
	;; [unrolled: 1-line block ×3, first 2 shown]
	v_and_b32_e32 v48, 0xffff, v48
	v_pk_fma_f16 v21, v21, v69, v54
	v_lshrrev_b32_e32 v54, 16, v49
	v_and_b32_e32 v49, 0xffff, v49
	v_pk_fma_f16 v52, v20, v57, v52
	v_pk_fma_f16 v20, v20, v69, v55
	v_mul_u32_u24_e32 v48, 0x10001, v48
	v_mul_u32_u24_e32 v51, 0x10001, v51
	;; [unrolled: 1-line block ×4, first 2 shown]
	s_delay_alu instid0(VALU_DEP_4) | instskip(NEXT) | instid1(VALU_DEP_4)
	v_pk_fma_f16 v29, v22, v48, v29
	v_pk_fma_f16 v52, v22, v51, v52
	s_delay_alu instid0(VALU_DEP_4) | instskip(NEXT) | instid1(VALU_DEP_4)
	v_pk_fma_f16 v53, v22, v49, v53
	v_pk_fma_f16 v55, v22, v54, v20
	;; [unrolled: 1-line block ×6, first 2 shown]
	ds_load_2addr_b64 v[20:23], v33 offset0:192 offset1:224
	ds_load_b128 v[46:49], v67 offset:18608
	s_wait_dscnt 0x0
	v_lshrrev_b32_e32 v69, 16, v47
	v_and_b32_e32 v47, 0xffff, v47
	v_lshrrev_b32_e32 v57, 16, v46
	v_and_b32_e32 v46, 0xffff, v46
	s_delay_alu instid0(VALU_DEP_3) | instskip(NEXT) | instid1(VALU_DEP_3)
	v_mul_u32_u24_e32 v47, 0x10001, v47
	v_mul_u32_u24_e32 v57, 0x10001, v57
	s_delay_alu instid0(VALU_DEP_3) | instskip(NEXT) | instid1(VALU_DEP_3)
	v_mul_u32_u24_e32 v46, 0x10001, v46
	v_pk_fma_f16 v53, v20, v47, v53
	v_pk_fma_f16 v47, v21, v47, v51
	v_lshrrev_b32_e32 v51, 16, v48
	v_mul_u32_u24_e32 v69, 0x10001, v69
	v_and_b32_e32 v48, 0xffff, v48
	v_pk_fma_f16 v29, v20, v46, v29
	v_pk_fma_f16 v46, v21, v46, v56
	;; [unrolled: 1-line block ×4, first 2 shown]
	v_lshrrev_b32_e32 v54, 16, v49
	v_mul_u32_u24_e32 v48, 0x10001, v48
	v_and_b32_e32 v49, 0xffff, v49
	v_pk_fma_f16 v52, v20, v57, v52
	v_pk_fma_f16 v20, v20, v69, v55
	v_mul_u32_u24_e32 v51, 0x10001, v51
	v_mul_u32_u24_e32 v54, 0x10001, v54
	;; [unrolled: 1-line block ×3, first 2 shown]
	v_pk_fma_f16 v55, v22, v48, v29
	v_add_nc_u32_e32 v29, 0x1800, v68
	v_pk_fma_f16 v52, v22, v51, v52
	v_pk_fma_f16 v56, v22, v54, v20
	;; [unrolled: 1-line block ×7, first 2 shown]
	ds_load_2addr_b64 v[20:23], v29 offset1:32
	ds_load_b128 v[46:49], v67 offset:18624
	s_wait_dscnt 0x0
	v_lshrrev_b32_e32 v70, 16, v47
	v_and_b32_e32 v47, 0xffff, v47
	v_lshrrev_b32_e32 v69, 16, v46
	v_and_b32_e32 v46, 0xffff, v46
	s_delay_alu instid0(VALU_DEP_3) | instskip(NEXT) | instid1(VALU_DEP_3)
	v_mul_u32_u24_e32 v47, 0x10001, v47
	v_mul_u32_u24_e32 v69, 0x10001, v69
	s_delay_alu instid0(VALU_DEP_3) | instskip(NEXT) | instid1(VALU_DEP_3)
	v_mul_u32_u24_e32 v46, 0x10001, v46
	v_pk_fma_f16 v53, v20, v47, v53
	v_pk_fma_f16 v47, v21, v47, v51
	v_lshrrev_b32_e32 v51, 16, v48
	v_mul_u32_u24_e32 v70, 0x10001, v70
	v_pk_fma_f16 v55, v20, v46, v55
	v_pk_fma_f16 v46, v21, v46, v57
	v_pk_fma_f16 v50, v21, v69, v50
	v_and_b32_e32 v48, 0xffff, v48
	v_pk_fma_f16 v21, v21, v70, v54
	v_lshrrev_b32_e32 v54, 16, v49
	v_and_b32_e32 v49, 0xffff, v49
	v_pk_fma_f16 v52, v20, v69, v52
	v_pk_fma_f16 v20, v20, v70, v56
	v_mul_u32_u24_e32 v48, 0x10001, v48
	v_mul_u32_u24_e32 v51, 0x10001, v51
	v_mul_u32_u24_e32 v49, 0x10001, v49
	v_mul_u32_u24_e32 v54, 0x10001, v54
	s_delay_alu instid0(VALU_DEP_4) | instskip(NEXT) | instid1(VALU_DEP_4)
	v_pk_fma_f16 v55, v22, v48, v55
	v_pk_fma_f16 v52, v22, v51, v52
	s_delay_alu instid0(VALU_DEP_4) | instskip(NEXT) | instid1(VALU_DEP_4)
	v_pk_fma_f16 v53, v22, v49, v53
	v_pk_fma_f16 v56, v22, v54, v20
	v_pk_fma_f16 v57, v23, v48, v46
	v_pk_fma_f16 v50, v23, v51, v50
	v_pk_fma_f16 v51, v23, v49, v47
	v_pk_fma_f16 v54, v23, v54, v21
	ds_load_2addr_b64 v[20:23], v29 offset0:64 offset1:96
	ds_load_b128 v[46:49], v67 offset:18640
	s_wait_dscnt 0x0
	v_lshrrev_b32_e32 v70, 16, v47
	v_and_b32_e32 v47, 0xffff, v47
	v_lshrrev_b32_e32 v69, 16, v46
	v_and_b32_e32 v46, 0xffff, v46
	s_delay_alu instid0(VALU_DEP_3) | instskip(NEXT) | instid1(VALU_DEP_3)
	v_mul_u32_u24_e32 v47, 0x10001, v47
	v_mul_u32_u24_e32 v69, 0x10001, v69
	s_delay_alu instid0(VALU_DEP_3) | instskip(NEXT) | instid1(VALU_DEP_3)
	v_mul_u32_u24_e32 v46, 0x10001, v46
	v_pk_fma_f16 v53, v20, v47, v53
	v_pk_fma_f16 v47, v21, v47, v51
	v_lshrrev_b32_e32 v51, 16, v48
	v_mul_u32_u24_e32 v70, 0x10001, v70
	v_pk_fma_f16 v55, v20, v46, v55
	v_pk_fma_f16 v46, v21, v46, v57
	v_pk_fma_f16 v50, v21, v69, v50
	v_and_b32_e32 v48, 0xffff, v48
	v_pk_fma_f16 v21, v21, v70, v54
	v_lshrrev_b32_e32 v54, 16, v49
	v_and_b32_e32 v49, 0xffff, v49
	v_pk_fma_f16 v52, v20, v69, v52
	v_pk_fma_f16 v20, v20, v70, v56
	v_mul_u32_u24_e32 v48, 0x10001, v48
	v_mul_u32_u24_e32 v51, 0x10001, v51
	v_mul_u32_u24_e32 v49, 0x10001, v49
	v_mul_u32_u24_e32 v54, 0x10001, v54
	s_delay_alu instid0(VALU_DEP_4) | instskip(NEXT) | instid1(VALU_DEP_4)
	v_pk_fma_f16 v55, v22, v48, v55
	v_pk_fma_f16 v52, v22, v51, v52
	s_delay_alu instid0(VALU_DEP_4) | instskip(NEXT) | instid1(VALU_DEP_4)
	v_pk_fma_f16 v53, v22, v49, v53
	v_pk_fma_f16 v56, v22, v54, v20
	v_pk_fma_f16 v57, v23, v48, v46
	v_pk_fma_f16 v50, v23, v51, v50
	v_pk_fma_f16 v51, v23, v49, v47
	v_pk_fma_f16 v54, v23, v54, v21
	ds_load_2addr_b64 v[20:23], v29 offset0:128 offset1:160
	;; [unrolled: 39-line block ×3, first 2 shown]
	ds_load_b128 v[46:49], v67 offset:18672
	s_wait_dscnt 0x0
	v_lshrrev_b32_e32 v70, 16, v47
	v_and_b32_e32 v47, 0xffff, v47
	v_lshrrev_b32_e32 v69, 16, v46
	v_and_b32_e32 v46, 0xffff, v46
	s_delay_alu instid0(VALU_DEP_3) | instskip(NEXT) | instid1(VALU_DEP_3)
	v_mul_u32_u24_e32 v47, 0x10001, v47
	v_mul_u32_u24_e32 v69, 0x10001, v69
	s_delay_alu instid0(VALU_DEP_3) | instskip(NEXT) | instid1(VALU_DEP_3)
	v_mul_u32_u24_e32 v46, 0x10001, v46
	v_pk_fma_f16 v53, v20, v47, v53
	v_pk_fma_f16 v47, v21, v47, v51
	v_lshrrev_b32_e32 v51, 16, v48
	v_mul_u32_u24_e32 v70, 0x10001, v70
	v_pk_fma_f16 v55, v20, v46, v55
	v_pk_fma_f16 v46, v21, v46, v57
	;; [unrolled: 1-line block ×3, first 2 shown]
	v_and_b32_e32 v48, 0xffff, v48
	v_pk_fma_f16 v21, v21, v70, v54
	v_lshrrev_b32_e32 v54, 16, v49
	v_and_b32_e32 v49, 0xffff, v49
	v_pk_fma_f16 v52, v20, v69, v52
	v_pk_fma_f16 v20, v20, v70, v56
	v_mul_u32_u24_e32 v48, 0x10001, v48
	v_mul_u32_u24_e32 v51, 0x10001, v51
	;; [unrolled: 1-line block ×4, first 2 shown]
	s_delay_alu instid0(VALU_DEP_4) | instskip(NEXT) | instid1(VALU_DEP_4)
	v_pk_fma_f16 v55, v22, v48, v55
	v_pk_fma_f16 v56, v22, v51, v52
	s_delay_alu instid0(VALU_DEP_4) | instskip(NEXT) | instid1(VALU_DEP_4)
	v_pk_fma_f16 v57, v22, v49, v53
	v_pk_fma_f16 v20, v22, v54, v20
	;; [unrolled: 1-line block ×6, first 2 shown]
	v_add_nc_u32_e32 v23, 0x2000, v68
	ds_load_2addr_b64 v[46:49], v23 offset1:32
	ds_load_b128 v[50:53], v67 offset:18688
	s_wait_dscnt 0x0
	v_dual_lshrrev_b32 v54, 16, v50 :: v_dual_lshrrev_b32 v71, 16, v51
	v_and_b32_e32 v50, 0xffff, v50
	v_and_b32_e32 v51, 0xffff, v51
	s_delay_alu instid0(VALU_DEP_3) | instskip(NEXT) | instid1(VALU_DEP_4)
	v_mul_u32_u24_e32 v54, 0x10001, v54
	v_mul_u32_u24_e32 v71, 0x10001, v71
	s_delay_alu instid0(VALU_DEP_4) | instskip(NEXT) | instid1(VALU_DEP_4)
	v_mul_u32_u24_e32 v50, 0x10001, v50
	v_mul_u32_u24_e32 v51, 0x10001, v51
	s_delay_alu instid0(VALU_DEP_4) | instskip(NEXT) | instid1(VALU_DEP_4)
	v_pk_fma_f16 v56, v46, v54, v56
	v_pk_fma_f16 v20, v46, v71, v20
	s_delay_alu instid0(VALU_DEP_4) | instskip(NEXT) | instid1(VALU_DEP_4)
	v_pk_fma_f16 v55, v46, v50, v55
	v_pk_fma_f16 v57, v46, v51, v57
	;; [unrolled: 1-line block ×6, first 2 shown]
	v_dual_lshrrev_b32 v47, 16, v52 :: v_dual_lshrrev_b32 v51, 16, v53
	v_and_b32_e32 v52, 0xffff, v52
	v_and_b32_e32 v53, 0xffff, v53
	s_delay_alu instid0(VALU_DEP_3) | instskip(NEXT) | instid1(VALU_DEP_4)
	v_mul_u32_u24_e32 v47, 0x10001, v47
	v_mul_u32_u24_e32 v51, 0x10001, v51
	s_delay_alu instid0(VALU_DEP_4) | instskip(NEXT) | instid1(VALU_DEP_4)
	v_mul_u32_u24_e32 v52, 0x10001, v52
	v_mul_u32_u24_e32 v53, 0x10001, v53
	s_delay_alu instid0(VALU_DEP_3) | instskip(NEXT) | instid1(VALU_DEP_3)
	v_pk_fma_f16 v20, v48, v51, v20
	v_pk_fma_f16 v54, v48, v52, v55
	;; [unrolled: 1-line block ×3, first 2 shown]
	s_delay_alu instid0(VALU_DEP_4)
	v_pk_fma_f16 v56, v48, v53, v57
	v_pk_fma_f16 v22, v49, v52, v22
	;; [unrolled: 1-line block ×5, first 2 shown]
	ds_load_2addr_b64 v[46:49], v23 offset0:64 offset1:96
	ds_load_b128 v[50:53], v67 offset:18704
	s_wait_dscnt 0x0
	v_dual_lshrrev_b32 v70, 16, v50 :: v_dual_lshrrev_b32 v71, 16, v51
	v_and_b32_e32 v50, 0xffff, v50
	v_and_b32_e32 v51, 0xffff, v51
	s_delay_alu instid0(VALU_DEP_3) | instskip(NEXT) | instid1(VALU_DEP_4)
	v_mul_u32_u24_e32 v70, 0x10001, v70
	v_mul_u32_u24_e32 v71, 0x10001, v71
	s_delay_alu instid0(VALU_DEP_4) | instskip(NEXT) | instid1(VALU_DEP_4)
	v_mul_u32_u24_e32 v50, 0x10001, v50
	v_mul_u32_u24_e32 v51, 0x10001, v51
	s_delay_alu instid0(VALU_DEP_4) | instskip(NEXT) | instid1(VALU_DEP_4)
	v_pk_fma_f16 v55, v46, v70, v55
	v_pk_fma_f16 v20, v46, v71, v20
	s_delay_alu instid0(VALU_DEP_4) | instskip(NEXT) | instid1(VALU_DEP_4)
	v_pk_fma_f16 v54, v46, v50, v54
	v_pk_fma_f16 v56, v46, v51, v56
	;; [unrolled: 1-line block ×6, first 2 shown]
	v_dual_lshrrev_b32 v47, 16, v52 :: v_dual_lshrrev_b32 v51, 16, v53
	v_and_b32_e32 v52, 0xffff, v52
	v_and_b32_e32 v53, 0xffff, v53
	s_delay_alu instid0(VALU_DEP_3) | instskip(NEXT) | instid1(VALU_DEP_4)
	v_mul_u32_u24_e32 v47, 0x10001, v47
	v_mul_u32_u24_e32 v51, 0x10001, v51
	s_delay_alu instid0(VALU_DEP_4) | instskip(NEXT) | instid1(VALU_DEP_4)
	v_mul_u32_u24_e32 v52, 0x10001, v52
	v_mul_u32_u24_e32 v53, 0x10001, v53
	s_delay_alu instid0(VALU_DEP_4) | instskip(NEXT) | instid1(VALU_DEP_4)
	v_pk_fma_f16 v55, v48, v47, v55
	v_pk_fma_f16 v20, v48, v51, v20
	s_delay_alu instid0(VALU_DEP_4) | instskip(NEXT) | instid1(VALU_DEP_4)
	v_pk_fma_f16 v54, v48, v52, v54
	v_pk_fma_f16 v56, v48, v53, v56
	;; [unrolled: 1-line block ×6, first 2 shown]
	ds_load_2addr_b64 v[46:49], v23 offset0:128 offset1:160
	ds_load_b128 v[50:53], v67 offset:18720
	s_wait_dscnt 0x0
	v_dual_lshrrev_b32 v70, 16, v50 :: v_dual_lshrrev_b32 v71, 16, v51
	v_and_b32_e32 v50, 0xffff, v50
	v_and_b32_e32 v51, 0xffff, v51
	s_delay_alu instid0(VALU_DEP_3) | instskip(NEXT) | instid1(VALU_DEP_4)
	v_mul_u32_u24_e32 v70, 0x10001, v70
	v_mul_u32_u24_e32 v71, 0x10001, v71
	s_delay_alu instid0(VALU_DEP_4) | instskip(NEXT) | instid1(VALU_DEP_4)
	v_mul_u32_u24_e32 v50, 0x10001, v50
	v_mul_u32_u24_e32 v51, 0x10001, v51
	s_delay_alu instid0(VALU_DEP_4) | instskip(NEXT) | instid1(VALU_DEP_4)
	v_pk_fma_f16 v55, v46, v70, v55
	v_pk_fma_f16 v20, v46, v71, v20
	s_delay_alu instid0(VALU_DEP_4) | instskip(NEXT) | instid1(VALU_DEP_4)
	v_pk_fma_f16 v54, v46, v50, v54
	v_pk_fma_f16 v56, v46, v51, v56
	;; [unrolled: 1-line block ×6, first 2 shown]
	v_dual_lshrrev_b32 v47, 16, v52 :: v_dual_lshrrev_b32 v51, 16, v53
	v_and_b32_e32 v52, 0xffff, v52
	v_and_b32_e32 v53, 0xffff, v53
	s_delay_alu instid0(VALU_DEP_3) | instskip(NEXT) | instid1(VALU_DEP_4)
	v_mul_u32_u24_e32 v47, 0x10001, v47
	v_mul_u32_u24_e32 v51, 0x10001, v51
	s_delay_alu instid0(VALU_DEP_4) | instskip(NEXT) | instid1(VALU_DEP_4)
	v_mul_u32_u24_e32 v52, 0x10001, v52
	v_mul_u32_u24_e32 v53, 0x10001, v53
	s_delay_alu instid0(VALU_DEP_4) | instskip(NEXT) | instid1(VALU_DEP_4)
	v_pk_fma_f16 v55, v48, v47, v55
	v_pk_fma_f16 v20, v48, v51, v20
	s_delay_alu instid0(VALU_DEP_4) | instskip(NEXT) | instid1(VALU_DEP_4)
	v_pk_fma_f16 v54, v48, v52, v54
	v_pk_fma_f16 v56, v48, v53, v56
	;; [unrolled: 1-line block ×6, first 2 shown]
	ds_load_2addr_b64 v[46:49], v23 offset0:192 offset1:224
	ds_load_b128 v[50:53], v67 offset:18736
	s_wait_dscnt 0x0
	v_dual_lshrrev_b32 v70, 16, v50 :: v_dual_lshrrev_b32 v71, 16, v51
	v_and_b32_e32 v50, 0xffff, v50
	v_and_b32_e32 v51, 0xffff, v51
	s_delay_alu instid0(VALU_DEP_3) | instskip(NEXT) | instid1(VALU_DEP_4)
	v_mul_u32_u24_e32 v70, 0x10001, v70
	v_mul_u32_u24_e32 v71, 0x10001, v71
	s_delay_alu instid0(VALU_DEP_4) | instskip(NEXT) | instid1(VALU_DEP_4)
	v_mul_u32_u24_e32 v50, 0x10001, v50
	v_mul_u32_u24_e32 v51, 0x10001, v51
	s_delay_alu instid0(VALU_DEP_4) | instskip(NEXT) | instid1(VALU_DEP_4)
	v_pk_fma_f16 v55, v46, v70, v55
	v_pk_fma_f16 v20, v46, v71, v20
	s_delay_alu instid0(VALU_DEP_4) | instskip(NEXT) | instid1(VALU_DEP_4)
	v_pk_fma_f16 v54, v46, v50, v54
	v_pk_fma_f16 v56, v46, v51, v56
	;; [unrolled: 1-line block ×6, first 2 shown]
	v_lshrrev_b32_e32 v47, 16, v52
	v_and_b32_e32 v52, 0xffff, v52
	v_lshrrev_b32_e32 v51, 16, v53
	v_and_b32_e32 v53, 0xffff, v53
	s_delay_alu instid0(VALU_DEP_4) | instskip(NEXT) | instid1(VALU_DEP_4)
	v_mul_u32_u24_e32 v47, 0x10001, v47
	v_mul_u32_u24_e32 v52, 0x10001, v52
	s_delay_alu instid0(VALU_DEP_4) | instskip(NEXT) | instid1(VALU_DEP_4)
	v_mul_u32_u24_e32 v51, 0x10001, v51
	v_mul_u32_u24_e32 v53, 0x10001, v53
	s_delay_alu instid0(VALU_DEP_4) | instskip(NEXT) | instid1(VALU_DEP_4)
	v_pk_fma_f16 v55, v48, v47, v55
	v_pk_fma_f16 v57, v49, v52, v22
	v_add_nc_u32_e32 v22, 0x2800, v68
	v_pk_fma_f16 v54, v48, v52, v54
	v_pk_fma_f16 v56, v48, v53, v56
	;; [unrolled: 1-line block ×6, first 2 shown]
	ds_load_2addr_b64 v[46:49], v22 offset1:32
	ds_load_b128 v[50:53], v67 offset:18752
	s_wait_dscnt 0x0
	v_dual_lshrrev_b32 v71, 16, v50 :: v_dual_lshrrev_b32 v72, 16, v51
	v_and_b32_e32 v50, 0xffff, v50
	v_and_b32_e32 v51, 0xffff, v51
	s_delay_alu instid0(VALU_DEP_3) | instskip(NEXT) | instid1(VALU_DEP_4)
	v_mul_u32_u24_e32 v71, 0x10001, v71
	v_mul_u32_u24_e32 v72, 0x10001, v72
	s_delay_alu instid0(VALU_DEP_4) | instskip(NEXT) | instid1(VALU_DEP_4)
	v_mul_u32_u24_e32 v50, 0x10001, v50
	v_mul_u32_u24_e32 v51, 0x10001, v51
	s_delay_alu instid0(VALU_DEP_4) | instskip(NEXT) | instid1(VALU_DEP_4)
	v_pk_fma_f16 v55, v46, v71, v55
	v_pk_fma_f16 v20, v46, v72, v20
	s_delay_alu instid0(VALU_DEP_4) | instskip(NEXT) | instid1(VALU_DEP_4)
	v_pk_fma_f16 v54, v46, v50, v54
	v_pk_fma_f16 v56, v46, v51, v56
	v_pk_fma_f16 v46, v47, v50, v57
	v_pk_fma_f16 v50, v47, v71, v69
	v_pk_fma_f16 v51, v47, v51, v70
	v_pk_fma_f16 v21, v47, v72, v21
	v_dual_lshrrev_b32 v47, 16, v52 :: v_dual_lshrrev_b32 v57, 16, v53
	v_and_b32_e32 v52, 0xffff, v52
	v_and_b32_e32 v53, 0xffff, v53
	s_delay_alu instid0(VALU_DEP_3) | instskip(NEXT) | instid1(VALU_DEP_4)
	v_mul_u32_u24_e32 v47, 0x10001, v47
	v_mul_u32_u24_e32 v57, 0x10001, v57
	s_delay_alu instid0(VALU_DEP_4) | instskip(NEXT) | instid1(VALU_DEP_4)
	v_mul_u32_u24_e32 v52, 0x10001, v52
	v_mul_u32_u24_e32 v53, 0x10001, v53
	s_delay_alu instid0(VALU_DEP_4) | instskip(NEXT) | instid1(VALU_DEP_4)
	v_pk_fma_f16 v55, v48, v47, v55
	v_pk_fma_f16 v20, v48, v57, v20
	s_delay_alu instid0(VALU_DEP_4) | instskip(NEXT) | instid1(VALU_DEP_4)
	v_pk_fma_f16 v54, v48, v52, v54
	v_pk_fma_f16 v56, v48, v53, v56
	v_pk_fma_f16 v69, v49, v52, v46
	v_pk_fma_f16 v70, v49, v47, v50
	v_pk_fma_f16 v71, v49, v53, v51
	v_pk_fma_f16 v21, v49, v57, v21
	ds_load_2addr_b64 v[46:49], v22 offset0:64 offset1:96
	ds_load_b128 v[50:53], v67 offset:18768
	s_wait_dscnt 0x0
	v_dual_lshrrev_b32 v57, 16, v50 :: v_dual_lshrrev_b32 v72, 16, v51
	v_and_b32_e32 v50, 0xffff, v50
	v_and_b32_e32 v51, 0xffff, v51
	s_delay_alu instid0(VALU_DEP_3) | instskip(NEXT) | instid1(VALU_DEP_4)
	v_mul_u32_u24_e32 v57, 0x10001, v57
	v_mul_u32_u24_e32 v72, 0x10001, v72
	s_delay_alu instid0(VALU_DEP_4) | instskip(NEXT) | instid1(VALU_DEP_4)
	v_mul_u32_u24_e32 v50, 0x10001, v50
	v_mul_u32_u24_e32 v51, 0x10001, v51
	s_delay_alu instid0(VALU_DEP_4) | instskip(NEXT) | instid1(VALU_DEP_4)
	v_pk_fma_f16 v55, v46, v57, v55
	v_pk_fma_f16 v20, v46, v72, v20
	s_delay_alu instid0(VALU_DEP_4) | instskip(NEXT) | instid1(VALU_DEP_4)
	v_pk_fma_f16 v54, v46, v50, v54
	v_pk_fma_f16 v56, v46, v51, v56
	v_pk_fma_f16 v46, v47, v50, v69
	v_pk_fma_f16 v50, v47, v57, v70
	v_pk_fma_f16 v51, v47, v51, v71
	v_pk_fma_f16 v21, v47, v72, v21
	v_dual_lshrrev_b32 v47, 16, v52 :: v_dual_lshrrev_b32 v57, 16, v53
	v_and_b32_e32 v52, 0xffff, v52
	v_and_b32_e32 v53, 0xffff, v53
	s_delay_alu instid0(VALU_DEP_3) | instskip(NEXT) | instid1(VALU_DEP_4)
	v_mul_u32_u24_e32 v47, 0x10001, v47
	v_mul_u32_u24_e32 v57, 0x10001, v57
	s_delay_alu instid0(VALU_DEP_4) | instskip(NEXT) | instid1(VALU_DEP_4)
	v_mul_u32_u24_e32 v52, 0x10001, v52
	v_mul_u32_u24_e32 v53, 0x10001, v53
	s_delay_alu instid0(VALU_DEP_4) | instskip(NEXT) | instid1(VALU_DEP_4)
	v_pk_fma_f16 v55, v48, v47, v55
	v_pk_fma_f16 v20, v48, v57, v20
	s_delay_alu instid0(VALU_DEP_4) | instskip(NEXT) | instid1(VALU_DEP_4)
	v_pk_fma_f16 v54, v48, v52, v54
	v_pk_fma_f16 v56, v48, v53, v56
	v_pk_fma_f16 v69, v49, v52, v46
	v_pk_fma_f16 v70, v49, v47, v50
	v_pk_fma_f16 v71, v49, v53, v51
	v_pk_fma_f16 v21, v49, v57, v21
	ds_load_2addr_b64 v[46:49], v22 offset0:128 offset1:160
	;; [unrolled: 41-line block ×3, first 2 shown]
	ds_load_b128 v[50:53], v67 offset:18800
	s_wait_dscnt 0x0
	v_dual_lshrrev_b32 v57, 16, v50 :: v_dual_lshrrev_b32 v72, 16, v51
	v_and_b32_e32 v50, 0xffff, v50
	v_and_b32_e32 v51, 0xffff, v51
	s_delay_alu instid0(VALU_DEP_3) | instskip(NEXT) | instid1(VALU_DEP_4)
	v_mul_u32_u24_e32 v57, 0x10001, v57
	v_mul_u32_u24_e32 v72, 0x10001, v72
	s_delay_alu instid0(VALU_DEP_4) | instskip(NEXT) | instid1(VALU_DEP_4)
	v_mul_u32_u24_e32 v50, 0x10001, v50
	v_mul_u32_u24_e32 v51, 0x10001, v51
	s_delay_alu instid0(VALU_DEP_4) | instskip(NEXT) | instid1(VALU_DEP_4)
	v_pk_fma_f16 v55, v46, v57, v55
	v_pk_fma_f16 v20, v46, v72, v20
	s_delay_alu instid0(VALU_DEP_4) | instskip(NEXT) | instid1(VALU_DEP_4)
	v_pk_fma_f16 v54, v46, v50, v54
	v_pk_fma_f16 v56, v46, v51, v56
	;; [unrolled: 1-line block ×4, first 2 shown]
	v_lshrrev_b32_e32 v57, 16, v53
	v_pk_fma_f16 v51, v47, v51, v71
	v_pk_fma_f16 v21, v47, v72, v21
	v_lshrrev_b32_e32 v47, 16, v52
	v_and_b32_e32 v52, 0xffff, v52
	v_and_b32_e32 v53, 0xffff, v53
	v_mul_u32_u24_e32 v57, 0x10001, v57
	s_delay_alu instid0(VALU_DEP_4) | instskip(NEXT) | instid1(VALU_DEP_4)
	v_mul_u32_u24_e32 v47, 0x10001, v47
	v_mul_u32_u24_e32 v52, 0x10001, v52
	s_delay_alu instid0(VALU_DEP_4) | instskip(NEXT) | instid1(VALU_DEP_4)
	v_mul_u32_u24_e32 v53, 0x10001, v53
	v_pk_fma_f16 v20, v48, v57, v20
	v_pk_fma_f16 v57, v49, v57, v21
	v_add_nc_u32_e32 v21, 0x3000, v68
	v_pk_fma_f16 v54, v48, v52, v54
	v_pk_fma_f16 v55, v48, v47, v55
	;; [unrolled: 1-line block ×6, first 2 shown]
	ds_load_2addr_b64 v[46:49], v21 offset1:32
	ds_load_b128 v[50:53], v67 offset:18816
	s_wait_dscnt 0x0
	v_dual_lshrrev_b32 v72, 16, v50 :: v_dual_lshrrev_b32 v73, 16, v51
	v_and_b32_e32 v50, 0xffff, v50
	v_and_b32_e32 v51, 0xffff, v51
	s_delay_alu instid0(VALU_DEP_3) | instskip(NEXT) | instid1(VALU_DEP_4)
	v_mul_u32_u24_e32 v72, 0x10001, v72
	v_mul_u32_u24_e32 v73, 0x10001, v73
	s_delay_alu instid0(VALU_DEP_4) | instskip(NEXT) | instid1(VALU_DEP_4)
	v_mul_u32_u24_e32 v50, 0x10001, v50
	v_mul_u32_u24_e32 v51, 0x10001, v51
	s_delay_alu instid0(VALU_DEP_4) | instskip(NEXT) | instid1(VALU_DEP_4)
	v_pk_fma_f16 v55, v46, v72, v55
	v_pk_fma_f16 v20, v46, v73, v20
	s_delay_alu instid0(VALU_DEP_4) | instskip(NEXT) | instid1(VALU_DEP_4)
	v_pk_fma_f16 v54, v46, v50, v54
	v_pk_fma_f16 v56, v46, v51, v56
	v_pk_fma_f16 v46, v47, v50, v69
	v_pk_fma_f16 v50, v47, v72, v70
	v_pk_fma_f16 v51, v47, v51, v71
	v_pk_fma_f16 v47, v47, v73, v57
	v_dual_lshrrev_b32 v57, 16, v52 :: v_dual_lshrrev_b32 v69, 16, v53
	v_and_b32_e32 v52, 0xffff, v52
	v_and_b32_e32 v53, 0xffff, v53
	s_delay_alu instid0(VALU_DEP_3) | instskip(NEXT) | instid1(VALU_DEP_4)
	v_mul_u32_u24_e32 v57, 0x10001, v57
	v_mul_u32_u24_e32 v69, 0x10001, v69
	s_delay_alu instid0(VALU_DEP_4) | instskip(NEXT) | instid1(VALU_DEP_4)
	v_mul_u32_u24_e32 v52, 0x10001, v52
	v_mul_u32_u24_e32 v53, 0x10001, v53
	s_delay_alu instid0(VALU_DEP_4) | instskip(NEXT) | instid1(VALU_DEP_4)
	v_pk_fma_f16 v55, v48, v57, v55
	v_pk_fma_f16 v20, v48, v69, v20
	s_delay_alu instid0(VALU_DEP_4) | instskip(NEXT) | instid1(VALU_DEP_4)
	v_pk_fma_f16 v54, v48, v52, v54
	v_pk_fma_f16 v56, v48, v53, v56
	v_pk_fma_f16 v70, v49, v52, v46
	v_pk_fma_f16 v57, v49, v57, v50
	v_pk_fma_f16 v71, v49, v53, v51
	v_pk_fma_f16 v69, v49, v69, v47
	ds_load_2addr_b64 v[46:49], v21 offset0:64 offset1:96
	ds_load_b128 v[50:53], v67 offset:18832
	s_wait_dscnt 0x0
	v_dual_lshrrev_b32 v72, 16, v50 :: v_dual_lshrrev_b32 v73, 16, v51
	v_and_b32_e32 v50, 0xffff, v50
	v_and_b32_e32 v51, 0xffff, v51
	s_delay_alu instid0(VALU_DEP_3) | instskip(NEXT) | instid1(VALU_DEP_4)
	v_mul_u32_u24_e32 v72, 0x10001, v72
	v_mul_u32_u24_e32 v73, 0x10001, v73
	s_delay_alu instid0(VALU_DEP_4) | instskip(NEXT) | instid1(VALU_DEP_4)
	v_mul_u32_u24_e32 v50, 0x10001, v50
	v_mul_u32_u24_e32 v51, 0x10001, v51
	s_delay_alu instid0(VALU_DEP_4) | instskip(NEXT) | instid1(VALU_DEP_4)
	v_pk_fma_f16 v55, v46, v72, v55
	v_pk_fma_f16 v20, v46, v73, v20
	s_delay_alu instid0(VALU_DEP_4) | instskip(NEXT) | instid1(VALU_DEP_4)
	v_pk_fma_f16 v54, v46, v50, v54
	v_pk_fma_f16 v56, v46, v51, v56
	v_pk_fma_f16 v46, v47, v50, v70
	v_pk_fma_f16 v50, v47, v72, v57
	v_pk_fma_f16 v51, v47, v51, v71
	v_pk_fma_f16 v47, v47, v73, v69
	v_dual_lshrrev_b32 v57, 16, v52 :: v_dual_lshrrev_b32 v69, 16, v53
	v_and_b32_e32 v52, 0xffff, v52
	v_and_b32_e32 v53, 0xffff, v53
	s_delay_alu instid0(VALU_DEP_3) | instskip(NEXT) | instid1(VALU_DEP_4)
	v_mul_u32_u24_e32 v57, 0x10001, v57
	v_mul_u32_u24_e32 v69, 0x10001, v69
	s_delay_alu instid0(VALU_DEP_4) | instskip(NEXT) | instid1(VALU_DEP_4)
	v_mul_u32_u24_e32 v52, 0x10001, v52
	v_mul_u32_u24_e32 v53, 0x10001, v53
	s_delay_alu instid0(VALU_DEP_4) | instskip(NEXT) | instid1(VALU_DEP_4)
	v_pk_fma_f16 v55, v48, v57, v55
	v_pk_fma_f16 v20, v48, v69, v20
	s_delay_alu instid0(VALU_DEP_4) | instskip(NEXT) | instid1(VALU_DEP_4)
	v_pk_fma_f16 v54, v48, v52, v54
	v_pk_fma_f16 v56, v48, v53, v56
	v_pk_fma_f16 v70, v49, v52, v46
	v_pk_fma_f16 v57, v49, v57, v50
	v_pk_fma_f16 v71, v49, v53, v51
	v_pk_fma_f16 v69, v49, v69, v47
	ds_load_2addr_b64 v[46:49], v21 offset0:128 offset1:160
	;; [unrolled: 41-line block ×3, first 2 shown]
	ds_load_b128 v[50:53], v67 offset:18864
	s_wait_dscnt 0x0
	v_dual_lshrrev_b32 v72, 16, v50 :: v_dual_lshrrev_b32 v73, 16, v51
	v_and_b32_e32 v50, 0xffff, v50
	v_and_b32_e32 v51, 0xffff, v51
	s_delay_alu instid0(VALU_DEP_3) | instskip(NEXT) | instid1(VALU_DEP_4)
	v_mul_u32_u24_e32 v72, 0x10001, v72
	v_mul_u32_u24_e32 v73, 0x10001, v73
	s_delay_alu instid0(VALU_DEP_4) | instskip(NEXT) | instid1(VALU_DEP_4)
	v_mul_u32_u24_e32 v50, 0x10001, v50
	v_mul_u32_u24_e32 v51, 0x10001, v51
	s_delay_alu instid0(VALU_DEP_4) | instskip(NEXT) | instid1(VALU_DEP_4)
	v_pk_fma_f16 v55, v46, v72, v55
	v_pk_fma_f16 v20, v46, v73, v20
	s_delay_alu instid0(VALU_DEP_4) | instskip(NEXT) | instid1(VALU_DEP_4)
	v_pk_fma_f16 v54, v46, v50, v54
	v_pk_fma_f16 v56, v46, v51, v56
	;; [unrolled: 1-line block ×6, first 2 shown]
	v_dual_lshrrev_b32 v69, 16, v53 :: v_dual_lshrrev_b32 v57, 16, v52
	v_and_b32_e32 v52, 0xffff, v52
	v_and_b32_e32 v53, 0xffff, v53
	s_delay_alu instid0(VALU_DEP_3) | instskip(NEXT) | instid1(VALU_DEP_4)
	v_mul_u32_u24_e32 v69, 0x10001, v69
	v_mul_u32_u24_e32 v57, 0x10001, v57
	s_delay_alu instid0(VALU_DEP_4) | instskip(NEXT) | instid1(VALU_DEP_4)
	v_mul_u32_u24_e32 v52, 0x10001, v52
	v_mul_u32_u24_e32 v53, 0x10001, v53
	s_delay_alu instid0(VALU_DEP_4) | instskip(SKIP_1) | instid1(VALU_DEP_4)
	v_pk_fma_f16 v70, v48, v69, v20
	v_add_nc_u32_e32 v20, 0x3800, v68
	v_pk_fma_f16 v54, v48, v52, v54
	v_pk_fma_f16 v55, v48, v57, v55
	v_pk_fma_f16 v56, v48, v53, v56
	v_pk_fma_f16 v71, v49, v52, v46
	v_pk_fma_f16 v57, v49, v57, v50
	v_pk_fma_f16 v72, v49, v53, v51
	v_pk_fma_f16 v69, v49, v69, v47
	ds_load_2addr_b64 v[46:49], v20 offset1:32
	ds_load_b128 v[50:53], v67 offset:18880
	s_wait_dscnt 0x0
	v_dual_lshrrev_b32 v73, 16, v50 :: v_dual_lshrrev_b32 v74, 16, v51
	v_and_b32_e32 v50, 0xffff, v50
	v_and_b32_e32 v51, 0xffff, v51
	s_delay_alu instid0(VALU_DEP_3) | instskip(NEXT) | instid1(VALU_DEP_4)
	v_mul_u32_u24_e32 v73, 0x10001, v73
	v_mul_u32_u24_e32 v74, 0x10001, v74
	s_delay_alu instid0(VALU_DEP_4) | instskip(NEXT) | instid1(VALU_DEP_4)
	v_mul_u32_u24_e32 v50, 0x10001, v50
	v_mul_u32_u24_e32 v51, 0x10001, v51
	s_delay_alu instid0(VALU_DEP_4) | instskip(SKIP_1) | instid1(VALU_DEP_4)
	v_pk_fma_f16 v55, v46, v73, v55
	v_pk_fma_f16 v57, v47, v73, v57
	;; [unrolled: 1-line block ×3, first 2 shown]
	s_delay_alu instid0(VALU_DEP_4)
	v_pk_fma_f16 v56, v46, v51, v56
	v_pk_fma_f16 v46, v46, v74, v70
	;; [unrolled: 1-line block ×5, first 2 shown]
	v_dual_lshrrev_b32 v69, 16, v52 :: v_dual_lshrrev_b32 v70, 16, v53
	v_and_b32_e32 v52, 0xffff, v52
	v_and_b32_e32 v53, 0xffff, v53
	s_delay_alu instid0(VALU_DEP_3) | instskip(NEXT) | instid1(VALU_DEP_4)
	v_mul_u32_u24_e32 v69, 0x10001, v69
	v_mul_u32_u24_e32 v70, 0x10001, v70
	s_delay_alu instid0(VALU_DEP_4) | instskip(NEXT) | instid1(VALU_DEP_4)
	v_mul_u32_u24_e32 v52, 0x10001, v52
	v_mul_u32_u24_e32 v53, 0x10001, v53
	s_delay_alu instid0(VALU_DEP_4) | instskip(NEXT) | instid1(VALU_DEP_4)
	v_pk_fma_f16 v55, v48, v69, v55
	v_pk_fma_f16 v71, v48, v70, v46
	s_delay_alu instid0(VALU_DEP_4) | instskip(NEXT) | instid1(VALU_DEP_4)
	v_pk_fma_f16 v54, v48, v52, v54
	v_pk_fma_f16 v56, v48, v53, v56
	;; [unrolled: 1-line block ×6, first 2 shown]
	ds_load_2addr_b64 v[46:49], v20 offset0:64 offset1:96
	ds_load_b128 v[50:53], v67 offset:18896
	s_wait_dscnt 0x0
	v_lshrrev_b32_e32 v74, 16, v51
	v_and_b32_e32 v51, 0xffff, v51
	v_lshrrev_b32_e32 v73, 16, v50
	v_and_b32_e32 v50, 0xffff, v50
	s_delay_alu instid0(VALU_DEP_3) | instskip(NEXT) | instid1(VALU_DEP_3)
	v_mul_u32_u24_e32 v51, 0x10001, v51
	v_mul_u32_u24_e32 v73, 0x10001, v73
	s_delay_alu instid0(VALU_DEP_3) | instskip(NEXT) | instid1(VALU_DEP_3)
	v_mul_u32_u24_e32 v50, 0x10001, v50
	v_pk_fma_f16 v56, v46, v51, v56
	v_pk_fma_f16 v51, v47, v51, v69
	v_lshrrev_b32_e32 v69, 16, v52
	v_mul_u32_u24_e32 v74, 0x10001, v74
	v_pk_fma_f16 v54, v46, v50, v54
	v_pk_fma_f16 v50, v47, v50, v72
	;; [unrolled: 1-line block ×3, first 2 shown]
	v_and_b32_e32 v52, 0xffff, v52
	v_pk_fma_f16 v47, v47, v74, v70
	v_lshrrev_b32_e32 v70, 16, v53
	v_and_b32_e32 v53, 0xffff, v53
	v_pk_fma_f16 v55, v46, v73, v55
	v_pk_fma_f16 v46, v46, v74, v71
	v_mul_u32_u24_e32 v52, 0x10001, v52
	v_mul_u32_u24_e32 v69, 0x10001, v69
	v_mul_u32_u24_e32 v53, 0x10001, v53
	v_mul_u32_u24_e32 v70, 0x10001, v70
	s_delay_alu instid0(VALU_DEP_4) | instskip(NEXT) | instid1(VALU_DEP_4)
	v_pk_fma_f16 v54, v48, v52, v54
	v_pk_fma_f16 v55, v48, v69, v55
	s_delay_alu instid0(VALU_DEP_4) | instskip(NEXT) | instid1(VALU_DEP_4)
	v_pk_fma_f16 v56, v48, v53, v56
	v_pk_fma_f16 v71, v48, v70, v46
	v_pk_fma_f16 v72, v49, v52, v50
	v_pk_fma_f16 v57, v49, v69, v57
	v_pk_fma_f16 v69, v49, v53, v51
	v_pk_fma_f16 v70, v49, v70, v47
	ds_load_2addr_b64 v[46:49], v20 offset0:128 offset1:160
	ds_load_b128 v[50:53], v67 offset:18912
	s_wait_dscnt 0x0
	v_lshrrev_b32_e32 v74, 16, v51
	v_and_b32_e32 v51, 0xffff, v51
	v_lshrrev_b32_e32 v73, 16, v50
	v_and_b32_e32 v50, 0xffff, v50
	s_delay_alu instid0(VALU_DEP_3) | instskip(NEXT) | instid1(VALU_DEP_3)
	v_mul_u32_u24_e32 v51, 0x10001, v51
	v_mul_u32_u24_e32 v73, 0x10001, v73
	s_delay_alu instid0(VALU_DEP_3) | instskip(NEXT) | instid1(VALU_DEP_3)
	v_mul_u32_u24_e32 v50, 0x10001, v50
	v_pk_fma_f16 v56, v46, v51, v56
	v_pk_fma_f16 v51, v47, v51, v69
	v_lshrrev_b32_e32 v69, 16, v52
	v_mul_u32_u24_e32 v74, 0x10001, v74
	v_pk_fma_f16 v54, v46, v50, v54
	v_pk_fma_f16 v50, v47, v50, v72
	;; [unrolled: 1-line block ×3, first 2 shown]
	v_and_b32_e32 v52, 0xffff, v52
	v_pk_fma_f16 v47, v47, v74, v70
	v_lshrrev_b32_e32 v70, 16, v53
	v_and_b32_e32 v53, 0xffff, v53
	v_pk_fma_f16 v55, v46, v73, v55
	v_pk_fma_f16 v46, v46, v74, v71
	v_mul_u32_u24_e32 v52, 0x10001, v52
	v_mul_u32_u24_e32 v69, 0x10001, v69
	;; [unrolled: 1-line block ×4, first 2 shown]
	s_delay_alu instid0(VALU_DEP_4) | instskip(NEXT) | instid1(VALU_DEP_4)
	v_pk_fma_f16 v54, v48, v52, v54
	v_pk_fma_f16 v55, v48, v69, v55
	s_delay_alu instid0(VALU_DEP_4) | instskip(NEXT) | instid1(VALU_DEP_4)
	v_pk_fma_f16 v56, v48, v53, v56
	v_pk_fma_f16 v71, v48, v70, v46
	;; [unrolled: 1-line block ×6, first 2 shown]
	ds_load_2addr_b64 v[50:53], v20 offset0:192 offset1:224
	ds_load_b128 v[46:49], v67 offset:18928
	s_wait_dscnt 0x0
	s_barrier_signal -1
	s_barrier_wait -1
	s_clause 0x1
	scratch_store_b32 off, v11, off
	scratch_store_b96 off, v[4:6], off offset:4
	v_dual_lshrrev_b32 v73, 16, v46 :: v_dual_lshrrev_b32 v74, 16, v47
	v_and_b32_e32 v46, 0xffff, v46
	v_and_b32_e32 v47, 0xffff, v47
	s_delay_alu instid0(VALU_DEP_3) | instskip(NEXT) | instid1(VALU_DEP_4)
	v_mul_u32_u24_e32 v73, 0x10001, v73
	v_mul_u32_u24_e32 v74, 0x10001, v74
	s_delay_alu instid0(VALU_DEP_4) | instskip(NEXT) | instid1(VALU_DEP_4)
	v_mul_u32_u24_e32 v46, 0x10001, v46
	v_mul_u32_u24_e32 v47, 0x10001, v47
	s_delay_alu instid0(VALU_DEP_4) | instskip(SKIP_1) | instid1(VALU_DEP_4)
	v_pk_fma_f16 v55, v50, v73, v55
	v_pk_fma_f16 v57, v51, v73, v57
	;; [unrolled: 1-line block ×3, first 2 shown]
	s_delay_alu instid0(VALU_DEP_4)
	v_pk_fma_f16 v56, v50, v47, v56
	v_pk_fma_f16 v50, v50, v74, v71
	;; [unrolled: 1-line block ×3, first 2 shown]
	v_lshrrev_b32_e32 v46, 16, v48
	v_pk_fma_f16 v69, v51, v47, v69
	v_lshrrev_b32_e32 v47, 16, v49
	v_and_b32_e32 v48, 0xffff, v48
	v_pk_fma_f16 v70, v51, v74, v70
	v_mul_u32_u24_e32 v72, 0x10001, v46
	v_and_b32_e32 v46, 0xffff, v49
	v_mul_u32_u24_e32 v74, 0x10001, v47
	v_mul_u32_u24_e32 v51, 0x10001, v48
	s_delay_alu instid0(VALU_DEP_4) | instskip(NEXT) | instid1(VALU_DEP_4)
	v_pk_fma_f16 v47, v52, v72, v55
	v_mul_u32_u24_e32 v73, 0x10001, v46
	s_delay_alu instid0(VALU_DEP_4) | instskip(NEXT) | instid1(VALU_DEP_4)
	v_pk_fma_f16 v49, v52, v74, v50
	v_pk_fma_f16 v46, v52, v51, v54
	;; [unrolled: 1-line block ×5, first 2 shown]
	flat_load_b128 v[54:57], v[12:13]
	s_wait_xcnt 0x0
	v_add_nc_u64_e32 v[12:13], s[2:3], v[18:19]
	v_pk_fma_f16 v52, v53, v73, v69
	v_pk_fma_f16 v53, v53, v74, v70
	s_delay_alu instid0(VALU_DEP_3) | instskip(NEXT) | instid1(VALU_DEP_1)
	v_add_nc_u64_e32 v[12:13], v[12:13], v[10:11]
	v_dual_cndmask_b32 v13, v9, v13 :: v_dual_cndmask_b32 v12, v8, v12
	v_cmp_gt_i32_e32 vcc_lo, s4, v37
	s_wait_loadcnt_dscnt 0x0
	ds_store_b128 v35, v[54:57]
	s_clause 0x1
	scratch_store_b32 off, v11, off
	scratch_store_b96 off, v[4:6], off offset:4
	flat_load_b128 v[54:57], v[12:13]
	s_wait_xcnt 0x0
	v_add_nc_u64_e32 v[12:13], s[2:3], v[16:17]
	s_delay_alu instid0(VALU_DEP_1) | instskip(NEXT) | instid1(VALU_DEP_1)
	v_add_nc_u64_e32 v[12:13], v[12:13], v[10:11]
	v_dual_cndmask_b32 v13, v9, v13 :: v_dual_cndmask_b32 v12, v8, v12
	v_cmp_gt_i32_e32 vcc_lo, s4, v34
	s_wait_loadcnt_dscnt 0x0
	ds_store_b128 v36, v[54:57]
	s_clause 0x1
	scratch_store_b32 off, v11, off
	scratch_store_b96 off, v[4:6], off offset:4
	flat_load_b128 v[16:19], v[12:13]
	s_wait_loadcnt_dscnt 0x0
	ds_store_b128 v7, v[16:19]
	s_clause 0x1
	scratch_store_b32 off, v11, off
	scratch_store_b96 off, v[4:6], off offset:4
	s_wait_xcnt 0x0
	v_add_nc_u64_e32 v[4:5], s[2:3], v[14:15]
	s_delay_alu instid0(VALU_DEP_1) | instskip(NEXT) | instid1(VALU_DEP_1)
	v_add_nc_u64_e32 v[4:5], v[4:5], v[10:11]
	v_dual_cndmask_b32 v5, v9, v5 :: v_dual_cndmask_b32 v4, v8, v4
	flat_load_b128 v[4:7], v[4:5]
	s_wait_loadcnt_dscnt 0x0
	ds_store_b128 v30, v[4:7]
	s_wait_storecnt_dscnt 0x0
	s_barrier_signal -1
	s_barrier_wait -1
	s_wait_xcnt 0x0
	ds_load_2addr_b64 v[4:7], v68 offset1:32
	ds_load_b128 v[8:11], v67 offset:18944
	ds_load_b128 v[12:15], v67 offset:18960
	;; [unrolled: 1-line block ×4, first 2 shown]
	s_wait_dscnt 0x3
	v_dual_lshrrev_b32 v30, 16, v8 :: v_dual_lshrrev_b32 v38, 16, v9
	v_and_b32_e32 v8, 0xffff, v8
	v_and_b32_e32 v9, 0xffff, v9
	s_delay_alu instid0(VALU_DEP_3) | instskip(NEXT) | instid1(VALU_DEP_4)
	v_mul_u32_u24_e32 v30, 0x10001, v30
	v_mul_u32_u24_e32 v38, 0x10001, v38
	s_delay_alu instid0(VALU_DEP_4) | instskip(NEXT) | instid1(VALU_DEP_4)
	v_mul_u32_u24_e32 v8, 0x10001, v8
	v_mul_u32_u24_e32 v9, 0x10001, v9
	s_delay_alu instid0(VALU_DEP_2) | instskip(SKIP_1) | instid1(VALU_DEP_3)
	v_pk_fma_f16 v45, v4, v8, v46
	v_pk_fma_f16 v46, v4, v30, v47
	;; [unrolled: 1-line block ×8, first 2 shown]
	v_dual_lshrrev_b32 v38, 16, v10 :: v_dual_lshrrev_b32 v48, 16, v11
	v_and_b32_e32 v10, 0xffff, v10
	v_and_b32_e32 v11, 0xffff, v11
	s_delay_alu instid0(VALU_DEP_3) | instskip(NEXT) | instid1(VALU_DEP_4)
	v_mul_u32_u24_e32 v38, 0x10001, v38
	v_mul_u32_u24_e32 v48, 0x10001, v48
	s_delay_alu instid0(VALU_DEP_4) | instskip(NEXT) | instid1(VALU_DEP_4)
	v_mul_u32_u24_e32 v10, 0x10001, v10
	v_mul_u32_u24_e32 v11, 0x10001, v11
	s_delay_alu instid0(VALU_DEP_4) | instskip(NEXT) | instid1(VALU_DEP_4)
	v_pk_fma_f16 v46, v6, v38, v46
	v_pk_fma_f16 v49, v6, v48, v4
	s_delay_alu instid0(VALU_DEP_4) | instskip(NEXT) | instid1(VALU_DEP_4)
	v_pk_fma_f16 v45, v6, v10, v45
	v_pk_fma_f16 v47, v6, v11, v47
	;; [unrolled: 1-line block ×6, first 2 shown]
	ds_load_2addr_b64 v[4:7], v68 offset0:64 offset1:96
	s_wait_dscnt 0x3
	v_dual_lshrrev_b32 v30, 16, v12 :: v_dual_lshrrev_b32 v38, 16, v13
	v_and_b32_e32 v12, 0xffff, v12
	v_and_b32_e32 v13, 0xffff, v13
	s_delay_alu instid0(VALU_DEP_3) | instskip(NEXT) | instid1(VALU_DEP_4)
	v_mul_u32_u24_e32 v30, 0x10001, v30
	v_mul_u32_u24_e32 v38, 0x10001, v38
	s_delay_alu instid0(VALU_DEP_4) | instskip(NEXT) | instid1(VALU_DEP_4)
	v_mul_u32_u24_e32 v12, 0x10001, v12
	v_mul_u32_u24_e32 v13, 0x10001, v13
	s_wait_dscnt 0x0
	s_delay_alu instid0(VALU_DEP_2) | instskip(NEXT) | instid1(VALU_DEP_2)
	v_pk_fma_f16 v45, v4, v12, v45
	v_pk_fma_f16 v47, v4, v13, v47
	;; [unrolled: 1-line block ×6, first 2 shown]
	v_dual_lshrrev_b32 v11, 16, v14 :: v_dual_lshrrev_b32 v12, 16, v15
	v_and_b32_e32 v13, 0xffff, v14
	v_and_b32_e32 v14, 0xffff, v15
	v_pk_fma_f16 v46, v4, v30, v46
	v_pk_fma_f16 v4, v4, v38, v49
	v_mul_u32_u24_e32 v11, 0x10001, v11
	v_mul_u32_u24_e32 v13, 0x10001, v13
	;; [unrolled: 1-line block ×4, first 2 shown]
	s_delay_alu instid0(VALU_DEP_4) | instskip(NEXT) | instid1(VALU_DEP_4)
	v_pk_fma_f16 v30, v6, v11, v46
	v_pk_fma_f16 v15, v6, v13, v45
	s_delay_alu instid0(VALU_DEP_4) | instskip(NEXT) | instid1(VALU_DEP_4)
	v_pk_fma_f16 v38, v6, v14, v47
	v_pk_fma_f16 v45, v6, v12, v4
	;; [unrolled: 1-line block ×6, first 2 shown]
	ds_load_2addr_b64 v[4:7], v68 offset0:128 offset1:160
	v_dual_lshrrev_b32 v12, 16, v16 :: v_dual_lshrrev_b32 v13, 16, v17
	v_and_b32_e32 v14, 0xffff, v16
	v_and_b32_e32 v16, 0xffff, v17
	s_delay_alu instid0(VALU_DEP_3) | instskip(NEXT) | instid1(VALU_DEP_4)
	v_mul_u32_u24_e32 v12, 0x10001, v12
	v_mul_u32_u24_e32 v13, 0x10001, v13
	s_delay_alu instid0(VALU_DEP_4) | instskip(NEXT) | instid1(VALU_DEP_4)
	v_mul_u32_u24_e32 v14, 0x10001, v14
	v_mul_u32_u24_e32 v16, 0x10001, v16
	s_wait_dscnt 0x0
	s_delay_alu instid0(VALU_DEP_2) | instskip(SKIP_1) | instid1(VALU_DEP_3)
	v_pk_fma_f16 v15, v4, v14, v15
	v_pk_fma_f16 v17, v4, v12, v30
	v_pk_fma_f16 v30, v4, v16, v38
	v_pk_fma_f16 v4, v4, v13, v45
	v_pk_fma_f16 v8, v5, v14, v8
	v_pk_fma_f16 v10, v5, v12, v10
	v_pk_fma_f16 v9, v5, v16, v9
	v_pk_fma_f16 v5, v5, v13, v11
	v_dual_lshrrev_b32 v11, 16, v18 :: v_dual_lshrrev_b32 v12, 16, v19
	v_and_b32_e32 v13, 0xffff, v18
	v_and_b32_e32 v14, 0xffff, v19
	;; [unrolled: 1-line block ×3, first 2 shown]
	s_delay_alu instid0(VALU_DEP_4)
	v_mul_u32_u24_e32 v11, 0x10001, v11
	v_mul_u32_u24_e32 v12, 0x10001, v12
	;; [unrolled: 1-line block ×5, first 2 shown]
	v_pk_fma_f16 v16, v6, v11, v17
	v_pk_fma_f16 v18, v6, v12, v4
	;; [unrolled: 1-line block ×8, first 2 shown]
	ds_load_2addr_b64 v[4:7], v68 offset0:192 offset1:224
	v_dual_lshrrev_b32 v12, 16, v34 :: v_dual_lshrrev_b32 v13, 16, v35
	v_and_b32_e32 v14, 0xffff, v34
	s_delay_alu instid0(VALU_DEP_2) | instskip(NEXT) | instid1(VALU_DEP_3)
	v_mul_u32_u24_e32 v12, 0x10001, v12
	v_mul_u32_u24_e32 v13, 0x10001, v13
	s_delay_alu instid0(VALU_DEP_3) | instskip(SKIP_1) | instid1(VALU_DEP_1)
	v_mul_u32_u24_e32 v14, 0x10001, v14
	s_wait_dscnt 0x0
	v_pk_fma_f16 v15, v4, v14, v15
	v_pk_fma_f16 v16, v4, v12, v16
	;; [unrolled: 1-line block ×8, first 2 shown]
	v_dual_lshrrev_b32 v11, 16, v36 :: v_dual_lshrrev_b32 v12, 16, v37
	v_and_b32_e32 v13, 0xffff, v36
	v_and_b32_e32 v14, 0xffff, v37
	s_delay_alu instid0(VALU_DEP_3) | instskip(NEXT) | instid1(VALU_DEP_4)
	v_mul_u32_u24_e32 v11, 0x10001, v11
	v_mul_u32_u24_e32 v12, 0x10001, v12
	s_delay_alu instid0(VALU_DEP_4) | instskip(NEXT) | instid1(VALU_DEP_4)
	v_mul_u32_u24_e32 v13, 0x10001, v13
	v_mul_u32_u24_e32 v14, 0x10001, v14
	s_delay_alu instid0(VALU_DEP_4) | instskip(NEXT) | instid1(VALU_DEP_4)
	v_pk_fma_f16 v16, v6, v11, v16
	v_pk_fma_f16 v18, v6, v12, v4
	s_delay_alu instid0(VALU_DEP_4) | instskip(NEXT) | instid1(VALU_DEP_4)
	v_pk_fma_f16 v15, v6, v13, v15
	v_pk_fma_f16 v17, v6, v14, v17
	;; [unrolled: 1-line block ×6, first 2 shown]
	ds_load_2addr_b64 v[4:7], v32 offset1:32
	ds_load_b128 v[8:11], v67 offset:19008
	s_wait_dscnt 0x0
	v_dual_lshrrev_b32 v30, 16, v8 :: v_dual_lshrrev_b32 v34, 16, v9
	v_and_b32_e32 v8, 0xffff, v8
	v_and_b32_e32 v9, 0xffff, v9
	s_delay_alu instid0(VALU_DEP_3) | instskip(NEXT) | instid1(VALU_DEP_4)
	v_mul_u32_u24_e32 v30, 0x10001, v30
	v_mul_u32_u24_e32 v34, 0x10001, v34
	s_delay_alu instid0(VALU_DEP_4) | instskip(NEXT) | instid1(VALU_DEP_4)
	v_mul_u32_u24_e32 v8, 0x10001, v8
	v_mul_u32_u24_e32 v9, 0x10001, v9
	s_delay_alu instid0(VALU_DEP_4) | instskip(NEXT) | instid1(VALU_DEP_3)
	v_pk_fma_f16 v16, v4, v30, v16
	v_pk_fma_f16 v15, v4, v8, v15
	s_delay_alu instid0(VALU_DEP_3)
	v_pk_fma_f16 v17, v4, v9, v17
	v_pk_fma_f16 v8, v5, v8, v13
	v_pk_fma_f16 v13, v5, v30, v19
	v_pk_fma_f16 v9, v5, v9, v14
	v_pk_fma_f16 v5, v5, v34, v12
	v_dual_lshrrev_b32 v12, 16, v10 :: v_dual_lshrrev_b32 v14, 16, v11
	v_and_b32_e32 v10, 0xffff, v10
	v_and_b32_e32 v11, 0xffff, v11
	v_pk_fma_f16 v4, v4, v34, v18
	s_delay_alu instid0(VALU_DEP_4) | instskip(SKIP_3) | instid1(VALU_DEP_4)
	v_mul_u32_u24_e32 v12, 0x10001, v12
	v_mul_u32_u24_e32 v14, 0x10001, v14
	v_mul_u32_u24_e32 v10, 0x10001, v10
	v_mul_u32_u24_e32 v11, 0x10001, v11
	v_pk_fma_f16 v16, v6, v12, v16
	s_delay_alu instid0(VALU_DEP_4) | instskip(NEXT) | instid1(VALU_DEP_4)
	v_pk_fma_f16 v18, v6, v14, v4
	v_pk_fma_f16 v15, v6, v10, v15
	s_delay_alu instid0(VALU_DEP_4)
	v_pk_fma_f16 v17, v6, v11, v17
	v_pk_fma_f16 v19, v7, v10, v8
	v_pk_fma_f16 v12, v7, v12, v13
	v_pk_fma_f16 v13, v7, v11, v9
	v_pk_fma_f16 v14, v7, v14, v5
	ds_load_2addr_b64 v[4:7], v32 offset0:64 offset1:96
	ds_load_b128 v[8:11], v67 offset:19024
	s_wait_dscnt 0x0
	v_dual_lshrrev_b32 v30, 16, v8 :: v_dual_lshrrev_b32 v34, 16, v9
	v_and_b32_e32 v8, 0xffff, v8
	v_and_b32_e32 v9, 0xffff, v9
	s_delay_alu instid0(VALU_DEP_3) | instskip(NEXT) | instid1(VALU_DEP_4)
	v_mul_u32_u24_e32 v30, 0x10001, v30
	v_mul_u32_u24_e32 v34, 0x10001, v34
	s_delay_alu instid0(VALU_DEP_4) | instskip(NEXT) | instid1(VALU_DEP_4)
	v_mul_u32_u24_e32 v8, 0x10001, v8
	v_mul_u32_u24_e32 v9, 0x10001, v9
	s_delay_alu instid0(VALU_DEP_4) | instskip(SKIP_1) | instid1(VALU_DEP_4)
	v_pk_fma_f16 v12, v5, v30, v12
	v_pk_fma_f16 v16, v4, v30, v16
	v_pk_fma_f16 v15, v4, v8, v15
	s_delay_alu instid0(VALU_DEP_4)
	v_pk_fma_f16 v17, v4, v9, v17
	v_pk_fma_f16 v8, v5, v8, v19
	v_pk_fma_f16 v9, v5, v9, v13
	v_pk_fma_f16 v5, v5, v34, v14
	v_dual_lshrrev_b32 v13, 16, v10 :: v_dual_lshrrev_b32 v14, 16, v11
	v_and_b32_e32 v10, 0xffff, v10
	v_and_b32_e32 v11, 0xffff, v11
	v_pk_fma_f16 v4, v4, v34, v18
	s_delay_alu instid0(VALU_DEP_4) | instskip(SKIP_3) | instid1(VALU_DEP_4)
	v_mul_u32_u24_e32 v13, 0x10001, v13
	v_mul_u32_u24_e32 v14, 0x10001, v14
	v_mul_u32_u24_e32 v10, 0x10001, v10
	v_mul_u32_u24_e32 v11, 0x10001, v11
	v_pk_fma_f16 v16, v6, v13, v16
	s_delay_alu instid0(VALU_DEP_4) | instskip(NEXT) | instid1(VALU_DEP_4)
	v_pk_fma_f16 v18, v6, v14, v4
	v_pk_fma_f16 v15, v6, v10, v15
	s_delay_alu instid0(VALU_DEP_4)
	v_pk_fma_f16 v17, v6, v11, v17
	v_pk_fma_f16 v19, v7, v10, v8
	v_pk_fma_f16 v12, v7, v13, v12
	v_pk_fma_f16 v13, v7, v11, v9
	v_pk_fma_f16 v14, v7, v14, v5
	ds_load_2addr_b64 v[4:7], v32 offset0:128 offset1:160
	ds_load_b128 v[8:11], v67 offset:19040
	s_wait_dscnt 0x0
	v_dual_lshrrev_b32 v30, 16, v8 :: v_dual_lshrrev_b32 v34, 16, v9
	v_and_b32_e32 v8, 0xffff, v8
	v_and_b32_e32 v9, 0xffff, v9
	s_delay_alu instid0(VALU_DEP_3) | instskip(NEXT) | instid1(VALU_DEP_4)
	v_mul_u32_u24_e32 v30, 0x10001, v30
	v_mul_u32_u24_e32 v34, 0x10001, v34
	s_delay_alu instid0(VALU_DEP_4) | instskip(NEXT) | instid1(VALU_DEP_4)
	v_mul_u32_u24_e32 v8, 0x10001, v8
	v_mul_u32_u24_e32 v9, 0x10001, v9
	s_delay_alu instid0(VALU_DEP_4) | instskip(SKIP_1) | instid1(VALU_DEP_4)
	v_pk_fma_f16 v12, v5, v30, v12
	v_pk_fma_f16 v16, v4, v30, v16
	v_pk_fma_f16 v15, v4, v8, v15
	s_delay_alu instid0(VALU_DEP_4)
	v_pk_fma_f16 v17, v4, v9, v17
	v_pk_fma_f16 v8, v5, v8, v19
	v_pk_fma_f16 v9, v5, v9, v13
	v_pk_fma_f16 v5, v5, v34, v14
	;; [unrolled: 40-line block ×3, first 2 shown]
	v_dual_lshrrev_b32 v13, 16, v10 :: v_dual_lshrrev_b32 v14, 16, v11
	v_and_b32_e32 v10, 0xffff, v10
	v_and_b32_e32 v11, 0xffff, v11
	v_pk_fma_f16 v4, v4, v32, v18
	s_delay_alu instid0(VALU_DEP_4) | instskip(SKIP_3) | instid1(VALU_DEP_4)
	v_mul_u32_u24_e32 v13, 0x10001, v13
	v_mul_u32_u24_e32 v14, 0x10001, v14
	;; [unrolled: 1-line block ×4, first 2 shown]
	v_pk_fma_f16 v16, v6, v13, v16
	s_delay_alu instid0(VALU_DEP_4) | instskip(NEXT) | instid1(VALU_DEP_4)
	v_pk_fma_f16 v18, v6, v14, v4
	v_pk_fma_f16 v15, v6, v10, v15
	s_delay_alu instid0(VALU_DEP_4)
	v_pk_fma_f16 v17, v6, v11, v17
	v_pk_fma_f16 v19, v7, v10, v8
	v_pk_fma_f16 v12, v7, v13, v12
	v_pk_fma_f16 v13, v7, v11, v9
	v_pk_fma_f16 v14, v7, v14, v5
	ds_load_2addr_b64 v[4:7], v33 offset1:32
	ds_load_b128 v[8:11], v67 offset:19072
	s_wait_dscnt 0x0
	v_dual_lshrrev_b32 v30, 16, v8 :: v_dual_lshrrev_b32 v32, 16, v9
	v_and_b32_e32 v8, 0xffff, v8
	v_and_b32_e32 v9, 0xffff, v9
	s_delay_alu instid0(VALU_DEP_3) | instskip(NEXT) | instid1(VALU_DEP_4)
	v_mul_u32_u24_e32 v30, 0x10001, v30
	v_mul_u32_u24_e32 v32, 0x10001, v32
	s_delay_alu instid0(VALU_DEP_4) | instskip(NEXT) | instid1(VALU_DEP_4)
	v_mul_u32_u24_e32 v8, 0x10001, v8
	v_mul_u32_u24_e32 v9, 0x10001, v9
	s_delay_alu instid0(VALU_DEP_4) | instskip(SKIP_1) | instid1(VALU_DEP_4)
	v_pk_fma_f16 v12, v5, v30, v12
	v_pk_fma_f16 v16, v4, v30, v16
	v_pk_fma_f16 v15, v4, v8, v15
	s_delay_alu instid0(VALU_DEP_4)
	v_pk_fma_f16 v17, v4, v9, v17
	v_pk_fma_f16 v8, v5, v8, v19
	v_pk_fma_f16 v9, v5, v9, v13
	v_pk_fma_f16 v5, v5, v32, v14
	v_dual_lshrrev_b32 v13, 16, v10 :: v_dual_lshrrev_b32 v14, 16, v11
	v_and_b32_e32 v10, 0xffff, v10
	v_and_b32_e32 v11, 0xffff, v11
	v_pk_fma_f16 v4, v4, v32, v18
	s_delay_alu instid0(VALU_DEP_4) | instskip(SKIP_3) | instid1(VALU_DEP_4)
	v_mul_u32_u24_e32 v13, 0x10001, v13
	v_mul_u32_u24_e32 v14, 0x10001, v14
	v_mul_u32_u24_e32 v10, 0x10001, v10
	v_mul_u32_u24_e32 v11, 0x10001, v11
	v_pk_fma_f16 v16, v6, v13, v16
	s_delay_alu instid0(VALU_DEP_4) | instskip(NEXT) | instid1(VALU_DEP_4)
	v_pk_fma_f16 v18, v6, v14, v4
	v_pk_fma_f16 v15, v6, v10, v15
	s_delay_alu instid0(VALU_DEP_4)
	v_pk_fma_f16 v17, v6, v11, v17
	v_pk_fma_f16 v19, v7, v10, v8
	v_pk_fma_f16 v12, v7, v13, v12
	v_pk_fma_f16 v13, v7, v11, v9
	v_pk_fma_f16 v14, v7, v14, v5
	ds_load_2addr_b64 v[4:7], v33 offset0:64 offset1:96
	ds_load_b128 v[8:11], v67 offset:19088
	s_wait_dscnt 0x0
	v_dual_lshrrev_b32 v30, 16, v8 :: v_dual_lshrrev_b32 v32, 16, v9
	v_and_b32_e32 v8, 0xffff, v8
	v_and_b32_e32 v9, 0xffff, v9
	s_delay_alu instid0(VALU_DEP_3) | instskip(NEXT) | instid1(VALU_DEP_4)
	v_mul_u32_u24_e32 v30, 0x10001, v30
	v_mul_u32_u24_e32 v32, 0x10001, v32
	s_delay_alu instid0(VALU_DEP_4) | instskip(NEXT) | instid1(VALU_DEP_4)
	v_mul_u32_u24_e32 v8, 0x10001, v8
	v_mul_u32_u24_e32 v9, 0x10001, v9
	s_delay_alu instid0(VALU_DEP_4) | instskip(SKIP_1) | instid1(VALU_DEP_4)
	v_pk_fma_f16 v12, v5, v30, v12
	v_pk_fma_f16 v16, v4, v30, v16
	v_pk_fma_f16 v15, v4, v8, v15
	s_delay_alu instid0(VALU_DEP_4)
	v_pk_fma_f16 v17, v4, v9, v17
	v_pk_fma_f16 v8, v5, v8, v19
	v_pk_fma_f16 v9, v5, v9, v13
	v_pk_fma_f16 v5, v5, v32, v14
	v_dual_lshrrev_b32 v13, 16, v10 :: v_dual_lshrrev_b32 v14, 16, v11
	v_and_b32_e32 v10, 0xffff, v10
	v_and_b32_e32 v11, 0xffff, v11
	v_pk_fma_f16 v4, v4, v32, v18
	s_delay_alu instid0(VALU_DEP_4) | instskip(SKIP_3) | instid1(VALU_DEP_4)
	v_mul_u32_u24_e32 v13, 0x10001, v13
	v_mul_u32_u24_e32 v14, 0x10001, v14
	v_mul_u32_u24_e32 v10, 0x10001, v10
	v_mul_u32_u24_e32 v11, 0x10001, v11
	v_pk_fma_f16 v16, v6, v13, v16
	s_delay_alu instid0(VALU_DEP_4) | instskip(NEXT) | instid1(VALU_DEP_4)
	v_pk_fma_f16 v18, v6, v14, v4
	v_pk_fma_f16 v15, v6, v10, v15
	s_delay_alu instid0(VALU_DEP_4)
	v_pk_fma_f16 v17, v6, v11, v17
	v_pk_fma_f16 v19, v7, v10, v8
	v_pk_fma_f16 v12, v7, v13, v12
	v_pk_fma_f16 v13, v7, v11, v9
	v_pk_fma_f16 v14, v7, v14, v5
	ds_load_2addr_b64 v[4:7], v33 offset0:128 offset1:160
	;; [unrolled: 40-line block ×3, first 2 shown]
	ds_load_b128 v[8:11], v67 offset:19120
	s_wait_dscnt 0x0
	v_dual_lshrrev_b32 v30, 16, v8 :: v_dual_lshrrev_b32 v32, 16, v9
	v_and_b32_e32 v8, 0xffff, v8
	v_and_b32_e32 v9, 0xffff, v9
	s_delay_alu instid0(VALU_DEP_3) | instskip(NEXT) | instid1(VALU_DEP_4)
	v_mul_u32_u24_e32 v30, 0x10001, v30
	v_mul_u32_u24_e32 v32, 0x10001, v32
	s_delay_alu instid0(VALU_DEP_4) | instskip(NEXT) | instid1(VALU_DEP_4)
	v_mul_u32_u24_e32 v8, 0x10001, v8
	v_mul_u32_u24_e32 v9, 0x10001, v9
	s_delay_alu instid0(VALU_DEP_4) | instskip(SKIP_1) | instid1(VALU_DEP_4)
	v_pk_fma_f16 v12, v5, v30, v12
	v_pk_fma_f16 v16, v4, v30, v16
	;; [unrolled: 1-line block ×3, first 2 shown]
	s_delay_alu instid0(VALU_DEP_4)
	v_pk_fma_f16 v17, v4, v9, v17
	v_pk_fma_f16 v8, v5, v8, v19
	;; [unrolled: 1-line block ×4, first 2 shown]
	v_dual_lshrrev_b32 v13, 16, v10 :: v_dual_lshrrev_b32 v14, 16, v11
	v_and_b32_e32 v10, 0xffff, v10
	v_and_b32_e32 v11, 0xffff, v11
	v_pk_fma_f16 v4, v4, v32, v18
	s_delay_alu instid0(VALU_DEP_4) | instskip(SKIP_3) | instid1(VALU_DEP_4)
	v_mul_u32_u24_e32 v13, 0x10001, v13
	v_mul_u32_u24_e32 v14, 0x10001, v14
	;; [unrolled: 1-line block ×4, first 2 shown]
	v_pk_fma_f16 v16, v6, v13, v16
	s_delay_alu instid0(VALU_DEP_4) | instskip(NEXT) | instid1(VALU_DEP_4)
	v_pk_fma_f16 v18, v6, v14, v4
	v_pk_fma_f16 v15, v6, v10, v15
	s_delay_alu instid0(VALU_DEP_4)
	v_pk_fma_f16 v17, v6, v11, v17
	v_pk_fma_f16 v19, v7, v10, v8
	;; [unrolled: 1-line block ×5, first 2 shown]
	ds_load_2addr_b64 v[4:7], v29 offset1:32
	ds_load_b128 v[8:11], v67 offset:19136
	s_wait_dscnt 0x0
	v_dual_lshrrev_b32 v30, 16, v8 :: v_dual_lshrrev_b32 v32, 16, v9
	v_and_b32_e32 v8, 0xffff, v8
	v_and_b32_e32 v9, 0xffff, v9
	s_delay_alu instid0(VALU_DEP_3) | instskip(NEXT) | instid1(VALU_DEP_4)
	v_mul_u32_u24_e32 v30, 0x10001, v30
	v_mul_u32_u24_e32 v32, 0x10001, v32
	s_delay_alu instid0(VALU_DEP_4) | instskip(NEXT) | instid1(VALU_DEP_4)
	v_mul_u32_u24_e32 v8, 0x10001, v8
	v_mul_u32_u24_e32 v9, 0x10001, v9
	s_delay_alu instid0(VALU_DEP_4) | instskip(SKIP_1) | instid1(VALU_DEP_4)
	v_pk_fma_f16 v12, v5, v30, v12
	v_pk_fma_f16 v16, v4, v30, v16
	v_pk_fma_f16 v15, v4, v8, v15
	s_delay_alu instid0(VALU_DEP_4)
	v_pk_fma_f16 v17, v4, v9, v17
	v_pk_fma_f16 v8, v5, v8, v19
	v_pk_fma_f16 v9, v5, v9, v13
	v_pk_fma_f16 v5, v5, v32, v14
	v_dual_lshrrev_b32 v13, 16, v10 :: v_dual_lshrrev_b32 v14, 16, v11
	v_and_b32_e32 v10, 0xffff, v10
	v_and_b32_e32 v11, 0xffff, v11
	v_pk_fma_f16 v4, v4, v32, v18
	s_delay_alu instid0(VALU_DEP_4) | instskip(SKIP_3) | instid1(VALU_DEP_4)
	v_mul_u32_u24_e32 v13, 0x10001, v13
	v_mul_u32_u24_e32 v14, 0x10001, v14
	v_mul_u32_u24_e32 v10, 0x10001, v10
	v_mul_u32_u24_e32 v11, 0x10001, v11
	v_pk_fma_f16 v16, v6, v13, v16
	s_delay_alu instid0(VALU_DEP_4) | instskip(NEXT) | instid1(VALU_DEP_4)
	v_pk_fma_f16 v18, v6, v14, v4
	v_pk_fma_f16 v15, v6, v10, v15
	s_delay_alu instid0(VALU_DEP_4)
	v_pk_fma_f16 v17, v6, v11, v17
	v_pk_fma_f16 v19, v7, v10, v8
	v_pk_fma_f16 v12, v7, v13, v12
	v_pk_fma_f16 v13, v7, v11, v9
	v_pk_fma_f16 v14, v7, v14, v5
	ds_load_2addr_b64 v[4:7], v29 offset0:64 offset1:96
	ds_load_b128 v[8:11], v67 offset:19152
	s_wait_dscnt 0x0
	v_dual_lshrrev_b32 v30, 16, v8 :: v_dual_lshrrev_b32 v32, 16, v9
	v_and_b32_e32 v8, 0xffff, v8
	v_and_b32_e32 v9, 0xffff, v9
	s_delay_alu instid0(VALU_DEP_3) | instskip(NEXT) | instid1(VALU_DEP_4)
	v_mul_u32_u24_e32 v30, 0x10001, v30
	v_mul_u32_u24_e32 v32, 0x10001, v32
	s_delay_alu instid0(VALU_DEP_4) | instskip(NEXT) | instid1(VALU_DEP_4)
	v_mul_u32_u24_e32 v8, 0x10001, v8
	v_mul_u32_u24_e32 v9, 0x10001, v9
	s_delay_alu instid0(VALU_DEP_4) | instskip(SKIP_1) | instid1(VALU_DEP_4)
	v_pk_fma_f16 v12, v5, v30, v12
	v_pk_fma_f16 v16, v4, v30, v16
	v_pk_fma_f16 v15, v4, v8, v15
	s_delay_alu instid0(VALU_DEP_4)
	v_pk_fma_f16 v17, v4, v9, v17
	v_pk_fma_f16 v8, v5, v8, v19
	v_pk_fma_f16 v9, v5, v9, v13
	v_pk_fma_f16 v5, v5, v32, v14
	v_dual_lshrrev_b32 v13, 16, v10 :: v_dual_lshrrev_b32 v14, 16, v11
	v_and_b32_e32 v10, 0xffff, v10
	v_and_b32_e32 v11, 0xffff, v11
	v_pk_fma_f16 v4, v4, v32, v18
	s_delay_alu instid0(VALU_DEP_4) | instskip(SKIP_3) | instid1(VALU_DEP_4)
	v_mul_u32_u24_e32 v13, 0x10001, v13
	v_mul_u32_u24_e32 v14, 0x10001, v14
	v_mul_u32_u24_e32 v10, 0x10001, v10
	v_mul_u32_u24_e32 v11, 0x10001, v11
	v_pk_fma_f16 v16, v6, v13, v16
	s_delay_alu instid0(VALU_DEP_4) | instskip(NEXT) | instid1(VALU_DEP_4)
	v_pk_fma_f16 v18, v6, v14, v4
	v_pk_fma_f16 v15, v6, v10, v15
	s_delay_alu instid0(VALU_DEP_4)
	v_pk_fma_f16 v17, v6, v11, v17
	v_pk_fma_f16 v19, v7, v10, v8
	v_pk_fma_f16 v12, v7, v13, v12
	v_pk_fma_f16 v13, v7, v11, v9
	v_pk_fma_f16 v14, v7, v14, v5
	ds_load_2addr_b64 v[4:7], v29 offset0:128 offset1:160
	;; [unrolled: 40-line block ×3, first 2 shown]
	ds_load_b128 v[8:11], v67 offset:19184
	s_wait_dscnt 0x0
	v_dual_lshrrev_b32 v29, 16, v8 :: v_dual_lshrrev_b32 v30, 16, v9
	v_and_b32_e32 v8, 0xffff, v8
	v_and_b32_e32 v9, 0xffff, v9
	s_delay_alu instid0(VALU_DEP_3) | instskip(NEXT) | instid1(VALU_DEP_4)
	v_mul_u32_u24_e32 v29, 0x10001, v29
	v_mul_u32_u24_e32 v30, 0x10001, v30
	s_delay_alu instid0(VALU_DEP_4) | instskip(NEXT) | instid1(VALU_DEP_4)
	v_mul_u32_u24_e32 v8, 0x10001, v8
	v_mul_u32_u24_e32 v9, 0x10001, v9
	s_delay_alu instid0(VALU_DEP_4) | instskip(SKIP_1) | instid1(VALU_DEP_4)
	v_pk_fma_f16 v12, v5, v29, v12
	v_pk_fma_f16 v16, v4, v29, v16
	;; [unrolled: 1-line block ×3, first 2 shown]
	s_delay_alu instid0(VALU_DEP_4)
	v_pk_fma_f16 v17, v4, v9, v17
	v_pk_fma_f16 v8, v5, v8, v19
	v_pk_fma_f16 v9, v5, v9, v13
	v_pk_fma_f16 v5, v5, v30, v14
	v_dual_lshrrev_b32 v13, 16, v10 :: v_dual_lshrrev_b32 v14, 16, v11
	v_and_b32_e32 v10, 0xffff, v10
	v_and_b32_e32 v11, 0xffff, v11
	v_pk_fma_f16 v4, v4, v30, v18
	s_delay_alu instid0(VALU_DEP_4) | instskip(SKIP_3) | instid1(VALU_DEP_4)
	v_mul_u32_u24_e32 v13, 0x10001, v13
	v_mul_u32_u24_e32 v14, 0x10001, v14
	;; [unrolled: 1-line block ×4, first 2 shown]
	v_pk_fma_f16 v16, v6, v13, v16
	s_delay_alu instid0(VALU_DEP_4) | instskip(NEXT) | instid1(VALU_DEP_4)
	v_pk_fma_f16 v18, v6, v14, v4
	v_pk_fma_f16 v15, v6, v10, v15
	s_delay_alu instid0(VALU_DEP_4)
	v_pk_fma_f16 v17, v6, v11, v17
	v_pk_fma_f16 v19, v7, v10, v8
	;; [unrolled: 1-line block ×5, first 2 shown]
	ds_load_2addr_b64 v[4:7], v23 offset1:32
	ds_load_b128 v[8:11], v67 offset:19200
	s_wait_dscnt 0x0
	v_dual_lshrrev_b32 v29, 16, v8 :: v_dual_lshrrev_b32 v30, 16, v9
	v_and_b32_e32 v8, 0xffff, v8
	v_and_b32_e32 v9, 0xffff, v9
	s_delay_alu instid0(VALU_DEP_3) | instskip(NEXT) | instid1(VALU_DEP_4)
	v_mul_u32_u24_e32 v29, 0x10001, v29
	v_mul_u32_u24_e32 v30, 0x10001, v30
	s_delay_alu instid0(VALU_DEP_4) | instskip(NEXT) | instid1(VALU_DEP_4)
	v_mul_u32_u24_e32 v8, 0x10001, v8
	v_mul_u32_u24_e32 v9, 0x10001, v9
	s_delay_alu instid0(VALU_DEP_4) | instskip(SKIP_1) | instid1(VALU_DEP_4)
	v_pk_fma_f16 v12, v5, v29, v12
	v_pk_fma_f16 v16, v4, v29, v16
	v_pk_fma_f16 v15, v4, v8, v15
	s_delay_alu instid0(VALU_DEP_4)
	v_pk_fma_f16 v17, v4, v9, v17
	v_pk_fma_f16 v8, v5, v8, v19
	v_pk_fma_f16 v9, v5, v9, v13
	v_pk_fma_f16 v5, v5, v30, v14
	v_dual_lshrrev_b32 v13, 16, v10 :: v_dual_lshrrev_b32 v14, 16, v11
	v_and_b32_e32 v10, 0xffff, v10
	v_and_b32_e32 v11, 0xffff, v11
	v_pk_fma_f16 v4, v4, v30, v18
	s_delay_alu instid0(VALU_DEP_4) | instskip(SKIP_3) | instid1(VALU_DEP_4)
	v_mul_u32_u24_e32 v13, 0x10001, v13
	v_mul_u32_u24_e32 v14, 0x10001, v14
	v_mul_u32_u24_e32 v10, 0x10001, v10
	v_mul_u32_u24_e32 v11, 0x10001, v11
	v_pk_fma_f16 v16, v6, v13, v16
	s_delay_alu instid0(VALU_DEP_4) | instskip(NEXT) | instid1(VALU_DEP_4)
	v_pk_fma_f16 v18, v6, v14, v4
	v_pk_fma_f16 v15, v6, v10, v15
	s_delay_alu instid0(VALU_DEP_4)
	v_pk_fma_f16 v17, v6, v11, v17
	v_pk_fma_f16 v19, v7, v10, v8
	v_pk_fma_f16 v12, v7, v13, v12
	v_pk_fma_f16 v13, v7, v11, v9
	v_pk_fma_f16 v14, v7, v14, v5
	ds_load_2addr_b64 v[4:7], v23 offset0:64 offset1:96
	ds_load_b128 v[8:11], v67 offset:19216
	s_wait_dscnt 0x0
	v_dual_lshrrev_b32 v29, 16, v8 :: v_dual_lshrrev_b32 v30, 16, v9
	v_and_b32_e32 v8, 0xffff, v8
	v_and_b32_e32 v9, 0xffff, v9
	s_delay_alu instid0(VALU_DEP_3) | instskip(NEXT) | instid1(VALU_DEP_4)
	v_mul_u32_u24_e32 v29, 0x10001, v29
	v_mul_u32_u24_e32 v30, 0x10001, v30
	s_delay_alu instid0(VALU_DEP_4) | instskip(NEXT) | instid1(VALU_DEP_4)
	v_mul_u32_u24_e32 v8, 0x10001, v8
	v_mul_u32_u24_e32 v9, 0x10001, v9
	s_delay_alu instid0(VALU_DEP_4) | instskip(SKIP_1) | instid1(VALU_DEP_4)
	v_pk_fma_f16 v12, v5, v29, v12
	v_pk_fma_f16 v16, v4, v29, v16
	v_pk_fma_f16 v15, v4, v8, v15
	s_delay_alu instid0(VALU_DEP_4)
	v_pk_fma_f16 v17, v4, v9, v17
	v_pk_fma_f16 v8, v5, v8, v19
	v_pk_fma_f16 v9, v5, v9, v13
	v_pk_fma_f16 v5, v5, v30, v14
	v_dual_lshrrev_b32 v13, 16, v10 :: v_dual_lshrrev_b32 v14, 16, v11
	v_and_b32_e32 v10, 0xffff, v10
	v_and_b32_e32 v11, 0xffff, v11
	v_pk_fma_f16 v4, v4, v30, v18
	s_delay_alu instid0(VALU_DEP_4) | instskip(SKIP_3) | instid1(VALU_DEP_4)
	v_mul_u32_u24_e32 v13, 0x10001, v13
	v_mul_u32_u24_e32 v14, 0x10001, v14
	v_mul_u32_u24_e32 v10, 0x10001, v10
	v_mul_u32_u24_e32 v11, 0x10001, v11
	v_pk_fma_f16 v16, v6, v13, v16
	s_delay_alu instid0(VALU_DEP_4) | instskip(NEXT) | instid1(VALU_DEP_4)
	v_pk_fma_f16 v18, v6, v14, v4
	v_pk_fma_f16 v15, v6, v10, v15
	s_delay_alu instid0(VALU_DEP_4)
	v_pk_fma_f16 v17, v6, v11, v17
	v_pk_fma_f16 v19, v7, v10, v8
	v_pk_fma_f16 v12, v7, v13, v12
	v_pk_fma_f16 v13, v7, v11, v9
	v_pk_fma_f16 v14, v7, v14, v5
	ds_load_2addr_b64 v[4:7], v23 offset0:128 offset1:160
	;; [unrolled: 40-line block ×3, first 2 shown]
	ds_load_b128 v[8:11], v67 offset:19248
	s_wait_dscnt 0x0
	v_dual_lshrrev_b32 v23, 16, v8 :: v_dual_lshrrev_b32 v29, 16, v9
	v_and_b32_e32 v8, 0xffff, v8
	v_and_b32_e32 v9, 0xffff, v9
	s_delay_alu instid0(VALU_DEP_3) | instskip(NEXT) | instid1(VALU_DEP_4)
	v_mul_u32_u24_e32 v23, 0x10001, v23
	v_mul_u32_u24_e32 v29, 0x10001, v29
	s_delay_alu instid0(VALU_DEP_4) | instskip(NEXT) | instid1(VALU_DEP_4)
	v_mul_u32_u24_e32 v8, 0x10001, v8
	v_mul_u32_u24_e32 v9, 0x10001, v9
	s_delay_alu instid0(VALU_DEP_4) | instskip(SKIP_1) | instid1(VALU_DEP_4)
	v_pk_fma_f16 v12, v5, v23, v12
	v_pk_fma_f16 v16, v4, v23, v16
	;; [unrolled: 1-line block ×3, first 2 shown]
	s_delay_alu instid0(VALU_DEP_4)
	v_pk_fma_f16 v17, v4, v9, v17
	v_pk_fma_f16 v8, v5, v8, v19
	;; [unrolled: 1-line block ×4, first 2 shown]
	v_dual_lshrrev_b32 v13, 16, v10 :: v_dual_lshrrev_b32 v14, 16, v11
	v_and_b32_e32 v10, 0xffff, v10
	v_and_b32_e32 v11, 0xffff, v11
	v_pk_fma_f16 v4, v4, v29, v18
	s_delay_alu instid0(VALU_DEP_4) | instskip(SKIP_3) | instid1(VALU_DEP_4)
	v_mul_u32_u24_e32 v13, 0x10001, v13
	v_mul_u32_u24_e32 v14, 0x10001, v14
	;; [unrolled: 1-line block ×4, first 2 shown]
	v_pk_fma_f16 v16, v6, v13, v16
	s_delay_alu instid0(VALU_DEP_4) | instskip(NEXT) | instid1(VALU_DEP_4)
	v_pk_fma_f16 v18, v6, v14, v4
	v_pk_fma_f16 v15, v6, v10, v15
	s_delay_alu instid0(VALU_DEP_4)
	v_pk_fma_f16 v17, v6, v11, v17
	v_pk_fma_f16 v19, v7, v10, v8
	;; [unrolled: 1-line block ×5, first 2 shown]
	ds_load_2addr_b64 v[4:7], v22 offset1:32
	ds_load_b128 v[8:11], v67 offset:19264
	s_wait_dscnt 0x0
	v_dual_lshrrev_b32 v23, 16, v8 :: v_dual_lshrrev_b32 v29, 16, v9
	v_and_b32_e32 v8, 0xffff, v8
	v_and_b32_e32 v9, 0xffff, v9
	s_delay_alu instid0(VALU_DEP_3) | instskip(NEXT) | instid1(VALU_DEP_4)
	v_mul_u32_u24_e32 v23, 0x10001, v23
	v_mul_u32_u24_e32 v29, 0x10001, v29
	s_delay_alu instid0(VALU_DEP_4) | instskip(NEXT) | instid1(VALU_DEP_4)
	v_mul_u32_u24_e32 v8, 0x10001, v8
	v_mul_u32_u24_e32 v9, 0x10001, v9
	s_delay_alu instid0(VALU_DEP_4) | instskip(SKIP_1) | instid1(VALU_DEP_4)
	v_pk_fma_f16 v12, v5, v23, v12
	v_pk_fma_f16 v16, v4, v23, v16
	v_pk_fma_f16 v15, v4, v8, v15
	s_delay_alu instid0(VALU_DEP_4)
	v_pk_fma_f16 v17, v4, v9, v17
	v_pk_fma_f16 v8, v5, v8, v19
	v_pk_fma_f16 v9, v5, v9, v13
	v_pk_fma_f16 v5, v5, v29, v14
	v_dual_lshrrev_b32 v13, 16, v10 :: v_dual_lshrrev_b32 v14, 16, v11
	v_and_b32_e32 v10, 0xffff, v10
	v_and_b32_e32 v11, 0xffff, v11
	v_pk_fma_f16 v4, v4, v29, v18
	s_delay_alu instid0(VALU_DEP_4) | instskip(SKIP_3) | instid1(VALU_DEP_4)
	v_mul_u32_u24_e32 v13, 0x10001, v13
	v_mul_u32_u24_e32 v14, 0x10001, v14
	v_mul_u32_u24_e32 v10, 0x10001, v10
	v_mul_u32_u24_e32 v11, 0x10001, v11
	v_pk_fma_f16 v16, v6, v13, v16
	s_delay_alu instid0(VALU_DEP_4) | instskip(NEXT) | instid1(VALU_DEP_4)
	v_pk_fma_f16 v18, v6, v14, v4
	v_pk_fma_f16 v15, v6, v10, v15
	s_delay_alu instid0(VALU_DEP_4)
	v_pk_fma_f16 v17, v6, v11, v17
	v_pk_fma_f16 v19, v7, v10, v8
	v_pk_fma_f16 v12, v7, v13, v12
	v_pk_fma_f16 v13, v7, v11, v9
	v_pk_fma_f16 v14, v7, v14, v5
	ds_load_2addr_b64 v[4:7], v22 offset0:64 offset1:96
	ds_load_b128 v[8:11], v67 offset:19280
	s_wait_dscnt 0x0
	v_dual_lshrrev_b32 v23, 16, v8 :: v_dual_lshrrev_b32 v29, 16, v9
	v_and_b32_e32 v8, 0xffff, v8
	v_and_b32_e32 v9, 0xffff, v9
	s_delay_alu instid0(VALU_DEP_3) | instskip(NEXT) | instid1(VALU_DEP_4)
	v_mul_u32_u24_e32 v23, 0x10001, v23
	v_mul_u32_u24_e32 v29, 0x10001, v29
	s_delay_alu instid0(VALU_DEP_4) | instskip(NEXT) | instid1(VALU_DEP_4)
	v_mul_u32_u24_e32 v8, 0x10001, v8
	v_mul_u32_u24_e32 v9, 0x10001, v9
	s_delay_alu instid0(VALU_DEP_4) | instskip(SKIP_1) | instid1(VALU_DEP_4)
	v_pk_fma_f16 v12, v5, v23, v12
	v_pk_fma_f16 v16, v4, v23, v16
	v_pk_fma_f16 v15, v4, v8, v15
	s_delay_alu instid0(VALU_DEP_4)
	v_pk_fma_f16 v17, v4, v9, v17
	v_pk_fma_f16 v8, v5, v8, v19
	v_pk_fma_f16 v9, v5, v9, v13
	v_pk_fma_f16 v5, v5, v29, v14
	v_dual_lshrrev_b32 v13, 16, v10 :: v_dual_lshrrev_b32 v14, 16, v11
	v_and_b32_e32 v10, 0xffff, v10
	v_and_b32_e32 v11, 0xffff, v11
	v_pk_fma_f16 v4, v4, v29, v18
	s_delay_alu instid0(VALU_DEP_4) | instskip(SKIP_3) | instid1(VALU_DEP_4)
	v_mul_u32_u24_e32 v13, 0x10001, v13
	v_mul_u32_u24_e32 v14, 0x10001, v14
	v_mul_u32_u24_e32 v10, 0x10001, v10
	v_mul_u32_u24_e32 v11, 0x10001, v11
	v_pk_fma_f16 v16, v6, v13, v16
	s_delay_alu instid0(VALU_DEP_4) | instskip(NEXT) | instid1(VALU_DEP_4)
	v_pk_fma_f16 v18, v6, v14, v4
	v_pk_fma_f16 v15, v6, v10, v15
	s_delay_alu instid0(VALU_DEP_4)
	v_pk_fma_f16 v17, v6, v11, v17
	v_pk_fma_f16 v19, v7, v10, v8
	v_pk_fma_f16 v12, v7, v13, v12
	v_pk_fma_f16 v13, v7, v11, v9
	v_pk_fma_f16 v14, v7, v14, v5
	ds_load_2addr_b64 v[4:7], v22 offset0:128 offset1:160
	;; [unrolled: 40-line block ×3, first 2 shown]
	ds_load_b128 v[8:11], v67 offset:19312
	s_wait_dscnt 0x0
	v_dual_lshrrev_b32 v22, 16, v8 :: v_dual_lshrrev_b32 v23, 16, v9
	v_and_b32_e32 v8, 0xffff, v8
	v_and_b32_e32 v9, 0xffff, v9
	s_delay_alu instid0(VALU_DEP_3) | instskip(NEXT) | instid1(VALU_DEP_4)
	v_mul_u32_u24_e32 v22, 0x10001, v22
	v_mul_u32_u24_e32 v23, 0x10001, v23
	s_delay_alu instid0(VALU_DEP_4) | instskip(NEXT) | instid1(VALU_DEP_4)
	v_mul_u32_u24_e32 v8, 0x10001, v8
	v_mul_u32_u24_e32 v9, 0x10001, v9
	s_delay_alu instid0(VALU_DEP_4) | instskip(SKIP_1) | instid1(VALU_DEP_4)
	v_pk_fma_f16 v12, v5, v22, v12
	v_pk_fma_f16 v16, v4, v22, v16
	;; [unrolled: 1-line block ×3, first 2 shown]
	s_delay_alu instid0(VALU_DEP_4)
	v_pk_fma_f16 v17, v4, v9, v17
	v_pk_fma_f16 v8, v5, v8, v19
	;; [unrolled: 1-line block ×4, first 2 shown]
	v_dual_lshrrev_b32 v13, 16, v10 :: v_dual_lshrrev_b32 v14, 16, v11
	v_and_b32_e32 v10, 0xffff, v10
	v_and_b32_e32 v11, 0xffff, v11
	v_pk_fma_f16 v4, v4, v23, v18
	s_delay_alu instid0(VALU_DEP_4) | instskip(SKIP_3) | instid1(VALU_DEP_4)
	v_mul_u32_u24_e32 v13, 0x10001, v13
	v_mul_u32_u24_e32 v14, 0x10001, v14
	;; [unrolled: 1-line block ×4, first 2 shown]
	v_pk_fma_f16 v16, v6, v13, v16
	s_delay_alu instid0(VALU_DEP_4) | instskip(NEXT) | instid1(VALU_DEP_4)
	v_pk_fma_f16 v18, v6, v14, v4
	v_pk_fma_f16 v15, v6, v10, v15
	s_delay_alu instid0(VALU_DEP_4)
	v_pk_fma_f16 v17, v6, v11, v17
	v_pk_fma_f16 v19, v7, v10, v8
	;; [unrolled: 1-line block ×5, first 2 shown]
	ds_load_2addr_b64 v[4:7], v21 offset1:32
	ds_load_b128 v[8:11], v67 offset:19328
	s_wait_dscnt 0x0
	v_dual_lshrrev_b32 v22, 16, v8 :: v_dual_lshrrev_b32 v23, 16, v9
	v_and_b32_e32 v8, 0xffff, v8
	v_and_b32_e32 v9, 0xffff, v9
	s_delay_alu instid0(VALU_DEP_3) | instskip(NEXT) | instid1(VALU_DEP_4)
	v_mul_u32_u24_e32 v22, 0x10001, v22
	v_mul_u32_u24_e32 v23, 0x10001, v23
	s_delay_alu instid0(VALU_DEP_4) | instskip(NEXT) | instid1(VALU_DEP_4)
	v_mul_u32_u24_e32 v8, 0x10001, v8
	v_mul_u32_u24_e32 v9, 0x10001, v9
	s_delay_alu instid0(VALU_DEP_4) | instskip(SKIP_1) | instid1(VALU_DEP_4)
	v_pk_fma_f16 v12, v5, v22, v12
	v_pk_fma_f16 v16, v4, v22, v16
	v_pk_fma_f16 v15, v4, v8, v15
	s_delay_alu instid0(VALU_DEP_4)
	v_pk_fma_f16 v17, v4, v9, v17
	v_pk_fma_f16 v8, v5, v8, v19
	v_pk_fma_f16 v9, v5, v9, v13
	v_pk_fma_f16 v5, v5, v23, v14
	v_dual_lshrrev_b32 v13, 16, v10 :: v_dual_lshrrev_b32 v14, 16, v11
	v_and_b32_e32 v10, 0xffff, v10
	v_and_b32_e32 v11, 0xffff, v11
	v_pk_fma_f16 v4, v4, v23, v18
	s_delay_alu instid0(VALU_DEP_4) | instskip(SKIP_3) | instid1(VALU_DEP_4)
	v_mul_u32_u24_e32 v13, 0x10001, v13
	v_mul_u32_u24_e32 v14, 0x10001, v14
	v_mul_u32_u24_e32 v10, 0x10001, v10
	v_mul_u32_u24_e32 v11, 0x10001, v11
	v_pk_fma_f16 v16, v6, v13, v16
	s_delay_alu instid0(VALU_DEP_4) | instskip(NEXT) | instid1(VALU_DEP_4)
	v_pk_fma_f16 v18, v6, v14, v4
	v_pk_fma_f16 v15, v6, v10, v15
	s_delay_alu instid0(VALU_DEP_4)
	v_pk_fma_f16 v17, v6, v11, v17
	v_pk_fma_f16 v19, v7, v10, v8
	v_pk_fma_f16 v12, v7, v13, v12
	v_pk_fma_f16 v13, v7, v11, v9
	v_pk_fma_f16 v14, v7, v14, v5
	ds_load_2addr_b64 v[4:7], v21 offset0:64 offset1:96
	ds_load_b128 v[8:11], v67 offset:19344
	s_wait_dscnt 0x0
	v_dual_lshrrev_b32 v22, 16, v8 :: v_dual_lshrrev_b32 v23, 16, v9
	v_and_b32_e32 v8, 0xffff, v8
	v_and_b32_e32 v9, 0xffff, v9
	s_delay_alu instid0(VALU_DEP_3) | instskip(NEXT) | instid1(VALU_DEP_4)
	v_mul_u32_u24_e32 v22, 0x10001, v22
	v_mul_u32_u24_e32 v23, 0x10001, v23
	s_delay_alu instid0(VALU_DEP_4) | instskip(NEXT) | instid1(VALU_DEP_4)
	v_mul_u32_u24_e32 v8, 0x10001, v8
	v_mul_u32_u24_e32 v9, 0x10001, v9
	s_delay_alu instid0(VALU_DEP_4) | instskip(SKIP_1) | instid1(VALU_DEP_4)
	v_pk_fma_f16 v12, v5, v22, v12
	v_pk_fma_f16 v16, v4, v22, v16
	v_pk_fma_f16 v15, v4, v8, v15
	s_delay_alu instid0(VALU_DEP_4)
	v_pk_fma_f16 v17, v4, v9, v17
	v_pk_fma_f16 v8, v5, v8, v19
	v_pk_fma_f16 v9, v5, v9, v13
	v_pk_fma_f16 v5, v5, v23, v14
	v_dual_lshrrev_b32 v13, 16, v10 :: v_dual_lshrrev_b32 v14, 16, v11
	v_and_b32_e32 v10, 0xffff, v10
	v_and_b32_e32 v11, 0xffff, v11
	v_pk_fma_f16 v4, v4, v23, v18
	s_delay_alu instid0(VALU_DEP_4) | instskip(SKIP_3) | instid1(VALU_DEP_4)
	v_mul_u32_u24_e32 v13, 0x10001, v13
	v_mul_u32_u24_e32 v14, 0x10001, v14
	v_mul_u32_u24_e32 v10, 0x10001, v10
	v_mul_u32_u24_e32 v11, 0x10001, v11
	v_pk_fma_f16 v16, v6, v13, v16
	s_delay_alu instid0(VALU_DEP_4) | instskip(NEXT) | instid1(VALU_DEP_4)
	v_pk_fma_f16 v18, v6, v14, v4
	v_pk_fma_f16 v15, v6, v10, v15
	s_delay_alu instid0(VALU_DEP_4)
	v_pk_fma_f16 v17, v6, v11, v17
	v_pk_fma_f16 v19, v7, v10, v8
	v_pk_fma_f16 v12, v7, v13, v12
	v_pk_fma_f16 v13, v7, v11, v9
	v_pk_fma_f16 v14, v7, v14, v5
	ds_load_2addr_b64 v[4:7], v21 offset0:128 offset1:160
	;; [unrolled: 40-line block ×3, first 2 shown]
	ds_load_b128 v[8:11], v67 offset:19376
	s_wait_dscnt 0x0
	v_dual_lshrrev_b32 v21, 16, v8 :: v_dual_lshrrev_b32 v22, 16, v9
	v_and_b32_e32 v8, 0xffff, v8
	v_and_b32_e32 v9, 0xffff, v9
	s_delay_alu instid0(VALU_DEP_3) | instskip(NEXT) | instid1(VALU_DEP_4)
	v_mul_u32_u24_e32 v21, 0x10001, v21
	v_mul_u32_u24_e32 v22, 0x10001, v22
	s_delay_alu instid0(VALU_DEP_4) | instskip(NEXT) | instid1(VALU_DEP_4)
	v_mul_u32_u24_e32 v8, 0x10001, v8
	v_mul_u32_u24_e32 v9, 0x10001, v9
	s_delay_alu instid0(VALU_DEP_4) | instskip(SKIP_1) | instid1(VALU_DEP_4)
	v_pk_fma_f16 v12, v5, v21, v12
	v_pk_fma_f16 v16, v4, v21, v16
	;; [unrolled: 1-line block ×3, first 2 shown]
	s_delay_alu instid0(VALU_DEP_4)
	v_pk_fma_f16 v17, v4, v9, v17
	v_pk_fma_f16 v8, v5, v8, v19
	;; [unrolled: 1-line block ×4, first 2 shown]
	v_dual_lshrrev_b32 v13, 16, v10 :: v_dual_lshrrev_b32 v14, 16, v11
	v_and_b32_e32 v10, 0xffff, v10
	v_and_b32_e32 v11, 0xffff, v11
	v_pk_fma_f16 v4, v4, v22, v18
	s_delay_alu instid0(VALU_DEP_4) | instskip(SKIP_3) | instid1(VALU_DEP_4)
	v_mul_u32_u24_e32 v13, 0x10001, v13
	v_mul_u32_u24_e32 v14, 0x10001, v14
	v_mul_u32_u24_e32 v10, 0x10001, v10
	v_mul_u32_u24_e32 v11, 0x10001, v11
	v_pk_fma_f16 v16, v6, v13, v16
	s_delay_alu instid0(VALU_DEP_4) | instskip(NEXT) | instid1(VALU_DEP_4)
	v_pk_fma_f16 v18, v6, v14, v4
	v_pk_fma_f16 v15, v6, v10, v15
	s_delay_alu instid0(VALU_DEP_4)
	v_pk_fma_f16 v17, v6, v11, v17
	v_pk_fma_f16 v19, v7, v10, v8
	;; [unrolled: 1-line block ×5, first 2 shown]
	ds_load_2addr_b64 v[4:7], v20 offset1:32
	ds_load_b128 v[8:11], v67 offset:19392
	s_wait_dscnt 0x0
	v_dual_lshrrev_b32 v21, 16, v8 :: v_dual_lshrrev_b32 v22, 16, v9
	v_and_b32_e32 v8, 0xffff, v8
	v_and_b32_e32 v9, 0xffff, v9
	s_delay_alu instid0(VALU_DEP_3) | instskip(NEXT) | instid1(VALU_DEP_4)
	v_mul_u32_u24_e32 v21, 0x10001, v21
	v_mul_u32_u24_e32 v22, 0x10001, v22
	s_delay_alu instid0(VALU_DEP_4) | instskip(NEXT) | instid1(VALU_DEP_4)
	v_mul_u32_u24_e32 v8, 0x10001, v8
	v_mul_u32_u24_e32 v9, 0x10001, v9
	s_delay_alu instid0(VALU_DEP_4) | instskip(SKIP_1) | instid1(VALU_DEP_4)
	v_pk_fma_f16 v12, v5, v21, v12
	v_pk_fma_f16 v16, v4, v21, v16
	v_pk_fma_f16 v15, v4, v8, v15
	s_delay_alu instid0(VALU_DEP_4)
	v_pk_fma_f16 v17, v4, v9, v17
	v_pk_fma_f16 v8, v5, v8, v19
	v_pk_fma_f16 v9, v5, v9, v13
	v_pk_fma_f16 v5, v5, v22, v14
	v_dual_lshrrev_b32 v13, 16, v10 :: v_dual_lshrrev_b32 v14, 16, v11
	v_and_b32_e32 v10, 0xffff, v10
	v_and_b32_e32 v11, 0xffff, v11
	v_pk_fma_f16 v4, v4, v22, v18
	s_delay_alu instid0(VALU_DEP_4) | instskip(SKIP_3) | instid1(VALU_DEP_4)
	v_mul_u32_u24_e32 v13, 0x10001, v13
	v_mul_u32_u24_e32 v14, 0x10001, v14
	v_mul_u32_u24_e32 v10, 0x10001, v10
	v_mul_u32_u24_e32 v11, 0x10001, v11
	v_pk_fma_f16 v16, v6, v13, v16
	s_delay_alu instid0(VALU_DEP_4) | instskip(NEXT) | instid1(VALU_DEP_4)
	v_pk_fma_f16 v18, v6, v14, v4
	v_pk_fma_f16 v15, v6, v10, v15
	s_delay_alu instid0(VALU_DEP_4)
	v_pk_fma_f16 v17, v6, v11, v17
	v_pk_fma_f16 v19, v7, v10, v8
	v_pk_fma_f16 v12, v7, v13, v12
	v_pk_fma_f16 v13, v7, v11, v9
	v_pk_fma_f16 v14, v7, v14, v5
	ds_load_2addr_b64 v[4:7], v20 offset0:64 offset1:96
	ds_load_b128 v[8:11], v67 offset:19408
	s_wait_dscnt 0x0
	v_dual_lshrrev_b32 v21, 16, v8 :: v_dual_lshrrev_b32 v22, 16, v9
	v_and_b32_e32 v8, 0xffff, v8
	v_and_b32_e32 v9, 0xffff, v9
	s_delay_alu instid0(VALU_DEP_3) | instskip(NEXT) | instid1(VALU_DEP_4)
	v_mul_u32_u24_e32 v21, 0x10001, v21
	v_mul_u32_u24_e32 v22, 0x10001, v22
	s_delay_alu instid0(VALU_DEP_4) | instskip(NEXT) | instid1(VALU_DEP_4)
	v_mul_u32_u24_e32 v8, 0x10001, v8
	v_mul_u32_u24_e32 v9, 0x10001, v9
	s_delay_alu instid0(VALU_DEP_4) | instskip(SKIP_1) | instid1(VALU_DEP_4)
	v_pk_fma_f16 v12, v5, v21, v12
	v_pk_fma_f16 v16, v4, v21, v16
	v_pk_fma_f16 v15, v4, v8, v15
	s_delay_alu instid0(VALU_DEP_4)
	v_pk_fma_f16 v17, v4, v9, v17
	v_pk_fma_f16 v8, v5, v8, v19
	v_pk_fma_f16 v9, v5, v9, v13
	v_pk_fma_f16 v5, v5, v22, v14
	v_dual_lshrrev_b32 v13, 16, v10 :: v_dual_lshrrev_b32 v14, 16, v11
	v_and_b32_e32 v10, 0xffff, v10
	v_and_b32_e32 v11, 0xffff, v11
	v_pk_fma_f16 v4, v4, v22, v18
	s_delay_alu instid0(VALU_DEP_4) | instskip(SKIP_3) | instid1(VALU_DEP_4)
	v_mul_u32_u24_e32 v13, 0x10001, v13
	v_mul_u32_u24_e32 v14, 0x10001, v14
	v_mul_u32_u24_e32 v10, 0x10001, v10
	v_mul_u32_u24_e32 v11, 0x10001, v11
	v_pk_fma_f16 v16, v6, v13, v16
	s_delay_alu instid0(VALU_DEP_4) | instskip(NEXT) | instid1(VALU_DEP_4)
	v_pk_fma_f16 v18, v6, v14, v4
	v_pk_fma_f16 v15, v6, v10, v15
	s_delay_alu instid0(VALU_DEP_4)
	v_pk_fma_f16 v17, v6, v11, v17
	v_pk_fma_f16 v19, v7, v10, v8
	v_pk_fma_f16 v12, v7, v13, v12
	v_pk_fma_f16 v13, v7, v11, v9
	v_pk_fma_f16 v14, v7, v14, v5
	ds_load_2addr_b64 v[4:7], v20 offset0:128 offset1:160
	ds_load_b128 v[8:11], v67 offset:19424
	s_wait_dscnt 0x0
	v_dual_lshrrev_b32 v21, 16, v8 :: v_dual_lshrrev_b32 v22, 16, v9
	v_and_b32_e32 v8, 0xffff, v8
	v_and_b32_e32 v9, 0xffff, v9
	s_delay_alu instid0(VALU_DEP_3) | instskip(NEXT) | instid1(VALU_DEP_4)
	v_mul_u32_u24_e32 v21, 0x10001, v21
	v_mul_u32_u24_e32 v22, 0x10001, v22
	s_delay_alu instid0(VALU_DEP_4) | instskip(NEXT) | instid1(VALU_DEP_4)
	v_mul_u32_u24_e32 v8, 0x10001, v8
	v_mul_u32_u24_e32 v9, 0x10001, v9
	s_delay_alu instid0(VALU_DEP_4) | instskip(SKIP_1) | instid1(VALU_DEP_4)
	v_pk_fma_f16 v12, v5, v21, v12
	v_pk_fma_f16 v16, v4, v21, v16
	v_pk_fma_f16 v15, v4, v8, v15
	s_delay_alu instid0(VALU_DEP_4)
	v_pk_fma_f16 v17, v4, v9, v17
	v_pk_fma_f16 v8, v5, v8, v19
	v_pk_fma_f16 v9, v5, v9, v13
	v_pk_fma_f16 v5, v5, v22, v14
	v_dual_lshrrev_b32 v13, 16, v10 :: v_dual_lshrrev_b32 v14, 16, v11
	v_and_b32_e32 v10, 0xffff, v10
	v_and_b32_e32 v11, 0xffff, v11
	v_pk_fma_f16 v4, v4, v22, v18
	s_delay_alu instid0(VALU_DEP_4) | instskip(SKIP_3) | instid1(VALU_DEP_4)
	v_mul_u32_u24_e32 v13, 0x10001, v13
	v_mul_u32_u24_e32 v14, 0x10001, v14
	v_mul_u32_u24_e32 v10, 0x10001, v10
	v_mul_u32_u24_e32 v11, 0x10001, v11
	v_pk_fma_f16 v16, v6, v13, v16
	s_delay_alu instid0(VALU_DEP_4) | instskip(NEXT) | instid1(VALU_DEP_4)
	v_pk_fma_f16 v18, v6, v14, v4
	v_pk_fma_f16 v15, v6, v10, v15
	s_delay_alu instid0(VALU_DEP_4)
	v_pk_fma_f16 v17, v6, v11, v17
	v_pk_fma_f16 v19, v7, v10, v8
	v_pk_fma_f16 v12, v7, v13, v12
	v_pk_fma_f16 v13, v7, v11, v9
	v_pk_fma_f16 v14, v7, v14, v5
	ds_load_2addr_b64 v[4:7], v20 offset0:192 offset1:224
	ds_load_b128 v[8:11], v67 offset:19440
	s_wait_dscnt 0x0
	s_barrier_signal -1
	s_barrier_wait -1
	v_dual_lshrrev_b32 v20, 16, v8 :: v_dual_lshrrev_b32 v21, 16, v9
	v_and_b32_e32 v8, 0xffff, v8
	v_and_b32_e32 v9, 0xffff, v9
	s_delay_alu instid0(VALU_DEP_3) | instskip(NEXT) | instid1(VALU_DEP_4)
	v_mul_u32_u24_e32 v20, 0x10001, v20
	v_mul_u32_u24_e32 v21, 0x10001, v21
	s_delay_alu instid0(VALU_DEP_4) | instskip(NEXT) | instid1(VALU_DEP_4)
	v_mul_u32_u24_e32 v8, 0x10001, v8
	v_mul_u32_u24_e32 v9, 0x10001, v9
	s_delay_alu instid0(VALU_DEP_4) | instskip(SKIP_1) | instid1(VALU_DEP_4)
	v_pk_fma_f16 v12, v5, v20, v12
	v_pk_fma_f16 v16, v4, v20, v16
	v_pk_fma_f16 v15, v4, v8, v15
	s_delay_alu instid0(VALU_DEP_4)
	v_pk_fma_f16 v17, v4, v9, v17
	v_pk_fma_f16 v8, v5, v8, v19
	;; [unrolled: 1-line block ×4, first 2 shown]
	v_dual_lshrrev_b32 v13, 16, v10 :: v_dual_lshrrev_b32 v14, 16, v11
	v_and_b32_e32 v11, 0xffff, v11
	v_and_b32_e32 v10, 0xffff, v10
	v_pk_fma_f16 v4, v4, v21, v18
	s_delay_alu instid0(VALU_DEP_4)
	v_mul_u32_u24_e32 v13, 0x10001, v13
	v_mul_u32_u24_e32 v14, 0x10001, v14
	;; [unrolled: 1-line block ×4, first 2 shown]
	v_mov_b64_e32 v[20:21], v[24:25]
	v_pk_fma_f16 v84, v6, v13, v16
	v_mov_b64_e32 v[22:23], v[26:27]
	v_pk_fma_f16 v83, v6, v11, v17
	v_mov_b64_e32 v[18:19], v[2:3]
	v_mov_b64_e32 v[16:17], v[0:1]
	v_pk_fma_f16 v85, v6, v10, v15
	v_pk_fma_f16 v86, v6, v14, v4
	;; [unrolled: 1-line block ×6, first 2 shown]
.LBB56_125:
	v_cmp_lt_i32_e32 vcc_lo, v44, v43
	s_cmp_eq_u64 s[12:13], 0
	s_cselect_b32 s2, -1, 0
	s_cmp_lg_u32 s20, 0
	v_cndmask_b32_e32 v0, v66, v44, vcc_lo
	v_cmp_lt_i32_e32 vcc_lo, v41, v43
	s_cselect_b32 s3, -1, 0
	s_delay_alu instid0(SALU_CYCLE_1) | instskip(SKIP_2) | instid1(VALU_DEP_2)
	s_or_b32 s2, s3, s2
	v_cndmask_b32_e32 v4, v66, v41, vcc_lo
	v_cmp_lt_i32_e32 vcc_lo, v40, v43
	v_lshlrev_b32_e32 v7, 2, v4
	v_cndmask_b32_e32 v8, v66, v40, vcc_lo
	v_cmp_lt_i32_e32 vcc_lo, v39, v43
	v_lshlrev_b32_e32 v3, 2, v0
	s_delay_alu instid0(VALU_DEP_3)
	v_lshlrev_b32_e32 v8, 2, v8
	ds_bpermute_b32 v0, v3, v16
	ds_bpermute_b32 v1, v3, v17
	;; [unrolled: 1-line block ×4, first 2 shown]
	s_wait_dscnt 0x2
	v_pk_add_f32 v[0:1], v[16:17], v[0:1]
	s_wait_dscnt 0x0
	v_pk_add_f32 v[2:3], v[18:19], v[2:3]
	ds_bpermute_b32 v4, v7, v0
	ds_bpermute_b32 v5, v7, v1
	ds_bpermute_b32 v6, v7, v2
	ds_bpermute_b32 v7, v7, v3
	s_wait_dscnt 0x2
	v_pk_add_f32 v[0:1], v[0:1], v[4:5]
	s_wait_dscnt 0x0
	v_pk_add_f32 v[2:3], v[2:3], v[6:7]
	ds_bpermute_b32 v4, v8, v0
	ds_bpermute_b32 v5, v8, v1
	;; [unrolled: 1-line block ×4, first 2 shown]
	v_cndmask_b32_e32 v8, v66, v39, vcc_lo
	v_cmp_lt_i32_e32 vcc_lo, v42, v43
	s_delay_alu instid0(VALU_DEP_2)
	v_lshlrev_b32_e32 v8, 2, v8
	s_wait_dscnt 0x2
	v_pk_add_f32 v[0:1], v[0:1], v[4:5]
	s_wait_dscnt 0x0
	v_pk_add_f32 v[2:3], v[2:3], v[6:7]
	ds_bpermute_b32 v4, v8, v0
	ds_bpermute_b32 v5, v8, v1
	;; [unrolled: 1-line block ×4, first 2 shown]
	v_cndmask_b32_e32 v8, v66, v42, vcc_lo
	s_and_b32 vcc_lo, exec_lo, s2
	s_delay_alu instid0(VALU_DEP_1)
	v_lshlrev_b32_e32 v8, 2, v8
	s_wait_dscnt 0x2
	v_pk_add_f32 v[0:1], v[0:1], v[4:5]
	s_wait_dscnt 0x0
	v_pk_add_f32 v[4:5], v[2:3], v[6:7]
	ds_bpermute_b32 v2, v8, v0
	ds_bpermute_b32 v3, v8, v1
	;; [unrolled: 1-line block ×4, first 2 shown]
	s_wait_dscnt 0x2
	v_pk_add_f32 v[2:3], v[0:1], v[2:3]
	s_wait_dscnt 0x0
	v_pk_add_f32 v[0:1], v[4:5], v[6:7]
	s_cbranch_vccnz .LBB56_127
; %bb.126:
	v_dual_mov_b32 v4, s33 :: v_dual_max_num_f32 v6, v22, v22
	v_dual_max_num_f32 v9, v23, v23 :: v_dual_max_num_f32 v5, v21, v21
	global_load_b32 v8, v4, s[12:13] scale_offset
	s_wait_xcnt 0x0
	v_max_num_f32_e32 v4, v20, v20
	s_wait_loadcnt 0x0
	v_max_num_f32_e32 v7, v8, v8
	s_delay_alu instid0(VALU_DEP_1) | instskip(SKIP_1) | instid1(VALU_DEP_2)
	v_dual_max_num_f32 v4, v4, v7 :: v_dual_max_num_f32 v5, v5, v7
	v_dual_max_num_f32 v6, v6, v7 :: v_dual_max_num_f32 v7, v9, v7
	v_dual_sub_f32 v9, v20, v4 :: v_dual_sub_f32 v11, v21, v5
	v_dual_sub_f32 v10, v8, v4 :: v_dual_sub_f32 v12, v8, v5
	s_delay_alu instid0(VALU_DEP_3) | instskip(NEXT) | instid1(VALU_DEP_4)
	v_dual_sub_f32 v13, v22, v6 :: v_dual_sub_f32 v14, v8, v6
	v_dual_sub_f32 v15, v23, v7 :: v_dual_sub_f32 v16, v8, v7
	s_delay_alu instid0(VALU_DEP_3) | instskip(NEXT) | instid1(VALU_DEP_4)
	v_dual_mul_f32 v8, 0x3fb8aa3b, v9 :: v_dual_mul_f32 v17, 0x3fb8aa3b, v10
	v_dual_mul_f32 v18, 0x3fb8aa3b, v11 :: v_dual_mul_f32 v19, 0x3fb8aa3b, v12
	s_delay_alu instid0(VALU_DEP_3) | instskip(NEXT) | instid1(VALU_DEP_3)
	v_dual_mul_f32 v22, 0x3fb8aa3b, v15 :: v_dual_mul_f32 v23, 0x3fb8aa3b, v16
	v_fma_f32 v24, 0x3fb8aa3b, v9, -v8
	v_rndne_f32_e32 v25, v8
	v_dual_mul_f32 v20, 0x3fb8aa3b, v13 :: v_dual_mul_f32 v21, 0x3fb8aa3b, v14
	v_fma_f32 v26, 0x3fb8aa3b, v10, -v17
	v_rndne_f32_e32 v27, v17
	v_fma_f32 v29, 0x3fb8aa3b, v11, -v18
	v_fma_f32 v32, 0x3fb8aa3b, v12, -v19
	v_rndne_f32_e32 v33, v19
	v_rndne_f32_e32 v39, v22
	v_dual_fmac_f32 v24, 0x32a5705f, v9 :: v_dual_sub_f32 v17, v17, v27
	v_dual_sub_f32 v8, v8, v25 :: v_dual_fmac_f32 v29, 0x32a5705f, v11
	v_rndne_f32_e32 v30, v18
	v_fma_f32 v34, 0x3fb8aa3b, v13, -v20
	v_rndne_f32_e32 v37, v21
	v_fma_f32 v38, 0x3fb8aa3b, v15, -v22
	v_dual_fmac_f32 v26, 0x32a5705f, v10 :: v_dual_sub_f32 v19, v19, v33
	v_fmac_f32_e32 v32, 0x32a5705f, v12
	v_dual_sub_f32 v22, v22, v39 :: v_dual_add_f32 v8, v8, v24
	v_rndne_f32_e32 v35, v20
	v_fma_f32 v36, 0x3fb8aa3b, v14, -v21
	v_sub_f32_e32 v18, v18, v30
	v_dual_fmac_f32 v34, 0x32a5705f, v13 :: v_dual_add_f32 v17, v17, v26
	v_dual_sub_f32 v21, v21, v37 :: v_dual_fmac_f32 v38, 0x32a5705f, v15
	v_add_f32_e32 v19, v19, v32
	v_exp_f32_e32 v8, v8
	v_cvt_i32_f32_e32 v25, v25
	v_dual_sub_f32 v20, v20, v35 :: v_dual_add_f32 v18, v18, v29
	v_exp_f32_e32 v17, v17
	v_exp_f32_e32 v19, v19
	v_cvt_i32_f32_e32 v27, v27
	v_cvt_i32_f32_e32 v33, v33
	v_ldexp_f32 v8, v8, v25
	v_cmp_ngt_f32_e32 vcc_lo, 0xc2ce8ed0, v9
	v_add_f32_e32 v20, v20, v34
	v_exp_f32_e32 v18, v18
	v_fma_f32 v40, 0x3fb8aa3b, v16, -v23
	v_rndne_f32_e32 v41, v23
	v_cvt_i32_f32_e32 v30, v30
	v_ldexp_f32 v17, v17, v27
	v_ldexp_f32 v19, v19, v33
	v_cndmask_b32_e32 v8, 0, v8, vcc_lo
	v_cmp_ngt_f32_e32 vcc_lo, 0xc2ce8ed0, v10
	v_dual_fmac_f32 v36, 0x32a5705f, v14 :: v_dual_sub_f32 v23, v23, v41
	v_fmac_f32_e32 v40, 0x32a5705f, v16
	v_ldexp_f32 v18, v18, v30
	v_cndmask_b32_e32 v17, 0, v17, vcc_lo
	v_cmp_ngt_f32_e32 vcc_lo, 0xc2ce8ed0, v11
	v_dual_add_f32 v21, v21, v36 :: v_dual_add_f32 v22, v22, v38
	v_exp_f32_e32 v20, v20
	v_cvt_i32_f32_e32 v35, v35
	v_dual_add_f32 v23, v23, v40 :: v_dual_cndmask_b32 v18, 0, v18
	v_cmp_ngt_f32_e32 vcc_lo, 0xc2ce8ed0, v12
	v_exp_f32_e32 v21, v21
	v_cvt_i32_f32_e32 v37, v37
	s_delay_alu instid0(TRANS32_DEP_2)
	v_ldexp_f32 v20, v20, v35
	v_exp_f32_e32 v22, v22
	v_cndmask_b32_e32 v19, 0, v19, vcc_lo
	v_cmp_ngt_f32_e32 vcc_lo, 0xc2ce8ed0, v13
	v_cvt_i32_f32_e32 v39, v39
	v_ldexp_f32 v21, v21, v37
	v_exp_f32_e32 v23, v23
	v_cvt_i32_f32_e32 v41, v41
	v_cndmask_b32_e32 v20, 0, v20, vcc_lo
	v_cmp_ngt_f32_e32 vcc_lo, 0xc2ce8ed0, v14
	v_ldexp_f32 v22, v22, v39
	s_delay_alu instid0(TRANS32_DEP_1) | instid1(VALU_DEP_4)
	v_ldexp_f32 v23, v23, v41
	v_cndmask_b32_e32 v21, 0, v21, vcc_lo
	v_cmp_ngt_f32_e32 vcc_lo, 0xc2ce8ed0, v15
	s_delay_alu instid0(VALU_DEP_4)
	v_cndmask_b32_e32 v22, 0, v22, vcc_lo
	v_cmp_ngt_f32_e32 vcc_lo, 0xc2ce8ed0, v16
	v_cndmask_b32_e32 v23, 0, v23, vcc_lo
	v_cmp_nlt_f32_e32 vcc_lo, 0x42b17218, v9
	v_cndmask_b32_e32 v8, 0x7f800000, v8, vcc_lo
	v_cmp_nlt_f32_e32 vcc_lo, 0x42b17218, v10
	;; [unrolled: 2-line block ×3, first 2 shown]
	s_delay_alu instid0(VALU_DEP_4) | instskip(SKIP_2) | instid1(VALU_DEP_3)
	v_cvt_f16_f32_e32 v17, v8
	v_cndmask_b32_e32 v9, 0x7f800000, v18, vcc_lo
	v_cmp_nlt_f32_e32 vcc_lo, 0x42b17218, v12
	v_and_b32_e32 v17, 0xffff, v17
	v_cndmask_b32_e32 v11, 0x7f800000, v19, vcc_lo
	v_cmp_nlt_f32_e32 vcc_lo, 0x42b17218, v13
	s_delay_alu instid0(VALU_DEP_2) | instskip(SKIP_3) | instid1(VALU_DEP_3)
	v_pk_fma_f32 v[2:3], v[2:3], v[8:9], v[10:11]
	v_cndmask_b32_e32 v12, 0x7f800000, v20, vcc_lo
	v_cmp_nlt_f32_e32 vcc_lo, 0x42b17218, v14
	v_mul_u32_u24_e32 v11, 0x10001, v17
	v_cvt_f16_f32_e32 v18, v12
	v_cndmask_b32_e32 v14, 0x7f800000, v21, vcc_lo
	v_cmp_nlt_f32_e32 vcc_lo, 0x42b17218, v15
	s_delay_alu instid0(VALU_DEP_4)
	v_pk_mul_f16 v85, v85, v11
	v_pk_mul_f16 v90, v90, v11
	v_cndmask_b32_e32 v13, 0x7f800000, v22, vcc_lo
	v_cmp_nlt_f32_e32 vcc_lo, 0x42b17218, v16
	v_cvt_f16_f32_e32 v16, v9
	v_and_b32_e32 v9, 0xffff, v18
	s_delay_alu instid0(VALU_DEP_4) | instskip(SKIP_1) | instid1(VALU_DEP_4)
	v_cvt_f16_f32_e32 v19, v13
	v_cndmask_b32_e32 v15, 0x7f800000, v23, vcc_lo
	v_and_b32_e32 v8, 0xffff, v16
	s_delay_alu instid0(VALU_DEP_4)
	v_mul_u32_u24_e32 v9, 0x10001, v9
	v_mov_b64_e32 v[22:23], v[6:7]
	v_and_b32_e32 v10, 0xffff, v19
	v_mov_b64_e32 v[20:21], v[4:5]
	v_mul_u32_u24_e32 v8, 0x10001, v8
	v_pk_fma_f32 v[0:1], v[0:1], v[12:13], v[14:15]
	v_pk_mul_f16 v83, v83, v9
	v_mul_u32_u24_e32 v10, 0x10001, v10
	v_pk_mul_f16 v88, v88, v9
	v_pk_mul_f16 v84, v84, v8
	;; [unrolled: 1-line block ×3, first 2 shown]
	s_delay_alu instid0(VALU_DEP_4)
	v_pk_mul_f16 v86, v86, v10
	v_pk_mul_f16 v87, v87, v10
.LBB56_127:
	s_mov_b32 s2, exec_lo
	v_cmpx_gt_i32_e64 s22, v65
	s_cbranch_execz .LBB56_147
; %bb.128:
	s_load_b32 s0, s[0:1], 0xd4
	v_mov_b32_e32 v4, 1.0
	s_wait_kmcnt 0x0
	s_cmp_lg_u32 s0, 1
	s_cselect_b32 s2, -1, 0
	s_cmp_eq_u32 s0, 1
	s_cselect_b32 s3, -1, 0
	s_and_b32 vcc_lo, exec_lo, s2
	s_cbranch_vccnz .LBB56_130
; %bb.129:
	v_div_scale_f32 v4, null, v2, v2, 1.0
	s_delay_alu instid0(VALU_DEP_1) | instskip(SKIP_1) | instid1(TRANS32_DEP_1)
	v_rcp_f32_e32 v5, v4
	v_nop
	v_fma_f32 v6, -v4, v5, 1.0
	s_delay_alu instid0(VALU_DEP_1) | instskip(SKIP_1) | instid1(VALU_DEP_1)
	v_fmac_f32_e32 v5, v6, v5
	v_div_scale_f32 v6, vcc_lo, 1.0, v2, 1.0
	v_mul_f32_e32 v7, v6, v5
	s_delay_alu instid0(VALU_DEP_1) | instskip(NEXT) | instid1(VALU_DEP_1)
	v_fma_f32 v8, -v4, v7, v6
	v_fmac_f32_e32 v7, v8, v5
	s_delay_alu instid0(VALU_DEP_1) | instskip(NEXT) | instid1(VALU_DEP_1)
	v_fma_f32 v4, -v4, v7, v6
	v_div_fmas_f32 v4, v4, v5, v7
	s_delay_alu instid0(VALU_DEP_1)
	v_div_fixup_f32 v4, v4, v2, 1.0
.LBB56_130:
	s_mul_i32 s1, s34, s22
	v_dual_mov_b32 v9, 0 :: v_dual_lshrrev_b32 v11, 16, v90
	s_add_co_i32 s1, s1, s42
	s_delay_alu instid0(SALU_CYCLE_1) | instskip(SKIP_3) | instid1(VALU_DEP_4)
	v_dual_lshrrev_b32 v7, 16, v85 :: v_dual_add_nc_u32 v5, s1, v64
	v_cvt_f32_f16_e32 v6, v85
	v_cvt_f32_f16_e32 v10, v90
	;; [unrolled: 1-line block ×4, first 2 shown]
	v_mad_u32 v5, v5, s23, s33
	v_cmp_eq_u32_e32 vcc_lo, 0, v28
	s_and_b32 s2, vcc_lo, s2
	s_delay_alu instid0(VALU_DEP_2) | instskip(NEXT) | instid1(VALU_DEP_1)
	v_mad_u32 v5, s0, v5, s20
	v_lshl_add_u32 v8, v5, 7, v62
	v_pk_mul_f32 v[6:7], v[4:5], v[6:7] op_sel_hi:[0,1]
	s_delay_alu instid0(VALU_DEP_2)
	v_lshl_add_u64 v[12:13], v[8:9], 2, s[16:17]
	v_pk_mul_f32 v[8:9], v[4:5], v[10:11] op_sel_hi:[0,1]
	global_store_b128 v[12:13], v[6:9], off
	s_wait_xcnt 0x0
	s_and_saveexec_b32 s4, s2
	s_cbranch_execz .LBB56_132
; %bb.131:
	v_dual_mov_b32 v6, v20 :: v_dual_mov_b32 v7, v2
	global_store_b64 v5, v[6:7], s[18:19] scale_offset
.LBB56_132:
	s_wait_xcnt 0x0
	s_or_b32 exec_lo, exec_lo, s4
	v_cmp_gt_i32_e32 vcc_lo, s22, v63
	s_and_b32 exec_lo, exec_lo, vcc_lo
	s_cbranch_execz .LBB56_147
; %bb.133:
	v_cndmask_b32_e64 v4, 0, 1, s3
	v_mov_b32_e32 v2, 1.0
	s_and_not1_b32 vcc_lo, exec_lo, s3
	s_cbranch_vccnz .LBB56_135
; %bb.134:
	v_div_scale_f32 v2, null, v3, v3, 1.0
	s_delay_alu instid0(VALU_DEP_1) | instskip(SKIP_1) | instid1(TRANS32_DEP_1)
	v_rcp_f32_e32 v5, v2
	v_nop
	v_fma_f32 v6, -v2, v5, 1.0
	s_delay_alu instid0(VALU_DEP_1) | instskip(SKIP_1) | instid1(VALU_DEP_1)
	v_fmac_f32_e32 v5, v6, v5
	v_div_scale_f32 v6, vcc_lo, 1.0, v3, 1.0
	v_mul_f32_e32 v7, v6, v5
	s_delay_alu instid0(VALU_DEP_1) | instskip(NEXT) | instid1(VALU_DEP_1)
	v_fma_f32 v8, -v2, v7, v6
	v_fmac_f32_e32 v7, v8, v5
	s_delay_alu instid0(VALU_DEP_1) | instskip(NEXT) | instid1(VALU_DEP_1)
	v_fma_f32 v2, -v2, v7, v6
	v_div_fmas_f32 v2, v2, v5, v7
	s_delay_alu instid0(VALU_DEP_1)
	v_div_fixup_f32 v2, v2, v3, 1.0
.LBB56_135:
	v_dual_add_nc_u32 v5, s1, v61 :: v_dual_lshrrev_b32 v7, 16, v84
	v_dual_mov_b32 v9, 0 :: v_dual_lshrrev_b32 v11, 16, v89
	v_cvt_f32_f16_e32 v6, v84
	s_delay_alu instid0(VALU_DEP_3) | instskip(SKIP_3) | instid1(VALU_DEP_2)
	v_mad_u32 v5, v5, s23, s33
	v_cvt_f32_f16_e32 v10, v89
	v_cvt_f32_f16_e32 v7, v7
	;; [unrolled: 1-line block ×3, first 2 shown]
	v_pk_mul_f32 v[6:7], v[2:3], v[6:7] op_sel_hi:[0,1]
	v_mad_u32 v5, s0, v5, s20
	s_delay_alu instid0(VALU_DEP_1) | instskip(NEXT) | instid1(VALU_DEP_1)
	v_lshl_add_u32 v8, v5, 7, v62
	v_lshl_add_u64 v[12:13], v[8:9], 2, s[16:17]
	v_pk_mul_f32 v[8:9], v[2:3], v[10:11] op_sel_hi:[0,1]
	global_store_b128 v[12:13], v[6:9], off
	s_wait_xcnt 0x0
	s_and_saveexec_b32 s3, s2
	s_cbranch_execz .LBB56_137
; %bb.136:
	v_mov_b32_e32 v2, v21
	global_store_b64 v5, v[2:3], s[18:19] scale_offset
.LBB56_137:
	s_wait_xcnt 0x0
	s_or_b32 exec_lo, exec_lo, s3
	v_cmp_gt_i32_e32 vcc_lo, s22, v60
	s_and_b32 exec_lo, exec_lo, vcc_lo
	s_cbranch_execz .LBB56_147
; %bb.138:
	v_cmp_ne_u32_e32 vcc_lo, 1, v4
	v_mov_b32_e32 v2, 1.0
	s_cbranch_vccnz .LBB56_140
; %bb.139:
	v_div_scale_f32 v2, null, v0, v0, 1.0
	s_delay_alu instid0(VALU_DEP_1) | instskip(SKIP_1) | instid1(TRANS32_DEP_1)
	v_rcp_f32_e32 v3, v2
	v_nop
	v_fma_f32 v5, -v2, v3, 1.0
	s_delay_alu instid0(VALU_DEP_1) | instskip(SKIP_1) | instid1(VALU_DEP_1)
	v_fmac_f32_e32 v3, v5, v3
	v_div_scale_f32 v5, vcc_lo, 1.0, v0, 1.0
	v_mul_f32_e32 v6, v5, v3
	s_delay_alu instid0(VALU_DEP_1) | instskip(NEXT) | instid1(VALU_DEP_1)
	v_fma_f32 v7, -v2, v6, v5
	v_fmac_f32_e32 v6, v7, v3
	s_delay_alu instid0(VALU_DEP_1) | instskip(NEXT) | instid1(VALU_DEP_1)
	v_fma_f32 v2, -v2, v6, v5
	v_div_fmas_f32 v2, v2, v3, v6
	s_delay_alu instid0(VALU_DEP_1)
	v_div_fixup_f32 v2, v2, v0, 1.0
.LBB56_140:
	v_dual_add_nc_u32 v3, s1, v59 :: v_dual_mov_b32 v9, 0
	v_dual_lshrrev_b32 v5, 16, v83 :: v_dual_lshrrev_b32 v11, 16, v88
	v_cvt_f32_f16_e32 v6, v83
	s_delay_alu instid0(VALU_DEP_3) | instskip(SKIP_1) | instid1(VALU_DEP_4)
	v_mad_u32 v3, v3, s23, s33
	v_cvt_f32_f16_e32 v10, v88
	v_cvt_f32_f16_e32 v7, v5
	;; [unrolled: 1-line block ×3, first 2 shown]
	s_delay_alu instid0(VALU_DEP_4) | instskip(NEXT) | instid1(VALU_DEP_1)
	v_mad_u32 v3, s0, v3, s20
	v_lshl_add_u32 v8, v3, 7, v62
	s_delay_alu instid0(VALU_DEP_4) | instskip(NEXT) | instid1(VALU_DEP_2)
	v_pk_mul_f32 v[6:7], v[2:3], v[6:7] op_sel_hi:[0,1]
	v_lshl_add_u64 v[12:13], v[8:9], 2, s[16:17]
	v_pk_mul_f32 v[8:9], v[2:3], v[10:11] op_sel_hi:[0,1]
	global_store_b128 v[12:13], v[6:9], off
	s_wait_xcnt 0x0
	s_and_saveexec_b32 s3, s2
	s_cbranch_execz .LBB56_142
; %bb.141:
	v_dual_mov_b32 v6, v22 :: v_dual_mov_b32 v7, v0
	global_store_b64 v3, v[6:7], s[18:19] scale_offset
.LBB56_142:
	s_wait_xcnt 0x0
	s_or_b32 exec_lo, exec_lo, s3
	v_cmp_gt_i32_e32 vcc_lo, s22, v58
	s_and_b32 exec_lo, exec_lo, vcc_lo
	s_cbranch_execz .LBB56_147
; %bb.143:
	v_cmp_ne_u32_e32 vcc_lo, 1, v4
	v_mov_b32_e32 v0, 1.0
	s_cbranch_vccnz .LBB56_145
; %bb.144:
	v_div_scale_f32 v0, null, v1, v1, 1.0
	s_delay_alu instid0(VALU_DEP_1) | instskip(SKIP_1) | instid1(TRANS32_DEP_1)
	v_rcp_f32_e32 v2, v0
	v_nop
	v_fma_f32 v3, -v0, v2, 1.0
	s_delay_alu instid0(VALU_DEP_1) | instskip(SKIP_1) | instid1(VALU_DEP_1)
	v_fmac_f32_e32 v2, v3, v2
	v_div_scale_f32 v3, vcc_lo, 1.0, v1, 1.0
	v_mul_f32_e32 v4, v3, v2
	s_delay_alu instid0(VALU_DEP_1) | instskip(NEXT) | instid1(VALU_DEP_1)
	v_fma_f32 v5, -v0, v4, v3
	v_fmac_f32_e32 v4, v5, v2
	s_delay_alu instid0(VALU_DEP_1) | instskip(NEXT) | instid1(VALU_DEP_1)
	v_fma_f32 v0, -v0, v4, v3
	v_div_fmas_f32 v0, v0, v2, v4
	s_delay_alu instid0(VALU_DEP_1)
	v_div_fixup_f32 v0, v0, v1, 1.0
.LBB56_145:
	v_dual_add_nc_u32 v2, s1, v31 :: v_dual_lshrrev_b32 v3, 16, v86
	v_dual_mov_b32 v7, 0 :: v_dual_lshrrev_b32 v9, 16, v87
	v_cvt_f32_f16_e32 v4, v86
	s_delay_alu instid0(VALU_DEP_3) | instskip(SKIP_3) | instid1(VALU_DEP_2)
	v_mad_u32 v2, v2, s23, s33
	v_cvt_f32_f16_e32 v8, v87
	v_cvt_f32_f16_e32 v5, v3
	;; [unrolled: 1-line block ×3, first 2 shown]
	v_pk_mul_f32 v[4:5], v[0:1], v[4:5] op_sel_hi:[0,1]
	v_mad_u32 v2, s0, v2, s20
	s_delay_alu instid0(VALU_DEP_1) | instskip(NEXT) | instid1(VALU_DEP_1)
	v_lshl_add_u32 v6, v2, 7, v62
	v_lshl_add_u64 v[10:11], v[6:7], 2, s[16:17]
	v_pk_mul_f32 v[6:7], v[0:1], v[8:9] op_sel_hi:[0,1]
	global_store_b128 v[10:11], v[4:7], off
	s_wait_xcnt 0x0
	s_and_b32 exec_lo, exec_lo, s2
	s_cbranch_execz .LBB56_147
; %bb.146:
	v_mov_b32_e32 v0, v23
	global_store_b64 v2, v[0:1], s[18:19] scale_offset
.LBB56_147:
	s_sendmsg sendmsg(MSG_DEALLOC_VGPRS)
	s_endpgm
	.section	.rodata,"a",@progbits
	.p2align	6, 0x0
	.amdhsa_kernel _ZL15flash_attn_tileILi128ELi128ELi32ELi1ELb0EEvPKcS1_S1_S1_S1_PKiPfP15HIP_vector_typeIfLj2EEffffjfiS5_IjLj3EEiiiiiiiiiiiliiliiiiil
		.amdhsa_group_segment_fixed_size 34816
		.amdhsa_private_segment_fixed_size 32
		.amdhsa_kernarg_size 464
		.amdhsa_user_sgpr_count 2
		.amdhsa_user_sgpr_dispatch_ptr 0
		.amdhsa_user_sgpr_queue_ptr 0
		.amdhsa_user_sgpr_kernarg_segment_ptr 1
		.amdhsa_user_sgpr_dispatch_id 0
		.amdhsa_user_sgpr_kernarg_preload_length 0
		.amdhsa_user_sgpr_kernarg_preload_offset 0
		.amdhsa_user_sgpr_private_segment_size 0
		.amdhsa_wavefront_size32 1
		.amdhsa_uses_dynamic_stack 0
		.amdhsa_enable_private_segment 1
		.amdhsa_system_sgpr_workgroup_id_x 1
		.amdhsa_system_sgpr_workgroup_id_y 1
		.amdhsa_system_sgpr_workgroup_id_z 1
		.amdhsa_system_sgpr_workgroup_info 0
		.amdhsa_system_vgpr_workitem_id 1
		.amdhsa_next_free_vgpr 134
		.amdhsa_next_free_sgpr 48
		.amdhsa_named_barrier_count 0
		.amdhsa_reserve_vcc 1
		.amdhsa_float_round_mode_32 0
		.amdhsa_float_round_mode_16_64 0
		.amdhsa_float_denorm_mode_32 3
		.amdhsa_float_denorm_mode_16_64 3
		.amdhsa_fp16_overflow 0
		.amdhsa_memory_ordered 1
		.amdhsa_forward_progress 1
		.amdhsa_inst_pref_size 255
		.amdhsa_round_robin_scheduling 0
		.amdhsa_exception_fp_ieee_invalid_op 0
		.amdhsa_exception_fp_denorm_src 0
		.amdhsa_exception_fp_ieee_div_zero 0
		.amdhsa_exception_fp_ieee_overflow 0
		.amdhsa_exception_fp_ieee_underflow 0
		.amdhsa_exception_fp_ieee_inexact 0
		.amdhsa_exception_int_div_zero 0
	.end_amdhsa_kernel
	.section	.text._ZL15flash_attn_tileILi128ELi128ELi32ELi1ELb0EEvPKcS1_S1_S1_S1_PKiPfP15HIP_vector_typeIfLj2EEffffjfiS5_IjLj3EEiiiiiiiiiiiliiliiiiil,"axG",@progbits,_ZL15flash_attn_tileILi128ELi128ELi32ELi1ELb0EEvPKcS1_S1_S1_S1_PKiPfP15HIP_vector_typeIfLj2EEffffjfiS5_IjLj3EEiiiiiiiiiiiliiliiiiil,comdat
.Lfunc_end56:
	.size	_ZL15flash_attn_tileILi128ELi128ELi32ELi1ELb0EEvPKcS1_S1_S1_S1_PKiPfP15HIP_vector_typeIfLj2EEffffjfiS5_IjLj3EEiiiiiiiiiiiliiliiiiil, .Lfunc_end56-_ZL15flash_attn_tileILi128ELi128ELi32ELi1ELb0EEvPKcS1_S1_S1_S1_PKiPfP15HIP_vector_typeIfLj2EEffffjfiS5_IjLj3EEiiiiiiiiiiiliiliiiiil
                                        ; -- End function
	.set _ZL15flash_attn_tileILi128ELi128ELi32ELi1ELb0EEvPKcS1_S1_S1_S1_PKiPfP15HIP_vector_typeIfLj2EEffffjfiS5_IjLj3EEiiiiiiiiiiiliiliiiiil.num_vgpr, 134
	.set _ZL15flash_attn_tileILi128ELi128ELi32ELi1ELb0EEvPKcS1_S1_S1_S1_PKiPfP15HIP_vector_typeIfLj2EEffffjfiS5_IjLj3EEiiiiiiiiiiiliiliiiiil.num_agpr, 0
	.set _ZL15flash_attn_tileILi128ELi128ELi32ELi1ELb0EEvPKcS1_S1_S1_S1_PKiPfP15HIP_vector_typeIfLj2EEffffjfiS5_IjLj3EEiiiiiiiiiiiliiliiiiil.numbered_sgpr, 48
	.set _ZL15flash_attn_tileILi128ELi128ELi32ELi1ELb0EEvPKcS1_S1_S1_S1_PKiPfP15HIP_vector_typeIfLj2EEffffjfiS5_IjLj3EEiiiiiiiiiiiliiliiiiil.num_named_barrier, 0
	.set _ZL15flash_attn_tileILi128ELi128ELi32ELi1ELb0EEvPKcS1_S1_S1_S1_PKiPfP15HIP_vector_typeIfLj2EEffffjfiS5_IjLj3EEiiiiiiiiiiiliiliiiiil.private_seg_size, 32
	.set _ZL15flash_attn_tileILi128ELi128ELi32ELi1ELb0EEvPKcS1_S1_S1_S1_PKiPfP15HIP_vector_typeIfLj2EEffffjfiS5_IjLj3EEiiiiiiiiiiiliiliiiiil.uses_vcc, 1
	.set _ZL15flash_attn_tileILi128ELi128ELi32ELi1ELb0EEvPKcS1_S1_S1_S1_PKiPfP15HIP_vector_typeIfLj2EEffffjfiS5_IjLj3EEiiiiiiiiiiiliiliiiiil.uses_flat_scratch, 1
	.set _ZL15flash_attn_tileILi128ELi128ELi32ELi1ELb0EEvPKcS1_S1_S1_S1_PKiPfP15HIP_vector_typeIfLj2EEffffjfiS5_IjLj3EEiiiiiiiiiiiliiliiiiil.has_dyn_sized_stack, 0
	.set _ZL15flash_attn_tileILi128ELi128ELi32ELi1ELb0EEvPKcS1_S1_S1_S1_PKiPfP15HIP_vector_typeIfLj2EEffffjfiS5_IjLj3EEiiiiiiiiiiiliiliiiiil.has_recursion, 0
	.set _ZL15flash_attn_tileILi128ELi128ELi32ELi1ELb0EEvPKcS1_S1_S1_S1_PKiPfP15HIP_vector_typeIfLj2EEffffjfiS5_IjLj3EEiiiiiiiiiiiliiliiiiil.has_indirect_call, 0
	.section	.AMDGPU.csdata,"",@progbits
; Kernel info:
; codeLenInByte = 59112
; TotalNumSgprs: 50
; NumVgprs: 134
; ScratchSize: 32
; MemoryBound: 0
; FloatMode: 240
; IeeeMode: 1
; LDSByteSize: 34816 bytes/workgroup (compile time only)
; SGPRBlocks: 0
; VGPRBlocks: 8
; NumSGPRsForWavesPerEU: 50
; NumVGPRsForWavesPerEU: 134
; NamedBarCnt: 0
; Occupancy: 7
; WaveLimiterHint : 0
; COMPUTE_PGM_RSRC2:SCRATCH_EN: 1
; COMPUTE_PGM_RSRC2:USER_SGPR: 2
; COMPUTE_PGM_RSRC2:TRAP_HANDLER: 0
; COMPUTE_PGM_RSRC2:TGID_X_EN: 1
; COMPUTE_PGM_RSRC2:TGID_Y_EN: 1
; COMPUTE_PGM_RSRC2:TGID_Z_EN: 1
; COMPUTE_PGM_RSRC2:TIDIG_COMP_CNT: 1
	.section	.text._ZL33flash_attn_stream_k_fixup_uniformILi128ELi32ELi1EEvPfPK15HIP_vector_typeIfLj2EEiiiiiiS1_IjLj3EES5_S5_,"axG",@progbits,_ZL33flash_attn_stream_k_fixup_uniformILi128ELi32ELi1EEvPfPK15HIP_vector_typeIfLj2EEiiiiiiS1_IjLj3EES5_S5_,comdat
	.globl	_ZL33flash_attn_stream_k_fixup_uniformILi128ELi32ELi1EEvPfPK15HIP_vector_typeIfLj2EEiiiiiiS1_IjLj3EES5_S5_ ; -- Begin function _ZL33flash_attn_stream_k_fixup_uniformILi128ELi32ELi1EEvPfPK15HIP_vector_typeIfLj2EEiiiiiiS1_IjLj3EES5_S5_
	.p2align	8
	.type	_ZL33flash_attn_stream_k_fixup_uniformILi128ELi32ELi1EEvPfPK15HIP_vector_typeIfLj2EEiiiiiiS1_IjLj3EES5_S5_,@function
_ZL33flash_attn_stream_k_fixup_uniformILi128ELi32ELi1EEvPfPK15HIP_vector_typeIfLj2EEiiiiiiS1_IjLj3EES5_S5_: ; @_ZL33flash_attn_stream_k_fixup_uniformILi128ELi32ELi1EEvPfPK15HIP_vector_typeIfLj2EEiiiiiiS1_IjLj3EES5_S5_
; %bb.0:
	s_load_b256 s[4:11], s[0:1], 0x1c
	s_bfe_u32 s2, ttmp6, 0x40014
	s_lshr_b32 s3, ttmp7, 16
	s_add_co_i32 s2, s2, 1
	s_bfe_u32 s13, ttmp6, 0x40010
	s_mul_i32 s2, s3, s2
	s_bfe_u32 s12, ttmp6, 0x40008
	s_and_b32 s14, ttmp7, 0xffff
	s_add_co_i32 s13, s13, 1
	s_bfe_u32 s15, ttmp6, 0x4000c
	s_add_co_i32 s2, s12, s2
	s_mul_i32 s12, s14, s13
	s_bfe_u32 s13, ttmp6, 0x40004
	s_add_co_i32 s15, s15, 1
	s_add_co_i32 s13, s13, s12
	s_and_b32 s12, ttmp6, 15
	s_mul_i32 s15, ttmp9, s15
	s_getreg_b32 s20, hwreg(HW_REG_IB_STS2, 6, 4)
	s_add_co_i32 s12, s12, s15
	s_load_b128 s[16:19], s[0:1], 0x3c
	s_cmp_eq_u32 s20, 0
	s_cselect_b32 s12, ttmp9, s12
	s_cselect_b32 s13, s14, s13
	s_wait_kmcnt 0x0
	s_mul_hi_u32 s7, s7, s12
	s_cselect_b32 s14, s3, s2
	s_add_co_i32 s2, s12, s7
	s_delay_alu instid0(SALU_CYCLE_1) | instskip(NEXT) | instid1(SALU_CYCLE_1)
	s_lshr_b32 s7, s2, s8
	s_mul_i32 s2, s7, s9
	s_delay_alu instid0(SALU_CYCLE_1) | instskip(NEXT) | instid1(SALU_CYCLE_1)
	s_sub_co_i32 s8, s12, s2
	s_mul_hi_u32 s2, s8, s10
	s_delay_alu instid0(SALU_CYCLE_1) | instskip(SKIP_2) | instid1(SALU_CYCLE_1)
	s_add_co_i32 s9, s8, s2
	s_load_b64 s[2:3], s[0:1], 0x10
	s_lshr_b32 s15, s9, s11
	s_mul_i32 s9, s15, s16
	s_delay_alu instid0(SALU_CYCLE_1) | instskip(NEXT) | instid1(SALU_CYCLE_1)
	s_sub_co_i32 s8, s8, s9
	s_mul_hi_u32 s9, s8, s17
	s_delay_alu instid0(SALU_CYCLE_1) | instskip(NEXT) | instid1(SALU_CYCLE_1)
	s_add_co_i32 s9, s8, s9
	s_lshr_b32 s16, s9, s18
	s_delay_alu instid0(SALU_CYCLE_1) | instskip(NEXT) | instid1(SALU_CYCLE_1)
	s_mul_i32 s9, s16, s19
	s_sub_co_i32 s17, s8, s9
	s_delay_alu instid0(SALU_CYCLE_1) | instskip(NEXT) | instid1(SALU_CYCLE_1)
	s_lshl_b32 s8, s17, 5
	s_add_co_i32 s8, s8, s13
	s_wait_kmcnt 0x0
	s_cmp_lt_i32 s8, s2
	s_cselect_b32 s8, -1, 0
	s_add_co_i32 s9, s16, s14
	s_delay_alu instid0(SALU_CYCLE_1) | instskip(SKIP_1) | instid1(SALU_CYCLE_1)
	s_cmp_lt_i32 s9, s5
	s_cselect_b32 s9, -1, 0
	s_and_b32 s8, s8, s9
	s_delay_alu instid0(SALU_CYCLE_1)
	s_and_not1_b32 vcc_lo, exec_lo, s8
	s_cbranch_vccnz .LBB57_6
; %bb.1:
	s_mul_i32 s2, s7, s2
	s_load_b128 s[8:11], s[0:1], 0x0
	s_wait_xcnt 0x0
	s_add_co_i32 s0, s2, s13
	s_mul_i32 s15, s15, s5
	s_mul_i32 s0, s0, s3
	;; [unrolled: 1-line block ×3, first 2 shown]
	s_add_co_i32 s0, s0, s14
	s_lshl_b32 s1, s1, 12
	s_add_co_i32 s0, s0, s15
	s_mul_i32 s7, s6, s12
	s_add_co_i32 s0, s0, s16
	s_add_co_i32 s5, s7, s6
	s_lshl_b32 s0, s0, 7
	s_add_co_i32 s13, s13, s14
	s_add_co_i32 s1, s1, s0
	s_lshl_b32 s0, s5, 5
	v_or_b32_e32 v4, s1, v0
	s_add_co_i32 s0, s13, s0
	s_add_co_i32 s2, s5, -2
	s_sub_co_i32 s0, s0, 32
	s_delay_alu instid0(SALU_CYCLE_1)
	s_ashr_i32 s1, s0, 31
	s_wait_kmcnt 0x0
	global_load_b32 v3, v4, s[8:9] scale_offset
	s_lshl_b64 s[0:1], s[0:1], 3
	v_ashrrev_i32_e32 v5, 31, v4
	s_add_nc_u64 s[0:1], s[10:11], s[0:1]
	s_cmp_lt_i32 s2, s7
	s_load_b32 s14, s[0:1], 0x4
	s_cbranch_scc1 .LBB57_4
; %bb.2:
	s_wait_xcnt 0x0
	s_load_b32 s0, s[0:1], 0x0
	s_add_co_i32 s12, s12, 1
	s_lshl_b32 s3, s13, 7
	s_wait_xcnt 0x0
	s_mul_i32 s1, s6, s12
	s_lshl_b32 s2, s4, 7
	s_lshl_b32 s6, s1, 12
	;; [unrolled: 1-line block ×3, first 2 shown]
	s_add_co_i32 s6, s3, s6
	s_ashr_i32 s3, s2, 31
	s_wait_kmcnt 0x0
	v_dual_mov_b32 v2, s14 :: v_dual_bitop2_b32 v0, s6, v0 bitop3:0x54
	s_add_co_i32 s1, s13, s1
	s_lshl_b32 s4, s4, 5
	s_lshl_b64 s[2:3], s[2:3], 2
	s_delay_alu instid0(VALU_DEP_1)
	v_add_nc_u32_e32 v0, 0xffffe000, v0
	s_add_co_i32 s4, s1, s4
	s_add_nc_u64 s[2:3], s[10:11], s[2:3]
	s_add_co_i32 s1, s5, -1
	s_sub_co_i32 s4, s4, 64
.LBB57_3:                               ; =>This Inner Loop Header: Depth=1
	global_load_b32 v7, v0, s[2:3] scale_offset
	s_ashr_i32 s5, s4, 31
	v_max_num_f32_e64 v1, s0, s0
	s_lshl_b64 s[12:13], s[4:5], 3
	s_delay_alu instid0(SALU_CYCLE_1) | instskip(SKIP_1) | instid1(VALU_DEP_1)
	s_add_nc_u64 s[12:13], s[10:11], s[12:13]
	s_load_b64 s[12:13], s[12:13], 0x0
	v_readfirstlane_b32 s5, v1
	v_add_nc_u32_e32 v0, 0xfffff000, v0
	s_wait_kmcnt 0x0
	v_max_num_f32_e64 v1, s12, s12
	s_delay_alu instid0(VALU_DEP_1) | instskip(SKIP_1) | instid1(SALU_CYCLE_3)
	v_readfirstlane_b32 s6, v1
	s_max_num_f32 s5, s5, s6
	s_sub_f32 s0, s0, s5
	s_sub_f32 s6, s12, s5
	s_delay_alu instid0(SALU_CYCLE_2) | instskip(NEXT) | instid1(SALU_CYCLE_2)
	s_mul_f32 s12, s0, 0x3fb8aa3b
	s_mul_f32 s14, s6, 0x3fb8aa3b
	s_delay_alu instid0(SALU_CYCLE_2)
	s_xor_b32 s15, s12, 0x80000000
	s_rndne_f32 s16, s12
	s_fmamk_f32 s15, s0, 0x3fb8aa3b, s15
	s_cmp_nlt_f32 s0, 0xc2ce8ed0
	s_rndne_f32 s17, s14
	s_sub_f32 s12, s12, s16
	s_fmamk_f32 s15, s0, 0x32a5705f, s15
	s_cselect_b32 vcc_lo, -1, 0
	s_cmp_ngt_f32 s0, 0x42b17218
	s_delay_alu instid0(SALU_CYCLE_1) | instskip(SKIP_2) | instid1(SALU_CYCLE_1)
	s_add_f32 s12, s12, s15
	s_cvt_i32_f32 s15, s16
	s_sub_f32 s16, s14, s17
	v_s_exp_f32 s12, s12
	v_nop
	s_delay_alu instid0(TRANS32_DEP_1) | instskip(SKIP_1) | instid1(VALU_DEP_1)
	v_ldexp_f32 v1, s12, s15
	s_cvt_i32_f32 s12, s17
	v_cndmask_b32_e32 v1, 0, v1, vcc_lo
	s_cselect_b32 vcc_lo, -1, 0
	s_cmp_ge_f32 s0, 0xc1a00000
	s_delay_alu instid0(VALU_DEP_1)
	v_cndmask_b32_e32 v1, 0x7f800000, v1, vcc_lo
	s_cselect_b32 vcc_lo, -1, 0
	s_xor_b32 s0, s14, 0x80000000
	s_cmp_nlt_f32 s6, 0xc2ce8ed0
	s_fmamk_f32 s0, s6, 0x3fb8aa3b, s0
	v_cndmask_b32_e32 v10, 0, v1, vcc_lo
	s_delay_alu instid0(SALU_CYCLE_2) | instskip(NEXT) | instid1(SALU_CYCLE_3)
	s_fmamk_f32 s0, s6, 0x32a5705f, s0
	s_add_f32 s0, s16, s0
	s_delay_alu instid0(SALU_CYCLE_3) | instskip(SKIP_1) | instid1(TRANS32_DEP_1)
	v_s_exp_f32 s0, s0
	v_nop
	v_ldexp_f32 v6, s0, s12
	s_cselect_b32 s0, -1, 0
	s_cmp_ngt_f32 s6, 0x42b17218
	s_delay_alu instid0(VALU_DEP_1) | instskip(SKIP_2) | instid1(VALU_DEP_1)
	v_cndmask_b32_e64 v6, 0, v6, s0
	s_cselect_b32 s0, -1, 0
	s_cmp_ge_f32 s6, 0xc1a00000
	v_cndmask_b32_e64 v8, 0x7f800000, v6, s0
	s_cselect_b32 s0, -1, 0
	v_mov_b32_e32 v6, s13
	s_add_co_i32 s1, s1, -1
	s_sub_co_i32 s4, s4, 32
	v_cndmask_b32_e64 v8, 0, v8, s0
	s_cmp_le_i32 s1, s7
	s_mov_b32 s0, s5
	s_wait_loadcnt 0x0
	s_delay_alu instid0(VALU_DEP_1) | instskip(NEXT) | instid1(VALU_DEP_1)
	v_pk_mul_f32 v[6:7], v[6:7], v[8:9] op_sel_hi:[1,0]
	v_pk_fma_f32 v[2:3], v[2:3], v[10:11], v[6:7] op_sel_hi:[1,0,1]
	s_cbranch_scc0 .LBB57_3
	s_branch .LBB57_5
.LBB57_4:
	s_wait_kmcnt 0x0
	v_mov_b32_e32 v2, s14
.LBB57_5:
	v_lshl_add_u64 v[0:1], v[4:5], 2, s[8:9]
	s_wait_loadcnt 0x0
	s_delay_alu instid0(VALU_DEP_2) | instskip(NEXT) | instid1(VALU_DEP_1)
	v_div_scale_f32 v4, null, v2, v2, v3
	v_rcp_f32_e32 v5, v4
	v_nop
	s_delay_alu instid0(TRANS32_DEP_1) | instskip(NEXT) | instid1(VALU_DEP_1)
	v_fma_f32 v6, -v4, v5, 1.0
	v_fmac_f32_e32 v5, v6, v5
	v_div_scale_f32 v6, vcc_lo, v3, v2, v3
	s_delay_alu instid0(VALU_DEP_1) | instskip(NEXT) | instid1(VALU_DEP_1)
	v_mul_f32_e32 v7, v6, v5
	v_fma_f32 v8, -v4, v7, v6
	s_delay_alu instid0(VALU_DEP_1) | instskip(NEXT) | instid1(VALU_DEP_1)
	v_fmac_f32_e32 v7, v8, v5
	v_fma_f32 v4, -v4, v7, v6
	s_delay_alu instid0(VALU_DEP_1) | instskip(NEXT) | instid1(VALU_DEP_1)
	v_div_fmas_f32 v4, v4, v5, v7
	v_div_fixup_f32 v2, v4, v2, v3
	global_store_b32 v[0:1], v2, off
.LBB57_6:
	s_endpgm
	.section	.rodata,"a",@progbits
	.p2align	6, 0x0
	.amdhsa_kernel _ZL33flash_attn_stream_k_fixup_uniformILi128ELi32ELi1EEvPfPK15HIP_vector_typeIfLj2EEiiiiiiS1_IjLj3EES5_S5_
		.amdhsa_group_segment_fixed_size 0
		.amdhsa_private_segment_fixed_size 0
		.amdhsa_kernarg_size 76
		.amdhsa_user_sgpr_count 2
		.amdhsa_user_sgpr_dispatch_ptr 0
		.amdhsa_user_sgpr_queue_ptr 0
		.amdhsa_user_sgpr_kernarg_segment_ptr 1
		.amdhsa_user_sgpr_dispatch_id 0
		.amdhsa_user_sgpr_kernarg_preload_length 0
		.amdhsa_user_sgpr_kernarg_preload_offset 0
		.amdhsa_user_sgpr_private_segment_size 0
		.amdhsa_wavefront_size32 1
		.amdhsa_uses_dynamic_stack 0
		.amdhsa_enable_private_segment 0
		.amdhsa_system_sgpr_workgroup_id_x 1
		.amdhsa_system_sgpr_workgroup_id_y 1
		.amdhsa_system_sgpr_workgroup_id_z 1
		.amdhsa_system_sgpr_workgroup_info 0
		.amdhsa_system_vgpr_workitem_id 0
		.amdhsa_next_free_vgpr 12
		.amdhsa_next_free_sgpr 21
		.amdhsa_named_barrier_count 0
		.amdhsa_reserve_vcc 1
		.amdhsa_float_round_mode_32 0
		.amdhsa_float_round_mode_16_64 0
		.amdhsa_float_denorm_mode_32 3
		.amdhsa_float_denorm_mode_16_64 3
		.amdhsa_fp16_overflow 0
		.amdhsa_memory_ordered 1
		.amdhsa_forward_progress 1
		.amdhsa_inst_pref_size 9
		.amdhsa_round_robin_scheduling 0
		.amdhsa_exception_fp_ieee_invalid_op 0
		.amdhsa_exception_fp_denorm_src 0
		.amdhsa_exception_fp_ieee_div_zero 0
		.amdhsa_exception_fp_ieee_overflow 0
		.amdhsa_exception_fp_ieee_underflow 0
		.amdhsa_exception_fp_ieee_inexact 0
		.amdhsa_exception_int_div_zero 0
	.end_amdhsa_kernel
	.section	.text._ZL33flash_attn_stream_k_fixup_uniformILi128ELi32ELi1EEvPfPK15HIP_vector_typeIfLj2EEiiiiiiS1_IjLj3EES5_S5_,"axG",@progbits,_ZL33flash_attn_stream_k_fixup_uniformILi128ELi32ELi1EEvPfPK15HIP_vector_typeIfLj2EEiiiiiiS1_IjLj3EES5_S5_,comdat
.Lfunc_end57:
	.size	_ZL33flash_attn_stream_k_fixup_uniformILi128ELi32ELi1EEvPfPK15HIP_vector_typeIfLj2EEiiiiiiS1_IjLj3EES5_S5_, .Lfunc_end57-_ZL33flash_attn_stream_k_fixup_uniformILi128ELi32ELi1EEvPfPK15HIP_vector_typeIfLj2EEiiiiiiS1_IjLj3EES5_S5_
                                        ; -- End function
	.set _ZL33flash_attn_stream_k_fixup_uniformILi128ELi32ELi1EEvPfPK15HIP_vector_typeIfLj2EEiiiiiiS1_IjLj3EES5_S5_.num_vgpr, 12
	.set _ZL33flash_attn_stream_k_fixup_uniformILi128ELi32ELi1EEvPfPK15HIP_vector_typeIfLj2EEiiiiiiS1_IjLj3EES5_S5_.num_agpr, 0
	.set _ZL33flash_attn_stream_k_fixup_uniformILi128ELi32ELi1EEvPfPK15HIP_vector_typeIfLj2EEiiiiiiS1_IjLj3EES5_S5_.numbered_sgpr, 21
	.set _ZL33flash_attn_stream_k_fixup_uniformILi128ELi32ELi1EEvPfPK15HIP_vector_typeIfLj2EEiiiiiiS1_IjLj3EES5_S5_.num_named_barrier, 0
	.set _ZL33flash_attn_stream_k_fixup_uniformILi128ELi32ELi1EEvPfPK15HIP_vector_typeIfLj2EEiiiiiiS1_IjLj3EES5_S5_.private_seg_size, 0
	.set _ZL33flash_attn_stream_k_fixup_uniformILi128ELi32ELi1EEvPfPK15HIP_vector_typeIfLj2EEiiiiiiS1_IjLj3EES5_S5_.uses_vcc, 1
	.set _ZL33flash_attn_stream_k_fixup_uniformILi128ELi32ELi1EEvPfPK15HIP_vector_typeIfLj2EEiiiiiiS1_IjLj3EES5_S5_.uses_flat_scratch, 0
	.set _ZL33flash_attn_stream_k_fixup_uniformILi128ELi32ELi1EEvPfPK15HIP_vector_typeIfLj2EEiiiiiiS1_IjLj3EES5_S5_.has_dyn_sized_stack, 0
	.set _ZL33flash_attn_stream_k_fixup_uniformILi128ELi32ELi1EEvPfPK15HIP_vector_typeIfLj2EEiiiiiiS1_IjLj3EES5_S5_.has_recursion, 0
	.set _ZL33flash_attn_stream_k_fixup_uniformILi128ELi32ELi1EEvPfPK15HIP_vector_typeIfLj2EEiiiiiiS1_IjLj3EES5_S5_.has_indirect_call, 0
	.section	.AMDGPU.csdata,"",@progbits
; Kernel info:
; codeLenInByte = 1080
; TotalNumSgprs: 23
; NumVgprs: 12
; ScratchSize: 0
; MemoryBound: 0
; FloatMode: 240
; IeeeMode: 1
; LDSByteSize: 0 bytes/workgroup (compile time only)
; SGPRBlocks: 0
; VGPRBlocks: 0
; NumSGPRsForWavesPerEU: 23
; NumVGPRsForWavesPerEU: 12
; NamedBarCnt: 0
; Occupancy: 16
; WaveLimiterHint : 0
; COMPUTE_PGM_RSRC2:SCRATCH_EN: 0
; COMPUTE_PGM_RSRC2:USER_SGPR: 2
; COMPUTE_PGM_RSRC2:TRAP_HANDLER: 0
; COMPUTE_PGM_RSRC2:TGID_X_EN: 1
; COMPUTE_PGM_RSRC2:TGID_Y_EN: 1
; COMPUTE_PGM_RSRC2:TGID_Z_EN: 1
; COMPUTE_PGM_RSRC2:TIDIG_COMP_CNT: 0
	.section	.text._ZL33flash_attn_stream_k_fixup_generalILi128ELi32ELi1EEvPfPK15HIP_vector_typeIfLj2EEiiiiS1_IjLj3EES5_S5_S5_,"axG",@progbits,_ZL33flash_attn_stream_k_fixup_generalILi128ELi32ELi1EEvPfPK15HIP_vector_typeIfLj2EEiiiiS1_IjLj3EES5_S5_S5_,comdat
	.globl	_ZL33flash_attn_stream_k_fixup_generalILi128ELi32ELi1EEvPfPK15HIP_vector_typeIfLj2EEiiiiS1_IjLj3EES5_S5_S5_ ; -- Begin function _ZL33flash_attn_stream_k_fixup_generalILi128ELi32ELi1EEvPfPK15HIP_vector_typeIfLj2EEiiiiS1_IjLj3EES5_S5_S5_
	.p2align	8
	.type	_ZL33flash_attn_stream_k_fixup_generalILi128ELi32ELi1EEvPfPK15HIP_vector_typeIfLj2EEiiiiS1_IjLj3EES5_S5_S5_,@function
_ZL33flash_attn_stream_k_fixup_generalILi128ELi32ELi1EEvPfPK15HIP_vector_typeIfLj2EEiiiiS1_IjLj3EES5_S5_S5_: ; @_ZL33flash_attn_stream_k_fixup_generalILi128ELi32ELi1EEvPfPK15HIP_vector_typeIfLj2EEiiiiS1_IjLj3EES5_S5_S5_
; %bb.0:
	s_clause 0x1
	s_load_b128 s[4:7], s[0:1], 0x10
	s_load_b32 s16, s[0:1], 0x50
	s_bfe_u32 s2, ttmp6, 0x4000c
	s_and_b32 s3, ttmp6, 15
	s_add_co_i32 s2, s2, 1
	s_getreg_b32 s15, hwreg(HW_REG_IB_STS2, 6, 4)
	s_mul_i32 s2, ttmp9, s2
	s_mov_b32 s17, 0
	s_add_co_i32 s3, s3, s2
	s_cmp_eq_u32 s15, 0
	s_cselect_b32 s2, ttmp9, s3
	s_delay_alu instid0(SALU_CYCLE_1) | instskip(SKIP_3) | instid1(SALU_CYCLE_1)
	s_ashr_i32 s3, s2, 31
	s_wait_kmcnt 0x0
	s_ashr_i32 s19, s7, 31
	s_mov_b32 s18, s7
	s_mul_u64 s[8:9], s[18:19], s[2:3]
	s_delay_alu instid0(SALU_CYCLE_1) | instskip(NEXT) | instid1(SALU_CYCLE_1)
	s_and_b64 s[10:11], s[8:9], 0xffffffff00000000
	s_cmp_lg_u64 s[10:11], 0
	s_cbranch_scc0 .LBB58_21
; %bb.1:
	s_add_nc_u64 s[10:11], s[16:17], 0
	s_mov_b32 s23, s17
	s_xor_b64 s[10:11], s[10:11], 0
	s_mov_b32 s27, s17
	s_cvt_f32_u32 s3, s10
	s_cvt_f32_u32 s7, s11
	s_sub_nc_u64 s[20:21], 0, s[10:11]
	s_delay_alu instid0(SALU_CYCLE_2) | instskip(NEXT) | instid1(SALU_CYCLE_3)
	s_fmamk_f32 s3, s7, 0x4f800000, s3
	v_s_rcp_f32 s3, s3
	s_delay_alu instid0(TRANS32_DEP_1) | instskip(NEXT) | instid1(SALU_CYCLE_3)
	s_mul_f32 s3, s3, 0x5f7ffffc
	s_mul_f32 s7, s3, 0x2f800000
	s_delay_alu instid0(SALU_CYCLE_3) | instskip(NEXT) | instid1(SALU_CYCLE_3)
	s_trunc_f32 s7, s7
	s_fmamk_f32 s3, s7, 0xcf800000, s3
	s_cvt_u32_f32 s13, s7
	s_delay_alu instid0(SALU_CYCLE_2) | instskip(NEXT) | instid1(SALU_CYCLE_3)
	s_cvt_u32_f32 s12, s3
	s_mul_u64 s[24:25], s[20:21], s[12:13]
	s_delay_alu instid0(SALU_CYCLE_1)
	s_mul_hi_u32 s29, s12, s25
	s_mul_i32 s28, s12, s25
	s_mul_hi_u32 s22, s12, s24
	s_mul_i32 s7, s13, s24
	s_add_nc_u64 s[22:23], s[22:23], s[28:29]
	s_mul_hi_u32 s3, s13, s24
	s_mul_hi_u32 s14, s13, s25
	s_add_co_u32 s7, s22, s7
	s_add_co_ci_u32 s26, s23, s3
	s_mul_i32 s24, s13, s25
	s_add_co_ci_u32 s25, s14, 0
	s_delay_alu instid0(SALU_CYCLE_1) | instskip(SKIP_3) | instid1(SALU_CYCLE_1)
	s_add_nc_u64 s[22:23], s[26:27], s[24:25]
	s_mov_b32 s25, s17
	s_add_co_u32 s12, s12, s22
	s_cselect_b32 s3, -1, 0
	s_cmp_lg_u32 s3, 0
	s_add_co_ci_u32 s13, s13, s23
	s_mov_b32 s23, s17
	s_mul_u64 s[20:21], s[20:21], s[12:13]
	s_delay_alu instid0(SALU_CYCLE_1)
	s_mul_hi_u32 s27, s12, s21
	s_mul_i32 s26, s12, s21
	s_mul_hi_u32 s22, s12, s20
	s_mul_i32 s7, s13, s20
	s_add_nc_u64 s[22:23], s[22:23], s[26:27]
	s_mul_hi_u32 s3, s13, s20
	s_mul_hi_u32 s14, s13, s21
	s_add_co_u32 s7, s22, s7
	s_add_co_ci_u32 s24, s23, s3
	s_mul_i32 s20, s13, s21
	s_add_co_ci_u32 s21, s14, 0
	s_mov_b32 s23, s17
	s_add_nc_u64 s[20:21], s[24:25], s[20:21]
	s_delay_alu instid0(SALU_CYCLE_1) | instskip(SKIP_1) | instid1(SALU_CYCLE_1)
	s_add_co_u32 s3, s12, s20
	s_cselect_b32 s7, -1, 0
	s_cmp_lg_u32 s7, 0
	s_add_co_ci_u32 s7, s13, s21
	s_ashr_i32 s12, s9, 31
	s_delay_alu instid0(SALU_CYCLE_1) | instskip(NEXT) | instid1(SALU_CYCLE_1)
	s_mov_b32 s13, s12
	s_add_nc_u64 s[20:21], s[8:9], s[12:13]
	s_delay_alu instid0(SALU_CYCLE_1) | instskip(NEXT) | instid1(SALU_CYCLE_1)
	s_xor_b64 s[20:21], s[20:21], s[12:13]
	s_mul_hi_u32 s27, s20, s7
	s_mul_i32 s26, s20, s7
	s_mul_hi_u32 s22, s20, s3
	s_mul_hi_u32 s14, s21, s3
	s_mul_i32 s3, s21, s3
	s_add_nc_u64 s[22:23], s[22:23], s[26:27]
	s_mul_hi_u32 s9, s21, s7
	s_add_co_u32 s3, s22, s3
	s_add_co_ci_u32 s24, s23, s14
	s_mul_i32 s26, s21, s7
	s_add_co_ci_u32 s27, s9, 0
	s_delay_alu instid0(SALU_CYCLE_1) | instskip(NEXT) | instid1(SALU_CYCLE_1)
	s_add_nc_u64 s[22:23], s[24:25], s[26:27]
	s_and_b64 s[24:25], s[22:23], 0xffffffff00000000
	s_delay_alu instid0(SALU_CYCLE_1) | instskip(NEXT) | instid1(SALU_CYCLE_1)
	s_or_b32 s24, s24, s22
	s_mul_u64 s[22:23], s[10:11], s[24:25]
	s_add_nc_u64 s[26:27], s[24:25], 1
	s_sub_co_u32 s3, s20, s22
	s_cselect_b32 s7, -1, 0
	s_sub_co_i32 s9, s21, s23
	s_cmp_lg_u32 s7, 0
	s_add_nc_u64 s[28:29], s[24:25], 2
	s_sub_co_ci_u32 s9, s9, s11
	s_sub_co_u32 s14, s3, s10
	s_cselect_b32 s20, -1, 0
	s_delay_alu instid0(SALU_CYCLE_1) | instskip(SKIP_1) | instid1(SALU_CYCLE_1)
	s_cmp_lg_u32 s20, 0
	s_sub_co_ci_u32 s9, s9, 0
	s_cmp_ge_u32 s9, s11
	s_cselect_b32 s20, -1, 0
	s_cmp_ge_u32 s14, s10
	s_cselect_b32 s14, -1, 0
	s_cmp_eq_u32 s9, s11
	s_cselect_b32 s9, s14, s20
	s_delay_alu instid0(SALU_CYCLE_1) | instskip(SKIP_4) | instid1(SALU_CYCLE_1)
	s_cmp_lg_u32 s9, 0
	s_cselect_b32 s9, s28, s26
	s_cselect_b32 s14, s29, s27
	s_cmp_lg_u32 s7, 0
	s_sub_co_ci_u32 s7, s21, s23
	s_cmp_ge_u32 s7, s11
	s_cselect_b32 s20, -1, 0
	s_cmp_ge_u32 s3, s10
	s_cselect_b32 s3, -1, 0
	s_cmp_eq_u32 s7, s11
	s_cselect_b32 s3, s3, s20
	s_delay_alu instid0(SALU_CYCLE_1) | instskip(SKIP_4) | instid1(SALU_CYCLE_1)
	s_cmp_lg_u32 s3, 0
	s_mov_b32 s3, s17
	s_cselect_b32 s11, s14, s25
	s_cselect_b32 s10, s9, s24
	s_xor_b64 s[12:13], s[12:13], 0
	s_xor_b64 s[10:11], s[10:11], s[12:13]
	s_delay_alu instid0(SALU_CYCLE_1)
	s_sub_nc_u64 s[20:21], s[10:11], s[12:13]
	s_and_not1_b32 vcc_lo, exec_lo, s3
	s_cbranch_vccnz .LBB58_3
.LBB58_2:
	v_cvt_f32_u32_e32 v1, s16
	s_sub_co_i32 s7, 0, s16
	s_mov_b32 s21, 0
	s_delay_alu instid0(VALU_DEP_1) | instskip(SKIP_1) | instid1(TRANS32_DEP_1)
	v_rcp_iflag_f32_e32 v1, v1
	v_nop
	v_mul_f32_e32 v1, 0x4f7ffffe, v1
	s_delay_alu instid0(VALU_DEP_1) | instskip(NEXT) | instid1(VALU_DEP_1)
	v_cvt_u32_f32_e32 v1, v1
	v_readfirstlane_b32 s3, v1
	s_mul_i32 s7, s7, s3
	s_delay_alu instid0(SALU_CYCLE_1) | instskip(NEXT) | instid1(SALU_CYCLE_1)
	s_mul_hi_u32 s7, s3, s7
	s_add_co_i32 s3, s3, s7
	s_delay_alu instid0(SALU_CYCLE_1) | instskip(NEXT) | instid1(SALU_CYCLE_1)
	s_mul_hi_u32 s3, s8, s3
	s_mul_i32 s7, s3, s16
	s_delay_alu instid0(SALU_CYCLE_1)
	s_sub_co_i32 s7, s8, s7
	s_add_co_i32 s8, s3, 1
	s_sub_co_i32 s9, s7, s16
	s_cmp_ge_u32 s7, s16
	s_cselect_b32 s3, s8, s3
	s_cselect_b32 s7, s9, s7
	s_add_co_i32 s8, s3, 1
	s_cmp_ge_u32 s7, s16
	s_cselect_b32 s20, s8, s3
.LBB58_3:
	s_add_co_i32 s8, s2, 1
	s_delay_alu instid0(SALU_CYCLE_1) | instskip(NEXT) | instid1(SALU_CYCLE_1)
	s_ashr_i32 s9, s8, 31
	s_mul_u64 s[8:9], s[18:19], s[8:9]
	s_delay_alu instid0(SALU_CYCLE_1) | instskip(NEXT) | instid1(SALU_CYCLE_1)
	s_and_b64 s[10:11], s[8:9], 0xffffffff00000000
	s_cmp_lg_u64 s[10:11], 0
	s_cbranch_scc0 .LBB58_22
; %bb.4:
	s_add_nc_u64 s[10:11], s[16:17], 0
	s_delay_alu instid0(SALU_CYCLE_1) | instskip(SKIP_4) | instid1(SALU_CYCLE_2)
	s_xor_b64 s[12:13], s[10:11], 0
	s_mov_b32 s11, 0
	s_cvt_f32_u32 s3, s12
	s_cvt_f32_u32 s7, s13
	s_sub_nc_u64 s[24:25], 0, s[12:13]
	s_fmamk_f32 s3, s7, 0x4f800000, s3
	s_delay_alu instid0(SALU_CYCLE_3) | instskip(NEXT) | instid1(TRANS32_DEP_1)
	v_s_rcp_f32 s3, s3
	s_mul_f32 s3, s3, 0x5f7ffffc
	s_delay_alu instid0(SALU_CYCLE_3) | instskip(NEXT) | instid1(SALU_CYCLE_3)
	s_mul_f32 s7, s3, 0x2f800000
	s_trunc_f32 s7, s7
	s_delay_alu instid0(SALU_CYCLE_3) | instskip(SKIP_1) | instid1(SALU_CYCLE_2)
	s_fmamk_f32 s3, s7, 0xcf800000, s3
	s_cvt_u32_f32 s23, s7
	s_cvt_u32_f32 s22, s3
	s_delay_alu instid0(SALU_CYCLE_3) | instskip(NEXT) | instid1(SALU_CYCLE_1)
	s_mul_u64 s[26:27], s[24:25], s[22:23]
	s_mul_hi_u32 s29, s22, s27
	s_mul_i32 s28, s22, s27
	s_mul_hi_u32 s10, s22, s26
	s_mul_i32 s7, s23, s26
	s_add_nc_u64 s[28:29], s[10:11], s[28:29]
	s_mul_hi_u32 s3, s23, s26
	s_mul_hi_u32 s14, s23, s27
	s_add_co_u32 s7, s28, s7
	s_add_co_ci_u32 s10, s29, s3
	s_mul_i32 s26, s23, s27
	s_add_co_ci_u32 s27, s14, 0
	s_delay_alu instid0(SALU_CYCLE_1) | instskip(NEXT) | instid1(SALU_CYCLE_1)
	s_add_nc_u64 s[26:27], s[10:11], s[26:27]
	s_add_co_u32 s22, s22, s26
	s_cselect_b32 s3, -1, 0
	s_delay_alu instid0(SALU_CYCLE_1) | instskip(SKIP_1) | instid1(SALU_CYCLE_1)
	s_cmp_lg_u32 s3, 0
	s_add_co_ci_u32 s23, s23, s27
	s_mul_u64 s[24:25], s[24:25], s[22:23]
	s_delay_alu instid0(SALU_CYCLE_1)
	s_mul_hi_u32 s27, s22, s25
	s_mul_i32 s26, s22, s25
	s_mul_hi_u32 s10, s22, s24
	s_mul_i32 s7, s23, s24
	s_add_nc_u64 s[26:27], s[10:11], s[26:27]
	s_mul_hi_u32 s3, s23, s24
	s_mul_hi_u32 s14, s23, s25
	s_add_co_u32 s7, s26, s7
	s_add_co_ci_u32 s10, s27, s3
	s_mul_i32 s24, s23, s25
	s_add_co_ci_u32 s25, s14, 0
	s_delay_alu instid0(SALU_CYCLE_1) | instskip(NEXT) | instid1(SALU_CYCLE_1)
	s_add_nc_u64 s[24:25], s[10:11], s[24:25]
	s_add_co_u32 s3, s22, s24
	s_cselect_b32 s7, -1, 0
	s_delay_alu instid0(SALU_CYCLE_1) | instskip(SKIP_2) | instid1(SALU_CYCLE_1)
	s_cmp_lg_u32 s7, 0
	s_add_co_ci_u32 s7, s23, s25
	s_ashr_i32 s22, s9, 31
	s_mov_b32 s23, s22
	s_delay_alu instid0(SALU_CYCLE_1) | instskip(NEXT) | instid1(SALU_CYCLE_1)
	s_add_nc_u64 s[24:25], s[8:9], s[22:23]
	s_xor_b64 s[24:25], s[24:25], s[22:23]
	s_delay_alu instid0(SALU_CYCLE_1)
	s_mul_hi_u32 s27, s24, s7
	s_mul_i32 s26, s24, s7
	s_mul_hi_u32 s10, s24, s3
	s_mul_hi_u32 s14, s25, s3
	s_mul_i32 s3, s25, s3
	s_add_nc_u64 s[26:27], s[10:11], s[26:27]
	s_mul_hi_u32 s9, s25, s7
	s_add_co_u32 s3, s26, s3
	s_add_co_ci_u32 s10, s27, s14
	s_mul_i32 s28, s25, s7
	s_add_co_ci_u32 s29, s9, 0
	s_delay_alu instid0(SALU_CYCLE_1) | instskip(NEXT) | instid1(SALU_CYCLE_1)
	s_add_nc_u64 s[26:27], s[10:11], s[28:29]
	s_and_b64 s[28:29], s[26:27], 0xffffffff00000000
	s_delay_alu instid0(SALU_CYCLE_1) | instskip(NEXT) | instid1(SALU_CYCLE_1)
	s_or_b32 s28, s28, s26
	s_mul_u64 s[26:27], s[12:13], s[28:29]
	s_add_nc_u64 s[30:31], s[28:29], 1
	s_sub_co_u32 s3, s24, s26
	s_cselect_b32 s7, -1, 0
	s_sub_co_i32 s9, s25, s27
	s_cmp_lg_u32 s7, 0
	s_add_nc_u64 s[34:35], s[28:29], 2
	s_sub_co_ci_u32 s9, s9, s13
	s_sub_co_u32 s10, s3, s12
	s_cselect_b32 s14, -1, 0
	s_delay_alu instid0(SALU_CYCLE_1) | instskip(SKIP_1) | instid1(SALU_CYCLE_1)
	s_cmp_lg_u32 s14, 0
	s_sub_co_ci_u32 s9, s9, 0
	s_cmp_ge_u32 s9, s13
	s_cselect_b32 s14, -1, 0
	s_cmp_ge_u32 s10, s12
	s_cselect_b32 s10, -1, 0
	s_cmp_eq_u32 s9, s13
	s_cselect_b32 s9, s10, s14
	s_delay_alu instid0(SALU_CYCLE_1) | instskip(SKIP_4) | instid1(SALU_CYCLE_1)
	s_cmp_lg_u32 s9, 0
	s_cselect_b32 s9, s34, s30
	s_cselect_b32 s10, s35, s31
	s_cmp_lg_u32 s7, 0
	s_sub_co_ci_u32 s7, s25, s27
	s_cmp_ge_u32 s7, s13
	s_cselect_b32 s14, -1, 0
	s_cmp_ge_u32 s3, s12
	s_cselect_b32 s3, -1, 0
	s_cmp_eq_u32 s7, s13
	s_cselect_b32 s3, s3, s14
	s_delay_alu instid0(SALU_CYCLE_1) | instskip(SKIP_3) | instid1(SALU_CYCLE_1)
	s_cmp_lg_u32 s3, 0
	s_cselect_b32 s13, s10, s29
	s_cselect_b32 s12, s9, s28
	s_xor_b64 s[22:23], s[22:23], 0
	s_xor_b64 s[12:13], s[12:13], s[22:23]
	s_delay_alu instid0(SALU_CYCLE_1)
	s_sub_nc_u64 s[24:25], s[12:13], s[22:23]
	s_load_b96 s[12:14], s[0:1], 0x44
	s_cbranch_execnz .LBB58_6
.LBB58_5:
	v_cvt_f32_u32_e32 v1, s16
	s_sub_co_i32 s7, 0, s16
	s_delay_alu instid0(VALU_DEP_1) | instskip(SKIP_1) | instid1(TRANS32_DEP_1)
	v_rcp_iflag_f32_e32 v1, v1
	v_nop
	v_mul_f32_e32 v1, 0x4f7ffffe, v1
	s_delay_alu instid0(VALU_DEP_1) | instskip(NEXT) | instid1(VALU_DEP_1)
	v_cvt_u32_f32_e32 v1, v1
	v_readfirstlane_b32 s3, v1
	s_mul_i32 s7, s7, s3
	s_delay_alu instid0(SALU_CYCLE_1) | instskip(NEXT) | instid1(SALU_CYCLE_1)
	s_mul_hi_u32 s7, s3, s7
	s_add_co_i32 s3, s3, s7
	s_delay_alu instid0(SALU_CYCLE_1) | instskip(NEXT) | instid1(SALU_CYCLE_1)
	s_mul_hi_u32 s3, s8, s3
	s_mul_i32 s7, s3, s16
	s_delay_alu instid0(SALU_CYCLE_1)
	s_sub_co_i32 s7, s8, s7
	s_add_co_i32 s8, s3, 1
	s_sub_co_i32 s9, s7, s16
	s_cmp_ge_u32 s7, s16
	s_cselect_b32 s3, s8, s3
	s_cselect_b32 s7, s9, s7
	s_add_co_i32 s8, s3, 1
	s_cmp_ge_u32 s7, s16
	s_cselect_b32 s24, s8, s3
.LBB58_6:
	s_delay_alu instid0(SALU_CYCLE_1)
	s_cmp_eq_u32 s20, s24
	s_mov_b64 s[8:9], 0xffffffff
	s_cselect_b32 s3, -1, 0
	s_and_b64 s[8:9], s[20:21], s[8:9]
	s_mov_b32 s23, 0
	s_wait_kmcnt 0x0
	s_mov_b32 s22, s12
	s_mov_b32 s25, s23
	s_mul_u64 s[10:11], s[8:9], s[22:23]
	s_delay_alu instid0(SALU_CYCLE_1) | instskip(SKIP_2) | instid1(SALU_CYCLE_1)
	s_add_co_i32 s7, s11, s20
	s_mul_u64 s[10:11], s[24:25], s[22:23]
	s_lshr_b32 s12, s7, s13
	s_mul_i32 s7, s12, s14
	s_delay_alu instid0(SALU_CYCLE_1) | instskip(SKIP_2) | instid1(SALU_CYCLE_1)
	s_cmp_eq_u32 s7, s20
	s_cselect_b32 s7, -1, 0
	s_add_co_i32 s10, s11, s24
	s_lshr_b32 s10, s10, s13
	s_delay_alu instid0(SALU_CYCLE_1)
	s_cmp_eq_u32 s12, s10
	s_mul_i32 s10, s10, s14
	s_cselect_b32 s11, -1, 0
	s_cmp_lg_u32 s10, s24
	s_cselect_b32 s10, -1, 0
	s_or_b32 s3, s3, s7
	s_and_b32 s10, s11, s10
	s_delay_alu instid0(SALU_CYCLE_1) | instskip(NEXT) | instid1(SALU_CYCLE_1)
	s_or_b32 s3, s3, s10
	s_and_b32 vcc_lo, exec_lo, s3
	s_cbranch_vccnz .LBB58_24
; %bb.7:
	s_load_b256 s[24:31], s[0:1], 0x20
	s_bfe_u32 s7, ttmp6, 0x40014
	s_bfe_u32 s33, ttmp6, 0x40010
	s_lshr_b32 s3, ttmp7, 16
	s_add_co_i32 s7, s7, 1
	s_and_b32 s21, ttmp7, 0xffff
	s_add_co_i32 s33, s33, 1
	s_bfe_u32 s10, ttmp6, 0x40008
	s_mul_i32 s7, s3, s7
	s_bfe_u32 s34, ttmp6, 0x40004
	s_mul_i32 s33, s21, s33
	s_mov_b32 s11, s23
	s_add_co_i32 s7, s10, s7
	s_add_co_i32 s34, s34, s33
	s_cmp_eq_u32 s15, 0
	s_cselect_b32 s15, s21, s34
	s_cselect_b32 s3, s3, s7
	s_wait_kmcnt 0x0
	s_mov_b32 s10, s24
	s_delay_alu instid0(SALU_CYCLE_1) | instskip(SKIP_2) | instid1(SALU_CYCLE_1)
	s_mul_u64 s[8:9], s[8:9], s[10:11]
	s_load_b32 s8, s[0:1], 0x40
	s_add_co_i32 s7, s9, s20
	s_lshr_b32 s7, s7, s25
	s_delay_alu instid0(SALU_CYCLE_1) | instskip(NEXT) | instid1(SALU_CYCLE_1)
	s_mul_i32 s9, s7, s26
	s_sub_co_i32 s9, s20, s9
	s_delay_alu instid0(SALU_CYCLE_1) | instskip(NEXT) | instid1(SALU_CYCLE_1)
	s_mul_hi_u32 s10, s9, s27
	s_add_co_i32 s10, s9, s10
	s_delay_alu instid0(SALU_CYCLE_1) | instskip(NEXT) | instid1(SALU_CYCLE_1)
	s_lshr_b32 s21, s10, s28
	s_mul_i32 s10, s21, s29
	s_delay_alu instid0(SALU_CYCLE_1) | instskip(NEXT) | instid1(SALU_CYCLE_1)
	s_sub_co_i32 s10, s9, s10
	s_mul_hi_u32 s9, s10, s30
	s_delay_alu instid0(SALU_CYCLE_1) | instskip(NEXT) | instid1(SALU_CYCLE_1)
	s_add_co_i32 s9, s10, s9
	s_lshr_b32 s24, s9, s31
	s_mov_b32 s9, s23
	s_wait_kmcnt 0x0
	s_mul_i32 s8, s24, s8
	s_delay_alu instid0(SALU_CYCLE_1) | instskip(NEXT) | instid1(SALU_CYCLE_1)
	s_sub_co_i32 s8, s10, s8
	s_mul_u64 s[10:11], s[8:9], s[22:23]
	s_delay_alu instid0(SALU_CYCLE_1) | instskip(NEXT) | instid1(SALU_CYCLE_1)
	s_add_co_i32 s8, s8, s11
	s_lshr_b32 s25, s8, s13
	s_delay_alu instid0(SALU_CYCLE_1) | instskip(NEXT) | instid1(SALU_CYCLE_1)
	s_lshl_b32 s8, s25, 5
	s_add_co_i32 s8, s8, s15
	s_delay_alu instid0(SALU_CYCLE_1) | instskip(SKIP_2) | instid1(SALU_CYCLE_1)
	s_cmp_lt_i32 s8, s4
	s_cselect_b32 s8, -1, 0
	s_add_co_i32 s9, s24, s3
	s_cmp_lt_i32 s9, s6
	s_cselect_b32 s9, -1, 0
	s_delay_alu instid0(SALU_CYCLE_1) | instskip(NEXT) | instid1(SALU_CYCLE_1)
	s_and_b32 s8, s8, s9
	s_and_not1_b32 vcc_lo, exec_lo, s8
	s_cbranch_vccnz .LBB58_24
; %bb.8:
	s_mul_i32 s4, s7, s4
	s_load_b128 s[8:11], s[0:1], 0x0
	s_wait_xcnt 0x0
	s_add_co_i32 s0, s4, s15
	s_mul_i32 s21, s21, s6
	s_mul_i32 s0, s0, s5
	s_mul_i32 s1, s5, s25
	s_add_co_i32 s0, s0, s3
	s_lshl_b32 s1, s1, 12
	s_add_co_i32 s0, s0, s21
	s_add_co_i32 s15, s15, s3
	;; [unrolled: 1-line block ×3, first 2 shown]
	v_lshl_or_b32 v6, s15, 7, v0
	s_lshl_b32 s0, s0, 7
	v_cvt_f32_u32_e32 v4, s16
	s_add_co_i32 s1, s1, s0
	s_lshl_b32 s24, s16, 7
	v_or_b32_e32 v2, s1, v0
	s_add_nc_u64 s[0:1], s[16:17], 0
	v_rcp_iflag_f32_e32 v4, v4
	s_xor_b64 s[6:7], s[0:1], 0
	s_lshl_b32 s0, s2, 5
	s_cvt_f32_u32 s3, s6
	s_add_co_i32 s0, s0, s15
	s_cvt_f32_u32 s4, s7
	s_ashr_i32 s1, s0, 31
	s_mov_b32 s25, 0
	s_lshl_b64 s[0:1], s[0:1], 3
	s_fmamk_f32 s3, s4, 0x4f800000, s3
	s_wait_kmcnt 0x0
	s_add_nc_u64 s[0:1], s[10:11], s[0:1]
	s_add_co_i32 s36, s2, -1
	s_load_b64 s[28:29], s[0:1], 0x0
	v_s_rcp_f32 s3, s3
	s_wait_xcnt 0x0
	s_lshl_b64 s[0:1], s[24:25], 2
	s_sub_nc_u64 s[34:35], 0, s[6:7]
	s_add_nc_u64 s[26:27], s[10:11], s[0:1]
	v_mul_f32_e32 v4, 0x4f7ffffe, v4
	s_delay_alu instid0(TRANS32_DEP_1) | instskip(NEXT) | instid1(VALU_DEP_1)
	s_mul_f32 s3, s3, 0x5f7ffffc
	v_cvt_u32_f32_e32 v7, v4
	s_delay_alu instid0(SALU_CYCLE_2) | instskip(NEXT) | instid1(SALU_CYCLE_3)
	s_mul_f32 s4, s3, 0x2f800000
	s_trunc_f32 s4, s4
	s_wait_kmcnt 0x0
	v_mov_b32_e32 v0, s29
	global_load_b32 v1, v2, s[8:9] scale_offset
	v_ashrrev_i32_e32 v3, 31, v2
	s_fmamk_f32 s0, s4, 0xcf800000, s3
	s_cvt_u32_f32 s31, s4
	s_wait_xcnt 0x0
	s_delay_alu instid0(VALU_DEP_1)
	v_lshl_add_u64 v[2:3], v[2:3], 2, s[8:9]
	s_cvt_u32_f32 s30, s0
	s_mov_b64 s[8:9], 0xffffffff
.LBB58_9:                               ; =>This Inner Loop Header: Depth=1
	s_ashr_i32 s37, s36, 31
                                        ; implicit-def: $sgpr40_sgpr41
	s_delay_alu instid0(SALU_CYCLE_1) | instskip(NEXT) | instid1(SALU_CYCLE_1)
	s_mul_u64 s[0:1], s[36:37], s[18:19]
	s_and_b64 s[2:3], s[0:1], 0xffffffff00000000
	s_delay_alu instid0(SALU_CYCLE_1)
	s_cmp_lg_u64 s[2:3], 0
	s_mov_b32 s2, -1
	s_cbranch_scc0 .LBB58_11
; %bb.10:                               ;   in Loop: Header=BB58_9 Depth=1
	s_mul_u64 s[2:3], s[34:35], s[30:31]
	s_delay_alu instid0(SALU_CYCLE_1)
	s_mul_hi_u32 s5, s30, s3
	s_mul_i32 s4, s30, s3
	s_mul_hi_u32 s24, s30, s2
	s_mul_hi_u32 s17, s31, s2
	s_add_nc_u64 s[4:5], s[24:25], s[4:5]
	s_mul_i32 s2, s31, s2
	s_mul_hi_u32 s21, s31, s3
	s_add_co_u32 s2, s4, s2
	s_add_co_ci_u32 s24, s5, s17
	s_add_co_ci_u32 s5, s21, 0
	s_mul_i32 s4, s31, s3
	s_delay_alu instid0(SALU_CYCLE_1) | instskip(NEXT) | instid1(SALU_CYCLE_1)
	s_add_nc_u64 s[2:3], s[24:25], s[4:5]
	s_add_co_u32 s2, s30, s2
	s_cselect_b32 s4, -1, 0
	s_delay_alu instid0(SALU_CYCLE_1) | instskip(SKIP_1) | instid1(SALU_CYCLE_1)
	s_cmp_lg_u32 s4, 0
	s_add_co_ci_u32 s3, s31, s3
	s_mul_u64 s[4:5], s[34:35], s[2:3]
	s_delay_alu instid0(SALU_CYCLE_1)
	s_mul_hi_u32 s39, s2, s5
	s_mul_i32 s38, s2, s5
	s_mul_hi_u32 s24, s2, s4
	s_mul_hi_u32 s17, s3, s4
	s_mul_i32 s4, s3, s4
	s_add_nc_u64 s[38:39], s[24:25], s[38:39]
	s_mul_hi_u32 s21, s3, s5
	s_add_co_u32 s4, s38, s4
	s_add_co_ci_u32 s24, s39, s17
	s_mul_i32 s4, s3, s5
	s_add_co_ci_u32 s5, s21, 0
	s_delay_alu instid0(SALU_CYCLE_1) | instskip(NEXT) | instid1(SALU_CYCLE_1)
	s_add_nc_u64 s[4:5], s[24:25], s[4:5]
	s_add_co_u32 s17, s2, s4
	s_cselect_b32 s2, -1, 0
	s_delay_alu instid0(SALU_CYCLE_1) | instskip(SKIP_2) | instid1(SALU_CYCLE_1)
	s_cmp_lg_u32 s2, 0
	s_add_co_ci_u32 s21, s3, s5
	s_ashr_i32 s2, s1, 31
	s_mov_b32 s3, s2
	s_delay_alu instid0(SALU_CYCLE_1) | instskip(NEXT) | instid1(SALU_CYCLE_1)
	s_add_nc_u64 s[4:5], s[0:1], s[2:3]
	s_xor_b64 s[4:5], s[4:5], s[2:3]
	s_delay_alu instid0(SALU_CYCLE_1)
	s_mul_hi_u32 s39, s4, s21
	s_mul_i32 s38, s4, s21
	s_mul_hi_u32 s24, s4, s17
	s_mul_hi_u32 s29, s5, s17
	s_mul_i32 s17, s5, s17
	s_add_nc_u64 s[38:39], s[24:25], s[38:39]
	s_mul_hi_u32 s1, s5, s21
	s_add_co_u32 s17, s38, s17
	s_add_co_ci_u32 s24, s39, s29
	s_mul_i32 s40, s5, s21
	s_add_co_ci_u32 s41, s1, 0
	s_delay_alu instid0(SALU_CYCLE_1) | instskip(NEXT) | instid1(SALU_CYCLE_1)
	s_add_nc_u64 s[38:39], s[24:25], s[40:41]
	s_and_b64 s[40:41], s[38:39], 0xffffffff00000000
	s_delay_alu instid0(SALU_CYCLE_1) | instskip(NEXT) | instid1(SALU_CYCLE_1)
	s_or_b32 s40, s40, s38
	s_mul_u64 s[38:39], s[6:7], s[40:41]
	s_add_nc_u64 s[42:43], s[40:41], 1
	s_sub_co_u32 s1, s4, s38
	s_cselect_b32 s4, -1, 0
	s_sub_co_i32 s17, s5, s39
	s_cmp_lg_u32 s4, 0
	s_add_nc_u64 s[44:45], s[40:41], 2
	s_sub_co_ci_u32 s17, s17, s7
	s_sub_co_u32 s21, s1, s6
	s_cselect_b32 s24, -1, 0
	s_delay_alu instid0(SALU_CYCLE_1) | instskip(SKIP_1) | instid1(SALU_CYCLE_1)
	s_cmp_lg_u32 s24, 0
	s_sub_co_ci_u32 s17, s17, 0
	s_cmp_ge_u32 s17, s7
	s_cselect_b32 s24, -1, 0
	s_cmp_ge_u32 s21, s6
	s_cselect_b32 s21, -1, 0
	s_cmp_eq_u32 s17, s7
	s_cselect_b32 s17, s21, s24
	s_delay_alu instid0(SALU_CYCLE_1) | instskip(SKIP_4) | instid1(SALU_CYCLE_1)
	s_cmp_lg_u32 s17, 0
	s_cselect_b32 s17, s44, s42
	s_cselect_b32 s21, s45, s43
	s_cmp_lg_u32 s4, 0
	s_sub_co_ci_u32 s4, s5, s39
	s_cmp_ge_u32 s4, s7
	s_cselect_b32 s5, -1, 0
	s_cmp_ge_u32 s1, s6
	s_cselect_b32 s1, -1, 0
	s_cmp_eq_u32 s4, s7
	s_cselect_b32 s1, s1, s5
	s_delay_alu instid0(SALU_CYCLE_1) | instskip(SKIP_3) | instid1(SALU_CYCLE_1)
	s_cmp_lg_u32 s1, 0
	s_cselect_b32 s5, s21, s41
	s_cselect_b32 s4, s17, s40
	s_xor_b64 s[2:3], s[2:3], 0
	s_xor_b64 s[4:5], s[4:5], s[2:3]
	s_delay_alu instid0(SALU_CYCLE_1)
	s_sub_nc_u64 s[40:41], s[4:5], s[2:3]
	s_mov_b32 s2, 0
.LBB58_11:                              ;   in Loop: Header=BB58_9 Depth=1
	s_delay_alu instid0(SALU_CYCLE_1)
	s_and_not1_b32 vcc_lo, exec_lo, s2
	s_cbranch_vccnz .LBB58_13
; %bb.12:                               ;   in Loop: Header=BB58_9 Depth=1
	v_readfirstlane_b32 s1, v7
	s_sub_co_i32 s2, 0, s16
	s_delay_alu instid0(SALU_CYCLE_1) | instskip(NEXT) | instid1(SALU_CYCLE_1)
	s_mul_i32 s2, s2, s1
	s_mul_hi_u32 s2, s1, s2
	s_delay_alu instid0(SALU_CYCLE_1) | instskip(NEXT) | instid1(SALU_CYCLE_1)
	s_add_co_i32 s1, s1, s2
	s_mul_hi_u32 s1, s0, s1
	s_delay_alu instid0(SALU_CYCLE_1) | instskip(NEXT) | instid1(SALU_CYCLE_1)
	s_mul_i32 s2, s1, s16
	s_sub_co_i32 s0, s0, s2
	s_add_co_i32 s2, s1, 1
	s_sub_co_i32 s3, s0, s16
	s_cmp_ge_u32 s0, s16
	s_cselect_b32 s1, s2, s1
	s_cselect_b32 s0, s3, s0
	s_add_co_i32 s2, s1, 1
	s_cmp_ge_u32 s0, s16
	s_cselect_b32 s24, s2, s1
	s_delay_alu instid0(SALU_CYCLE_1)
	s_mov_b64 s[40:41], s[24:25]
.LBB58_13:                              ;   in Loop: Header=BB58_9 Depth=1
	s_delay_alu instid0(SALU_CYCLE_1)
	s_cmp_lg_u32 s20, s40
	s_mov_b32 s0, -1
                                        ; implicit-def: $vgpr4_vgpr5
                                        ; implicit-def: $sgpr24
                                        ; implicit-def: $sgpr17
                                        ; implicit-def: $sgpr21
                                        ; implicit-def: $sgpr29
	s_cbranch_scc0 .LBB58_18
; %bb.14:                               ;   in Loop: Header=BB58_9 Depth=1
	s_add_co_i32 s0, s36, s16
	v_max_num_f32_e64 v4, s28, s28
	s_lshl_b32 s0, s0, 5
	s_mov_b32 s29, s20
	s_add_co_i32 s0, s0, s15
	s_load_b64 s[38:39], s[10:11], s0 offset:0x0 scale_offset
	s_wait_xcnt 0x0
	v_readfirstlane_b32 s0, v4
	s_wait_kmcnt 0x0
	v_max_num_f32_e64 v5, s38, s38
	s_delay_alu instid0(VALU_DEP_1) | instskip(SKIP_1) | instid1(SALU_CYCLE_3)
	v_readfirstlane_b32 s1, v5
	s_max_num_f32 s17, s0, s1
	s_sub_f32 s33, s28, s17
	s_sub_f32 s37, s38, s17
	s_delay_alu instid0(SALU_CYCLE_2)
	s_cmp_nlt_f32 s33, 0xc2ce8ed0
	s_cselect_b32 s1, -1, 0
	s_cmp_ngt_f32 s33, 0x42b17218
	s_cselect_b32 s2, -1, 0
	s_cmp_ge_f32 s33, 0xc1a00000
	s_cselect_b32 s0, -1, 0
	s_cmp_nlt_f32 s37, 0xc2ce8ed0
	s_cselect_b32 s3, -1, 0
	s_cmp_ngt_f32 s37, 0x42b17218
	s_cselect_b32 s4, -1, 0
	s_cmp_ge_f32 s37, 0xc1a00000
	s_cselect_b32 s5, -1, 0
	s_and_b64 s[42:43], s[40:41], s[8:9]
	s_delay_alu instid0(SALU_CYCLE_1) | instskip(NEXT) | instid1(SALU_CYCLE_1)
	s_mul_u64 s[42:43], s[42:43], s[22:23]
	s_add_co_i32 s21, s43, s40
	s_delay_alu instid0(SALU_CYCLE_1) | instskip(NEXT) | instid1(SALU_CYCLE_1)
	s_lshr_b32 s21, s21, s13
	s_mul_i32 s24, s21, s14
	s_delay_alu instid0(SALU_CYCLE_1) | instskip(SKIP_3) | instid1(SALU_CYCLE_1)
	s_cmp_eq_u32 s24, s40
	s_cselect_b32 s24, -1, 0
	s_cmp_lt_u32 s21, s12
	s_cselect_b32 s21, -1, 0
	s_or_b32 s21, s21, s24
	s_mov_b32 s24, -1
	s_and_b32 vcc_lo, exec_lo, s21
	s_mov_b32 s21, s36
	s_cbranch_vccnz .LBB58_16
; %bb.15:                               ;   in Loop: Header=BB58_9 Depth=1
	s_add_co_i32 s21, s36, -1
	s_mov_b32 s24, 0
	s_mov_b32 s29, s40
.LBB58_16:                              ;   in Loop: Header=BB58_9 Depth=1
	v_lshl_add_u32 v4, s36, 12, v6
	s_mul_f32 s40, s33, 0x3fb8aa3b
	s_mul_f32 s38, s37, 0x3fb8aa3b
	s_delay_alu instid0(SALU_CYCLE_2)
	s_xor_b32 s42, s40, 0x80000000
	global_load_b32 v5, v4, s[26:27] scale_offset
	s_fmamk_f32 s42, s33, 0x3fb8aa3b, s42
	s_rndne_f32 s44, s40
	s_xor_b32 s41, s38, 0x80000000
	s_rndne_f32 s43, s38
	s_fmamk_f32 s33, s33, 0x32a5705f, s42
	s_sub_f32 s40, s40, s44
	s_fmamk_f32 s41, s37, 0x3fb8aa3b, s41
	s_sub_f32 s38, s38, s43
	s_delay_alu instid0(SALU_CYCLE_1) | instskip(NEXT) | instid1(SALU_CYCLE_1)
	s_add_f32 s33, s40, s33
	s_fmamk_f32 s37, s37, 0x32a5705f, s41
	s_cvt_i32_f32 s40, s44
	s_delay_alu instid0(SALU_CYCLE_1) | instskip(NEXT) | instid1(SALU_CYCLE_1)
	v_s_exp_f32 s33, s33
	s_add_f32 s37, s38, s37
	s_cvt_i32_f32 s38, s43
	s_delay_alu instid0(SALU_CYCLE_2) | instskip(NEXT) | instid1(TRANS32_DEP_2)
	v_s_exp_f32 s37, s37
	v_ldexp_f32 v8, s33, s40
	s_wait_xcnt 0x0
	s_delay_alu instid0(TRANS32_DEP_1) | instskip(NEXT) | instid1(VALU_DEP_2)
	v_ldexp_f32 v4, s37, s38
	v_cndmask_b32_e64 v8, 0, v8, s1
	s_delay_alu instid0(VALU_DEP_1) | instskip(NEXT) | instid1(VALU_DEP_1)
	v_cndmask_b32_e64 v9, 0x7f800000, v8, s2
	v_dual_cndmask_b32 v4, 0, v4, s3 :: v_dual_cndmask_b32 v10, 0, v9, s0
	s_delay_alu instid0(VALU_DEP_1) | instskip(NEXT) | instid1(VALU_DEP_1)
	v_cndmask_b32_e64 v4, 0x7f800000, v4, s4
	v_dual_cndmask_b32 v8, 0, v4, s5 :: v_dual_mov_b32 v4, s39
	s_wait_loadcnt 0x0
	s_delay_alu instid0(VALU_DEP_1) | instskip(NEXT) | instid1(VALU_DEP_1)
	v_pk_mul_f32 v[4:5], v[4:5], v[8:9] op_sel_hi:[1,0]
	v_pk_fma_f32 v[4:5], v[0:1], v[10:11], v[4:5] op_sel_hi:[1,0,1]
	s_cbranch_execz .LBB58_19
.LBB58_17:                              ;   in Loop: Header=BB58_9 Depth=1
	s_and_not1_b32 vcc_lo, exec_lo, s24
	s_cbranch_vccnz .LBB58_20
	s_branch .LBB58_23
.LBB58_18:                              ;   in Loop: Header=BB58_9 Depth=1
	s_and_not1_b32 vcc_lo, exec_lo, s0
	s_cbranch_vccnz .LBB58_17
.LBB58_19:                              ;   in Loop: Header=BB58_9 Depth=1
	s_wait_loadcnt 0x0
	v_mov_b64_e32 v[4:5], v[0:1]
	s_add_co_i32 s21, s36, -1
	s_mov_b32 s29, s20
	s_mov_b32 s17, s28
	s_cbranch_execz .LBB58_23
.LBB58_20:                              ;   in Loop: Header=BB58_9 Depth=1
	s_wait_loadcnt 0x0
	s_delay_alu instid0(VALU_DEP_1)
	v_mov_b64_e32 v[0:1], v[4:5]
	s_mov_b32 s20, s29
	s_mov_b32 s36, s21
	;; [unrolled: 1-line block ×3, first 2 shown]
	s_branch .LBB58_9
.LBB58_21:
                                        ; implicit-def: $sgpr20_sgpr21
	s_branch .LBB58_2
.LBB58_22:
                                        ; implicit-def: $sgpr24_sgpr25
	s_load_b96 s[12:14], s[0:1], 0x44
	s_branch .LBB58_5
.LBB58_23:
	s_delay_alu instid0(VALU_DEP_1) | instskip(SKIP_1) | instid1(VALU_DEP_1)
	v_div_scale_f32 v0, null, v4, v4, v5
	s_wait_loadcnt 0x0
	v_rcp_f32_e32 v1, v0
	v_nop
	s_delay_alu instid0(TRANS32_DEP_1) | instskip(NEXT) | instid1(VALU_DEP_1)
	v_fma_f32 v6, -v0, v1, 1.0
	v_fmac_f32_e32 v1, v6, v1
	v_div_scale_f32 v6, vcc_lo, v5, v4, v5
	s_delay_alu instid0(VALU_DEP_1) | instskip(NEXT) | instid1(VALU_DEP_1)
	v_mul_f32_e32 v7, v6, v1
	v_fma_f32 v8, -v0, v7, v6
	s_delay_alu instid0(VALU_DEP_1) | instskip(NEXT) | instid1(VALU_DEP_1)
	v_fmac_f32_e32 v7, v8, v1
	v_fma_f32 v0, -v0, v7, v6
	s_delay_alu instid0(VALU_DEP_1) | instskip(NEXT) | instid1(VALU_DEP_1)
	v_div_fmas_f32 v0, v0, v1, v7
	v_div_fixup_f32 v0, v0, v4, v5
	global_store_b32 v[2:3], v0, off
.LBB58_24:
	s_endpgm
	.section	.rodata,"a",@progbits
	.p2align	6, 0x0
	.amdhsa_kernel _ZL33flash_attn_stream_k_fixup_generalILi128ELi32ELi1EEvPfPK15HIP_vector_typeIfLj2EEiiiiS1_IjLj3EES5_S5_S5_
		.amdhsa_group_segment_fixed_size 0
		.amdhsa_private_segment_fixed_size 0
		.amdhsa_kernarg_size 336
		.amdhsa_user_sgpr_count 2
		.amdhsa_user_sgpr_dispatch_ptr 0
		.amdhsa_user_sgpr_queue_ptr 0
		.amdhsa_user_sgpr_kernarg_segment_ptr 1
		.amdhsa_user_sgpr_dispatch_id 0
		.amdhsa_user_sgpr_kernarg_preload_length 0
		.amdhsa_user_sgpr_kernarg_preload_offset 0
		.amdhsa_user_sgpr_private_segment_size 0
		.amdhsa_wavefront_size32 1
		.amdhsa_uses_dynamic_stack 0
		.amdhsa_enable_private_segment 0
		.amdhsa_system_sgpr_workgroup_id_x 1
		.amdhsa_system_sgpr_workgroup_id_y 1
		.amdhsa_system_sgpr_workgroup_id_z 1
		.amdhsa_system_sgpr_workgroup_info 0
		.amdhsa_system_vgpr_workitem_id 0
		.amdhsa_next_free_vgpr 12
		.amdhsa_next_free_sgpr 46
		.amdhsa_named_barrier_count 0
		.amdhsa_reserve_vcc 1
		.amdhsa_float_round_mode_32 0
		.amdhsa_float_round_mode_16_64 0
		.amdhsa_float_denorm_mode_32 3
		.amdhsa_float_denorm_mode_16_64 3
		.amdhsa_fp16_overflow 0
		.amdhsa_memory_ordered 1
		.amdhsa_forward_progress 1
		.amdhsa_inst_pref_size 27
		.amdhsa_round_robin_scheduling 0
		.amdhsa_exception_fp_ieee_invalid_op 0
		.amdhsa_exception_fp_denorm_src 0
		.amdhsa_exception_fp_ieee_div_zero 0
		.amdhsa_exception_fp_ieee_overflow 0
		.amdhsa_exception_fp_ieee_underflow 0
		.amdhsa_exception_fp_ieee_inexact 0
		.amdhsa_exception_int_div_zero 0
	.end_amdhsa_kernel
	.section	.text._ZL33flash_attn_stream_k_fixup_generalILi128ELi32ELi1EEvPfPK15HIP_vector_typeIfLj2EEiiiiS1_IjLj3EES5_S5_S5_,"axG",@progbits,_ZL33flash_attn_stream_k_fixup_generalILi128ELi32ELi1EEvPfPK15HIP_vector_typeIfLj2EEiiiiS1_IjLj3EES5_S5_S5_,comdat
.Lfunc_end58:
	.size	_ZL33flash_attn_stream_k_fixup_generalILi128ELi32ELi1EEvPfPK15HIP_vector_typeIfLj2EEiiiiS1_IjLj3EES5_S5_S5_, .Lfunc_end58-_ZL33flash_attn_stream_k_fixup_generalILi128ELi32ELi1EEvPfPK15HIP_vector_typeIfLj2EEiiiiS1_IjLj3EES5_S5_S5_
                                        ; -- End function
	.set _ZL33flash_attn_stream_k_fixup_generalILi128ELi32ELi1EEvPfPK15HIP_vector_typeIfLj2EEiiiiS1_IjLj3EES5_S5_S5_.num_vgpr, 12
	.set _ZL33flash_attn_stream_k_fixup_generalILi128ELi32ELi1EEvPfPK15HIP_vector_typeIfLj2EEiiiiS1_IjLj3EES5_S5_S5_.num_agpr, 0
	.set _ZL33flash_attn_stream_k_fixup_generalILi128ELi32ELi1EEvPfPK15HIP_vector_typeIfLj2EEiiiiS1_IjLj3EES5_S5_S5_.numbered_sgpr, 46
	.set _ZL33flash_attn_stream_k_fixup_generalILi128ELi32ELi1EEvPfPK15HIP_vector_typeIfLj2EEiiiiS1_IjLj3EES5_S5_S5_.num_named_barrier, 0
	.set _ZL33flash_attn_stream_k_fixup_generalILi128ELi32ELi1EEvPfPK15HIP_vector_typeIfLj2EEiiiiS1_IjLj3EES5_S5_S5_.private_seg_size, 0
	.set _ZL33flash_attn_stream_k_fixup_generalILi128ELi32ELi1EEvPfPK15HIP_vector_typeIfLj2EEiiiiS1_IjLj3EES5_S5_S5_.uses_vcc, 1
	.set _ZL33flash_attn_stream_k_fixup_generalILi128ELi32ELi1EEvPfPK15HIP_vector_typeIfLj2EEiiiiS1_IjLj3EES5_S5_S5_.uses_flat_scratch, 0
	.set _ZL33flash_attn_stream_k_fixup_generalILi128ELi32ELi1EEvPfPK15HIP_vector_typeIfLj2EEiiiiS1_IjLj3EES5_S5_S5_.has_dyn_sized_stack, 0
	.set _ZL33flash_attn_stream_k_fixup_generalILi128ELi32ELi1EEvPfPK15HIP_vector_typeIfLj2EEiiiiS1_IjLj3EES5_S5_S5_.has_recursion, 0
	.set _ZL33flash_attn_stream_k_fixup_generalILi128ELi32ELi1EEvPfPK15HIP_vector_typeIfLj2EEiiiiS1_IjLj3EES5_S5_S5_.has_indirect_call, 0
	.section	.AMDGPU.csdata,"",@progbits
; Kernel info:
; codeLenInByte = 3352
; TotalNumSgprs: 48
; NumVgprs: 12
; ScratchSize: 0
; MemoryBound: 0
; FloatMode: 240
; IeeeMode: 1
; LDSByteSize: 0 bytes/workgroup (compile time only)
; SGPRBlocks: 0
; VGPRBlocks: 0
; NumSGPRsForWavesPerEU: 48
; NumVGPRsForWavesPerEU: 12
; NamedBarCnt: 0
; Occupancy: 16
; WaveLimiterHint : 0
; COMPUTE_PGM_RSRC2:SCRATCH_EN: 0
; COMPUTE_PGM_RSRC2:USER_SGPR: 2
; COMPUTE_PGM_RSRC2:TRAP_HANDLER: 0
; COMPUTE_PGM_RSRC2:TGID_X_EN: 1
; COMPUTE_PGM_RSRC2:TGID_Y_EN: 1
; COMPUTE_PGM_RSRC2:TGID_Z_EN: 1
; COMPUTE_PGM_RSRC2:TIDIG_COMP_CNT: 0
	.section	.text._ZL15flash_attn_tileILi128ELi128ELi16ELi1ELb0EEvPKcS1_S1_S1_S1_PKiPfP15HIP_vector_typeIfLj2EEffffjfiS5_IjLj3EEiiiiiiiiiiiliiliiiiil,"axG",@progbits,_ZL15flash_attn_tileILi128ELi128ELi16ELi1ELb0EEvPKcS1_S1_S1_S1_PKiPfP15HIP_vector_typeIfLj2EEffffjfiS5_IjLj3EEiiiiiiiiiiiliiliiiiil,comdat
	.globl	_ZL15flash_attn_tileILi128ELi128ELi16ELi1ELb0EEvPKcS1_S1_S1_S1_PKiPfP15HIP_vector_typeIfLj2EEffffjfiS5_IjLj3EEiiiiiiiiiiiliiliiiiil ; -- Begin function _ZL15flash_attn_tileILi128ELi128ELi16ELi1ELb0EEvPKcS1_S1_S1_S1_PKiPfP15HIP_vector_typeIfLj2EEffffjfiS5_IjLj3EEiiiiiiiiiiiliiliiiiil
	.p2align	8
	.type	_ZL15flash_attn_tileILi128ELi128ELi16ELi1ELb0EEvPKcS1_S1_S1_S1_PKiPfP15HIP_vector_typeIfLj2EEffffjfiS5_IjLj3EEiiiiiiiiiiiliiliiiiil,@function
_ZL15flash_attn_tileILi128ELi128ELi16ELi1ELb0EEvPKcS1_S1_S1_S1_PKiPfP15HIP_vector_typeIfLj2EEffffjfiS5_IjLj3EEiiiiiiiiiiiliiliiiiil: ; @_ZL15flash_attn_tileILi128ELi128ELi16ELi1ELb0EEvPKcS1_S1_S1_S1_PKiPfP15HIP_vector_typeIfLj2EEffffjfiS5_IjLj3EEiiiiiiiiiiiliiliiiiil
; %bb.0:
	s_clause 0x1
	s_load_b128 s[36:39], s[0:1], 0x5c
	s_load_b64 s[2:3], s[0:1], 0x80
	s_bfe_u32 s6, ttmp6, 0x40014
	s_lshr_b32 s5, ttmp7, 16
	s_add_co_i32 s6, s6, 1
	s_bfe_u32 s7, ttmp6, 0x40008
	s_mul_i32 s6, s5, s6
	s_getreg_b32 s41, hwreg(HW_REG_IB_STS2, 6, 4)
	s_add_co_i32 s7, s7, s6
	s_clause 0x1
	s_load_b512 s[16:31], s[0:1], 0x0
	s_load_b64 s[10:11], s[0:1], 0xb8
	s_mov_b64 s[14:15], 0
	s_wait_kmcnt 0x0
	s_cvt_f32_u32 s4, s39
	s_sub_co_i32 s8, 0, s39
	s_delay_alu instid0(SALU_CYCLE_2) | instskip(SKIP_1) | instid1(TRANS32_DEP_1)
	v_rcp_iflag_f32_e32 v1, s4
	v_nop
	v_readfirstlane_b32 s4, v1
	s_mul_f32 s4, s4, 0x4f7ffffe
	s_delay_alu instid0(SALU_CYCLE_3) | instskip(NEXT) | instid1(SALU_CYCLE_3)
	s_cvt_u32_f32 s4, s4
	s_mul_i32 s8, s8, s4
	s_delay_alu instid0(SALU_CYCLE_1) | instskip(NEXT) | instid1(SALU_CYCLE_1)
	s_mul_hi_u32 s8, s4, s8
	s_add_co_i32 s4, s4, s8
	s_cmp_eq_u32 s41, 0
	s_cselect_b32 s5, s5, s7
	s_delay_alu instid0(SALU_CYCLE_1) | instskip(NEXT) | instid1(SALU_CYCLE_1)
	s_mul_hi_u32 s4, s5, s4
	s_mul_i32 s6, s4, s39
	s_add_co_i32 s7, s4, 1
	s_sub_co_i32 s6, s5, s6
	s_delay_alu instid0(SALU_CYCLE_1)
	s_sub_co_i32 s8, s6, s39
	s_cmp_ge_u32 s6, s39
	s_cselect_b32 s4, s7, s4
	s_cselect_b32 s6, s8, s6
	s_add_co_i32 s7, s4, 1
	s_cmp_ge_u32 s6, s39
	s_cselect_b32 s34, s7, s4
	s_abs_i32 s4, s3
	s_mul_i32 s8, s34, s39
	s_cvt_f32_u32 s6, s4
	s_sub_co_i32 s7, 0, s4
	s_abs_i32 s9, s39
	s_sub_co_i32 s33, s5, s8
	v_rcp_iflag_f32_e32 v1, s6
	s_xor_b32 s3, s39, s3
	s_delay_alu instid0(SALU_CYCLE_1) | instskip(SKIP_1) | instid1(TRANS32_DEP_1)
	s_ashr_i32 s3, s3, 31
	v_nop
	v_readfirstlane_b32 s6, v1
	s_mul_f32 s6, s6, 0x4f7ffffe
	s_delay_alu instid0(SALU_CYCLE_3) | instskip(NEXT) | instid1(SALU_CYCLE_3)
	s_cvt_u32_f32 s6, s6
	s_mul_i32 s7, s7, s6
	s_delay_alu instid0(SALU_CYCLE_1) | instskip(NEXT) | instid1(SALU_CYCLE_1)
	s_mul_hi_u32 s7, s6, s7
	s_add_co_i32 s6, s6, s7
	s_delay_alu instid0(SALU_CYCLE_1) | instskip(NEXT) | instid1(SALU_CYCLE_1)
	s_mul_hi_u32 s5, s9, s6
	s_mul_i32 s6, s5, s4
	s_add_co_i32 s7, s5, 1
	s_sub_co_i32 s6, s9, s6
	s_mov_b32 s9, 0
	s_sub_co_i32 s8, s6, s4
	s_cmp_ge_u32 s6, s4
	s_cselect_b32 s5, s7, s5
	s_cselect_b32 s6, s8, s6
	s_add_co_i32 s7, s5, 1
	s_cmp_ge_u32 s6, s4
	s_cselect_b32 s4, s7, s5
	s_abs_i32 s8, s33
	s_xor_b32 s4, s4, s3
	s_delay_alu instid0(SALU_CYCLE_1) | instskip(NEXT) | instid1(SALU_CYCLE_1)
	s_sub_co_i32 s35, s4, s3
	s_abs_i32 s3, s35
	s_delay_alu instid0(SALU_CYCLE_1) | instskip(SKIP_1) | instid1(SALU_CYCLE_2)
	s_cvt_f32_u32 s4, s3
	s_sub_co_i32 s5, 0, s3
	v_rcp_iflag_f32_e32 v1, s4
	v_nop
	s_delay_alu instid0(TRANS32_DEP_1) | instskip(SKIP_1) | instid1(SALU_CYCLE_3)
	v_readfirstlane_b32 s4, v1
	s_mul_f32 s4, s4, 0x4f7ffffe
	s_cvt_u32_f32 s4, s4
	s_delay_alu instid0(SALU_CYCLE_3) | instskip(NEXT) | instid1(SALU_CYCLE_1)
	s_mul_i32 s5, s5, s4
	s_mul_hi_u32 s5, s4, s5
	s_delay_alu instid0(SALU_CYCLE_1)
	s_add_co_i32 s12, s4, s5
	s_cmp_eq_u64 s[22:23], 0
	s_cbranch_scc1 .LBB59_2
; %bb.1:
	s_abs_i32 s6, s10
	s_abs_i32 s7, s34
	s_cvt_f32_u32 s4, s6
	s_sub_co_i32 s5, 0, s6
	s_delay_alu instid0(SALU_CYCLE_2) | instskip(SKIP_1) | instid1(TRANS32_DEP_1)
	v_rcp_iflag_f32_e32 v1, s4
	v_nop
	v_readfirstlane_b32 s4, v1
	s_mul_f32 s4, s4, 0x4f7ffffe
	s_delay_alu instid0(SALU_CYCLE_3) | instskip(NEXT) | instid1(SALU_CYCLE_3)
	s_cvt_u32_f32 s4, s4
	s_mul_i32 s5, s5, s4
	s_delay_alu instid0(SALU_CYCLE_1) | instskip(NEXT) | instid1(SALU_CYCLE_1)
	s_mul_hi_u32 s5, s4, s5
	s_add_co_i32 s4, s4, s5
	s_delay_alu instid0(SALU_CYCLE_1) | instskip(SKIP_2) | instid1(SALU_CYCLE_1)
	s_mul_hi_u32 s10, s7, s4
	s_load_b64 s[4:5], s[0:1], 0xc8
	s_mul_i32 s10, s10, s6
	s_sub_co_i32 s7, s7, s10
	s_ashr_i32 s10, s34, 31
	s_sub_co_i32 s13, s7, s6
	s_cmp_ge_u32 s7, s6
	s_cselect_b32 s7, s13, s7
	s_delay_alu instid0(SALU_CYCLE_1) | instskip(SKIP_2) | instid1(SALU_CYCLE_1)
	s_sub_co_i32 s13, s7, s6
	s_cmp_ge_u32 s7, s6
	s_cselect_b32 s6, s13, s7
	s_xor_b32 s6, s6, s10
	s_delay_alu instid0(SALU_CYCLE_1) | instskip(NEXT) | instid1(SALU_CYCLE_1)
	s_sub_co_i32 s6, s6, s10
	s_ashr_i32 s7, s6, 31
	s_wait_kmcnt 0x0
	s_mul_u64 s[4:5], s[4:5], s[6:7]
	s_delay_alu instid0(SALU_CYCLE_1)
	s_add_nc_u64 s[14:15], s[22:23], s[4:5]
.LBB59_2:
	s_clause 0x1
	s_load_b128 s[4:7], s[0:1], 0x40
	s_load_b32 s10, s[0:1], 0x50
	v_mov_b32_e32 v77, 1.0
	s_mov_b32 s13, s9
	s_wait_kmcnt 0x0
	s_cmp_le_f32 s5, 0
	s_cbranch_scc1 .LBB59_4
; %bb.3:
	v_sub_co_u32 v1, s5, s33, s10
	s_and_b32 s22, s5, exec_lo
	s_cselect_b32 s7, s6, s7
	v_readfirstlane_b32 s10, v1
	s_lshl_b32 s6, s10, 1
	s_add_co_i32 s10, s33, 1
	s_or_b32 s6, s6, 1
	s_and_b32 s5, s5, exec_lo
	s_cselect_b32 s5, s10, s6
	s_cmp_neq_f32 s7, 1.0
	s_cvt_f32_i32 s5, s5
	s_delay_alu instid0(SALU_CYCLE_3) | instskip(NEXT) | instid1(SALU_CYCLE_1)
	s_cselect_b32 s6, s5, 1.0
	s_cmp_neq_f32 s6, 0
	s_cselect_b32 s5, s7, 1.0
	s_delay_alu instid0(SALU_CYCLE_1) | instskip(NEXT) | instid1(VALU_DEP_1)
	v_cvt_f64_f32_e64 v[2:3], |s5|
	v_frexp_exp_i32_f64_e32 v1, v[2:3]
	v_frexp_mant_f32_e64 v2, |s5|
	s_delay_alu instid0(VALU_DEP_1) | instskip(SKIP_2) | instid1(SALU_CYCLE_1)
	v_readfirstlane_b32 s7, v2
	s_cmp_lt_f32 s7, 0x3f2aaaab
	s_cselect_b32 vcc_lo, -1, 0
	s_and_b32 s10, vcc_lo, exec_lo
	s_cselect_b32 s10, 2.0, 1.0
	s_delay_alu instid0(SALU_CYCLE_1) | instskip(NEXT) | instid1(SALU_CYCLE_3)
	s_mul_f32 s7, s7, s10
	s_add_f32 s10, s7, 1.0
	s_add_f32 s23, s7, -1.0
	s_delay_alu instid0(SALU_CYCLE_2) | instskip(SKIP_2) | instid1(SALU_CYCLE_2)
	v_s_rcp_f32 s22, s10
	s_add_f32 s43, s10, -1.0
	v_subrev_co_ci_u32_e64 v1, null, 0, v1, vcc_lo
	s_sub_f32 s7, s7, s43
	s_delay_alu instid0(TRANS32_DEP_1) | instskip(SKIP_1) | instid1(SALU_CYCLE_2)
	s_mul_f32 s40, s23, s22
	v_cvt_f32_i32_e32 v1, v1
	s_mul_f32 s42, s10, s40
	s_delay_alu instid0(SALU_CYCLE_3) | instskip(SKIP_1) | instid1(SALU_CYCLE_1)
	v_dual_mov_b32 v3, s23 :: v_dual_mov_b32 v4, s42
	s_xor_b32 s44, s42, 0x80000000
	s_fmac_f32 s44, s40, s10
	s_delay_alu instid0(SALU_CYCLE_3) | instskip(NEXT) | instid1(SALU_CYCLE_3)
	s_fmac_f32 s44, s40, s7
	s_add_f32 s7, s42, s44
	s_delay_alu instid0(SALU_CYCLE_3) | instskip(SKIP_1) | instid1(SALU_CYCLE_3)
	v_dual_mov_b32 v6, s44 :: v_dual_mov_b32 v7, s7
	s_sub_f32 s10, s23, s7
	v_dual_mov_b32 v2, s7 :: v_dual_mov_b32 v5, s10
	s_delay_alu instid0(VALU_DEP_1) | instskip(NEXT) | instid1(VALU_DEP_1)
	v_pk_add_f32 v[2:3], v[2:3], v[4:5] neg_lo:[0,1] neg_hi:[0,1]
	v_pk_add_f32 v[2:3], v[2:3], v[6:7] neg_lo:[0,1] neg_hi:[0,1]
	s_delay_alu instid0(VALU_DEP_1) | instskip(NEXT) | instid1(VALU_DEP_2)
	v_readfirstlane_b32 s7, v3
	v_readfirstlane_b32 s23, v2
	s_add_f32 s7, s23, s7
	s_delay_alu instid0(SALU_CYCLE_3) | instskip(NEXT) | instid1(SALU_CYCLE_3)
	s_add_f32 s7, s10, s7
	s_mul_f32 s7, s22, s7
	s_delay_alu instid0(SALU_CYCLE_3) | instskip(NEXT) | instid1(SALU_CYCLE_3)
	s_add_f32 s22, s40, s7
	s_sub_f32 s10, s22, s40
	s_mul_f32 s23, s22, s22
	s_delay_alu instid0(SALU_CYCLE_2) | instskip(NEXT) | instid1(SALU_CYCLE_2)
	s_sub_f32 s7, s7, s10
	s_xor_b32 s10, s23, 0x80000000
	s_delay_alu instid0(SALU_CYCLE_1) | instskip(NEXT) | instid1(SALU_CYCLE_1)
	s_fmac_f32 s10, s22, s22
	s_add_f32 s40, s7, s7
	s_delay_alu instid0(SALU_CYCLE_3) | instskip(SKIP_1) | instid1(SALU_CYCLE_2)
	s_fmac_f32 s10, s22, s40
	s_mov_b32 s40, 0x3e76c4e1
	s_add_f32 s42, s23, s10
	s_delay_alu instid0(SALU_CYCLE_3) | instskip(SKIP_1) | instid1(SALU_CYCLE_2)
	s_fmaak_f32 s40, s42, s40, 0x3e91f4c4
	s_sub_f32 s23, s42, s23
	s_fmaak_f32 s40, s42, s40, 0x3ecccdef
	s_delay_alu instid0(SALU_CYCLE_2) | instskip(NEXT) | instid1(SALU_CYCLE_2)
	s_sub_f32 s10, s10, s23
	s_mul_f32 s43, s42, s40
	s_delay_alu instid0(SALU_CYCLE_3) | instskip(NEXT) | instid1(SALU_CYCLE_1)
	s_xor_b32 s44, s43, 0x80000000
	s_fmac_f32 s44, s42, s40
	s_delay_alu instid0(SALU_CYCLE_3) | instskip(NEXT) | instid1(SALU_CYCLE_3)
	s_fmac_f32 s44, s10, s40
	s_add_f32 s40, s43, s44
	s_delay_alu instid0(SALU_CYCLE_3) | instskip(SKIP_1) | instid1(SALU_CYCLE_2)
	s_sub_f32 s23, s40, s43
	s_add_f32 s45, s40, 0x3f2aaaaa
	s_sub_f32 s23, s44, s23
	s_delay_alu instid0(SALU_CYCLE_2) | instskip(NEXT) | instid1(SALU_CYCLE_2)
	s_add_f32 s43, s45, 0xbf2aaaaa
	s_add_f32 s23, s23, 0x31739010
	s_delay_alu instid0(SALU_CYCLE_2) | instskip(NEXT) | instid1(SALU_CYCLE_2)
	s_sub_f32 s43, s40, s43
	v_mov_b64_e32 v[2:3], s[22:23]
	s_delay_alu instid0(SALU_CYCLE_2) | instskip(NEXT) | instid1(VALU_DEP_1)
	v_mov_b64_e32 v[4:5], s[42:43]
	v_pk_mul_f32 v[6:7], v[2:3], v[4:5]
	v_pk_add_f32 v[2:3], v[2:3], v[4:5]
	v_mov_b32_e32 v9, s45
	s_delay_alu instid0(VALU_DEP_3) | instskip(NEXT) | instid1(VALU_DEP_3)
	v_xor_b32_e32 v8, 0x80000000, v6
	v_mov_b32_e32 v7, v3
	s_delay_alu instid0(VALU_DEP_2) | instskip(NEXT) | instid1(VALU_DEP_1)
	v_fmac_f32_e64 v8, s42, s22
	v_fmac_f32_e64 v8, s42, s7
	s_delay_alu instid0(VALU_DEP_1) | instskip(NEXT) | instid1(VALU_DEP_1)
	v_fmac_f32_e64 v8, s10, s22
	v_pk_add_f32 v[4:5], v[6:7], v[8:9]
	s_delay_alu instid0(VALU_DEP_1) | instskip(SKIP_1) | instid1(VALU_DEP_2)
	v_dual_mov_b32 v2, v5 :: v_dual_sub_f32 v7, s45, v5
	v_mul_f32_e32 v12, 0x3f317218, v1
	v_pk_mul_f32 v[10:11], v[4:5], v[2:3]
	s_delay_alu instid0(VALU_DEP_3) | instskip(NEXT) | instid1(VALU_DEP_3)
	v_add_f32_e32 v3, v3, v7
	v_xor_b32_e32 v7, 0x80000000, v12
	s_delay_alu instid0(VALU_DEP_3) | instskip(NEXT) | instid1(VALU_DEP_2)
	v_xor_b32_e32 v2, 0x80000000, v10
	v_dual_sub_f32 v6, v4, v6 :: v_dual_fmac_f32 v7, 0x3f317218, v1
	s_delay_alu instid0(VALU_DEP_2) | instskip(NEXT) | instid1(VALU_DEP_2)
	v_fmac_f32_e32 v2, v4, v5
	v_sub_f32_e32 v6, v8, v6
	s_delay_alu instid0(VALU_DEP_2) | instskip(NEXT) | instid1(VALU_DEP_1)
	v_fmac_f32_e32 v2, v4, v3
	v_fmac_f32_e32 v2, v6, v5
	v_fmamk_f32 v4, v1, 0xb102e308, v7
	v_ldexp_f32 v5, s22, 1
	v_ldexp_f32 v1, s7, 1
	s_delay_alu instid0(VALU_DEP_2) | instskip(NEXT) | instid1(VALU_DEP_1)
	v_dual_add_f32 v13, v10, v2 :: v_dual_mov_b32 v11, v5
	v_pk_add_f32 v[6:7], v[12:13], v[4:5]
	v_dual_mov_b32 v8, v13 :: v_dual_mov_b32 v3, v13
	s_delay_alu instid0(VALU_DEP_2) | instskip(SKIP_1) | instid1(VALU_DEP_2)
	v_dual_mov_b32 v9, v7 :: v_dual_mov_b32 v5, v6
	v_mov_b32_e32 v14, v7
	v_pk_add_f32 v[8:9], v[8:9], v[10:11] neg_lo:[0,1] neg_hi:[0,1]
	s_delay_alu instid0(VALU_DEP_1) | instskip(NEXT) | instid1(VALU_DEP_1)
	v_pk_add_f32 v[2:3], v[2:3], v[8:9] neg_lo:[0,1] neg_hi:[0,1]
	v_add_f32_e32 v1, v1, v2
	s_delay_alu instid0(VALU_DEP_1) | instskip(NEXT) | instid1(VALU_DEP_1)
	v_add_f32_e32 v13, v1, v3
	v_pk_add_f32 v[2:3], v[6:7], v[12:13]
	v_pk_add_f32 v[8:9], v[6:7], v[12:13] neg_lo:[0,1] neg_hi:[0,1]
	s_delay_alu instid0(VALU_DEP_2) | instskip(NEXT) | instid1(VALU_DEP_1)
	v_mov_b32_e32 v9, v3
	v_pk_add_f32 v[10:11], v[4:5], v[8:9]
	v_pk_add_f32 v[4:5], v[4:5], v[8:9] neg_lo:[0,1] neg_hi:[0,1]
	v_dual_mov_b32 v16, v3 :: v_dual_mov_b32 v5, v6
	s_delay_alu instid0(VALU_DEP_3) | instskip(NEXT) | instid1(VALU_DEP_3)
	v_dual_mov_b32 v12, v11 :: v_dual_mov_b32 v17, v11
	v_readfirstlane_b32 s7, v4
	s_delay_alu instid0(VALU_DEP_2) | instskip(NEXT) | instid1(VALU_DEP_2)
	v_pk_add_f32 v[8:9], v[12:13], v[6:7] neg_lo:[0,1] neg_hi:[0,1]
	v_dual_mov_b32 v4, v13 :: v_dual_mov_b32 v10, s7
	s_delay_alu instid0(VALU_DEP_2) | instskip(NEXT) | instid1(VALU_DEP_1)
	v_dual_mov_b32 v15, v8 :: v_dual_mov_b32 v1, v8
	v_pk_add_f32 v[6:7], v[16:17], v[14:15] neg_lo:[0,1] neg_hi:[0,1]
	s_delay_alu instid0(VALU_DEP_2) | instskip(SKIP_1) | instid1(VALU_DEP_3)
	v_pk_add_f32 v[2:3], v[2:3], v[0:1] neg_lo:[0,1] neg_hi:[0,1]
	v_mov_b32_e32 v2, s7
	v_pk_add_f32 v[4:5], v[4:5], v[6:7] neg_lo:[0,1] neg_hi:[0,1]
	s_delay_alu instid0(VALU_DEP_1) | instskip(NEXT) | instid1(VALU_DEP_1)
	v_pk_add_f32 v[2:3], v[2:3], v[4:5]
	v_readfirstlane_b32 s10, v2
	s_delay_alu instid0(VALU_DEP_2) | instskip(NEXT) | instid1(VALU_DEP_1)
	v_mov_b32_e32 v6, v3
	v_pk_add_f32 v[6:7], v[2:3], v[6:7]
	s_delay_alu instid0(VALU_DEP_3) | instskip(NEXT) | instid1(VALU_DEP_2)
	v_mov_b32_e32 v2, s10
	v_pk_add_f32 v[8:9], v[12:13], v[6:7]
	v_mov_b32_e32 v5, v6
	s_delay_alu instid0(VALU_DEP_2) | instskip(NEXT) | instid1(VALU_DEP_1)
	v_readfirstlane_b32 s22, v8
	v_mov_b32_e32 v3, s22
	s_delay_alu instid0(VALU_DEP_1) | instskip(NEXT) | instid1(VALU_DEP_1)
	v_pk_add_f32 v[2:3], v[2:3], v[10:11] neg_lo:[0,1] neg_hi:[0,1]
	v_readfirstlane_b32 s23, v2
	s_delay_alu instid0(VALU_DEP_2) | instskip(SKIP_1) | instid1(VALU_DEP_1)
	v_pk_add_f32 v[2:3], v[4:5], v[2:3] neg_lo:[0,1] neg_hi:[0,1]
	s_sub_f32 s10, s10, s23
	v_readfirstlane_b32 s23, v2
	s_delay_alu instid0(SALU_CYCLE_2) | instskip(SKIP_1) | instid1(SALU_CYCLE_2)
	s_sub_f32 s7, s7, s10
	v_readfirstlane_b32 s10, v3
	s_add_f32 s7, s23, s7
	s_delay_alu instid0(SALU_CYCLE_3) | instskip(NEXT) | instid1(SALU_CYCLE_3)
	s_add_f32 s7, s7, s10
	s_add_f32 s10, s22, s7
	s_delay_alu instid0(SALU_CYCLE_3) | instskip(SKIP_1) | instid1(SALU_CYCLE_2)
	s_mul_f32 s23, s6, s10
	s_sub_f32 s22, s10, s22
	s_xor_b32 s40, s23, 0x80000000
	s_delay_alu instid0(SALU_CYCLE_2) | instskip(SKIP_1) | instid1(SALU_CYCLE_3)
	s_sub_f32 s7, s7, s22
	s_fmac_f32 s40, s6, s10
	s_fmac_f32 s40, s6, s7
	v_cmp_class_f32_e64 s7, s23, 0x204
	s_delay_alu instid0(SALU_CYCLE_2) | instskip(SKIP_1) | instid1(SALU_CYCLE_2)
	s_add_f32 s10, s23, s40
	s_and_b32 s7, s7, exec_lo
	s_sub_f32 s7, s10, s23
	s_cselect_b32 s10, s23, s10
	s_delay_alu instid0(SALU_CYCLE_1) | instskip(NEXT) | instid1(SALU_CYCLE_1)
	s_and_b32 s22, s10, 0x7fffffff
	s_sub_f32 s7, s40, s7
	s_cmp_neq_f32 s22, 0x7f800000
	s_delay_alu instid0(SALU_CYCLE_2) | instskip(SKIP_2) | instid1(SALU_CYCLE_1)
	s_cselect_b32 s7, s7, 0
	s_cmp_eq_f32 s10, 0x42b17218
	s_cselect_b32 s22, 0x37000000, 0
	s_sub_f32 s10, s10, s22
	s_add_f32 s7, s22, s7
	s_delay_alu instid0(SALU_CYCLE_2) | instskip(NEXT) | instid1(SALU_CYCLE_3)
	s_mul_f32 s23, s10, 0x3fb8aa3b
	s_xor_b32 s40, s23, 0x80000000
	s_rndne_f32 s42, s23
	s_fmamk_f32 s40, s10, 0x3fb8aa3b, s40
	s_cmp_nlt_f32 s10, 0xc2ce8ed0
	s_delay_alu instid0(SALU_CYCLE_1) | instskip(NEXT) | instid1(SALU_CYCLE_1)
	s_sub_f32 s23, s23, s42
	s_fmamk_f32 s40, s10, 0x32a5705f, s40
	s_cselect_b32 vcc_lo, -1, 0
	s_cmp_ngt_f32 s10, 0x42b17218
	s_trunc_f32 s10, s6
	s_add_f32 s23, s23, s40
	s_cvt_i32_f32 s40, s42
	s_delay_alu instid0(SALU_CYCLE_2)
	v_s_exp_f32 s23, s23
	v_nop
	s_delay_alu instid0(TRANS32_DEP_1) | instid1(SALU_CYCLE_1)
	v_ldexp_f32 v1, s23, s40
	s_mul_f32 s23, s6, 0.5
	s_delay_alu instid0(VALU_DEP_1) | instskip(SKIP_3) | instid1(VALU_DEP_1)
	v_cndmask_b32_e32 v1, 0, v1, vcc_lo
	s_cselect_b32 vcc_lo, -1, 0
	s_cmp_eq_f32 s10, s6
	s_trunc_f32 s40, s23
	v_cndmask_b32_e32 v1, 0x7f800000, v1, vcc_lo
	s_cselect_b32 s42, -1, 0
	s_delay_alu instid0(SALU_CYCLE_1) | instskip(NEXT) | instid1(VALU_DEP_1)
	s_cmp_neq_f32 s40, s23
	v_fma_f32 v2, s7, v1, v1
	v_cmp_class_f32_e64 vcc_lo, v1, 0x204
	s_cselect_b32 s22, -1, 0
	s_delay_alu instid0(SALU_CYCLE_1)
	s_and_b32 s7, s42, s22
	v_cndmask_b32_e32 v1, v2, v1, vcc_lo
	s_and_b32 s22, s7, exec_lo
	s_cselect_b32 s22, s5, 1.0
	s_cmp_eq_f32 s10, s6
	v_cmp_class_f32_e64 s10, s5, 0x204
	v_bfi_b32 v1, 0x7fffffff, v1, s22
	s_cselect_b32 vcc_lo, -1, 0
	s_cmp_lt_f32 s5, 0
	s_delay_alu instid0(VALU_DEP_1) | instskip(SKIP_2) | instid1(VALU_DEP_1)
	v_cndmask_b32_e32 v2, 0x7fc00000, v1, vcc_lo
	s_cselect_b32 vcc_lo, -1, 0
	s_cmp_eq_f32 s5, 0
	v_cndmask_b32_e32 v1, v1, v2, vcc_lo
	s_cselect_b32 s22, -1, 0
	s_delay_alu instid0(SALU_CYCLE_1) | instskip(SKIP_2) | instid1(SALU_CYCLE_1)
	s_or_b32 vcc_lo, s22, s10
	s_cmp_lt_f32 s6, 0
	s_cselect_b32 s6, -1, 0
	s_xor_b32 s6, s6, s22
	s_delay_alu instid0(SALU_CYCLE_1)
	s_and_b32 s6, s6, exec_lo
	s_cselect_b32 s6, 0, 0x7f800000
	s_and_b32 s7, s7, exec_lo
	s_cselect_b32 s7, s5, 0
	s_cmp_o_f32 s5, s5
	v_mov_b32_e32 v2, s7
	s_delay_alu instid0(VALU_DEP_1) | instskip(NEXT) | instid1(VALU_DEP_1)
	v_bfi_b32 v2, 0x7fffffff, s6, v2
	v_cndmask_b32_e32 v1, v1, v2, vcc_lo
	s_cselect_b32 vcc_lo, -1, 0
	s_delay_alu instid0(VALU_DEP_1)
	v_cndmask_b32_e32 v77, 0x7fc00000, v1, vcc_lo
.LBB59_4:
	s_bfe_u32 s5, ttmp6, 0x4000c
	v_bfe_u32 v12, v0, 10, 10
	s_add_co_i32 s5, s5, 1
	s_and_b32 s6, ttmp6, 15
	s_mul_i32 s5, ttmp9, s5
	s_ashr_i32 s10, s33, 31
	s_ashr_i32 s22, s35, 31
	s_add_co_i32 s6, s6, s5
	s_cmp_eq_u32 s41, 0
	v_lshlrev_b32_e32 v138, 1, v12
	s_cselect_b32 s5, ttmp9, s6
	s_load_b96 s[44:46], s[0:1], 0x70
	s_lshl_b32 s40, s5, 4
	v_and_b32_e32 v128, 0x3ff, v0
	v_add_nc_u32_e32 v140, s40, v138
	s_mul_u64 s[12:13], s[8:9], s[12:13]
	s_delay_alu instid0(VALU_DEP_2) | instskip(NEXT) | instid1(VALU_DEP_2)
	v_dual_mov_b32 v131, 0 :: v_dual_lshlrev_b32 v130, 4, v128
	v_mul_hi_u32 v1, v140, s36
	s_delay_alu instid0(VALU_DEP_1)
	v_dual_add_nc_u32 v1, v140, v1 :: v_dual_bitop2_b32 v136, 1, v138 bitop3:0x54
	s_wait_kmcnt 0x0
	s_mul_i32 s6, s34, s46
	s_mul_i32 s42, s33, s45
	s_ashr_i32 s7, s6, 31
	v_dual_lshrrev_b32 v1, s37, v1 :: v_dual_add_nc_u32 v137, s40, v136
	s_ashr_i32 s43, s42, 31
	s_add_nc_u64 s[6:7], s[16:17], s[6:7]
	s_ashr_i32 s45, s44, 31
	s_delay_alu instid0(VALU_DEP_1)
	v_mul_lo_u32 v1, v1, s38
	v_mul_hi_u32 v2, v137, s36
	s_add_nc_u64 s[6:7], s[6:7], s[42:43]
	v_mov_b32_e32 v75, v131
	s_lshr_b64 s[16:17], s[44:45], 2
	s_cmp_eq_u64 s[26:27], 0
	s_delay_alu instid0(VALU_DEP_2) | instskip(NEXT) | instid1(VALU_DEP_1)
	v_dual_sub_nc_u32 v74, v140, v1 :: v_dual_add_nc_u32 v2, v137, v2
	v_lshrrev_b32_e32 v0, s37, v2
	s_delay_alu instid0(VALU_DEP_1) | instskip(SKIP_1) | instid1(VALU_DEP_2)
	v_mul_lo_u32 v2, v0, s38
	v_add_nc_u64_e32 v[0:1], s[6:7], v[130:131]
	v_sub_nc_u32_e32 v130, v137, v2
	v_mul_u64_e32 v[2:3], s[16:17], v[74:75]
	v_lshlrev_b32_e32 v75, 3, v128
	s_delay_alu instid0(VALU_DEP_3) | instskip(SKIP_1) | instid1(VALU_DEP_3)
	v_mul_u64_e32 v[4:5], s[16:17], v[130:131]
	s_mov_b32 s17, 0
	v_lshl_add_u64 v[8:9], v[2:3], 2, v[0:1]
	s_delay_alu instid0(VALU_DEP_2)
	v_lshl_add_u64 v[10:11], v[4:5], 2, v[0:1]
	s_clause 0x1
	global_load_b128 v[0:3], v[8:9], off
	global_load_b128 v[4:7], v[10:11], off
	s_wait_xcnt 0x1
	v_add_nc_u32_e32 v8, 0x9800, v75
	s_wait_loadcnt 0x1
	v_fma_mixlo_f16 v0, s4, v0, 0
	v_fma_mixlo_f16 v1, s4, v1, 0
	s_wait_loadcnt 0x0
	v_fma_mixlo_f16 v4, s4, v4, 0
	v_fma_mixlo_f16 v5, s4, v5, 0
	v_lshlrev_b32_e32 v142, 9, v12
	v_fma_mixlo_f16 v2, s4, v2, 0
	v_fma_mixlo_f16 v3, s4, v3, 0
	v_lshlrev_b32_e32 v1, 16, v1
	v_and_b32_e32 v0, 0xffff, v0
	v_fma_mixlo_f16 v6, s4, v6, 0
	v_fma_mixlo_f16 v7, s4, v7, 0
	v_lshlrev_b32_e32 v5, 16, v5
	v_and_b32_e32 v4, 0xffff, v4
	v_dual_add_nc_u32 v9, v8, v142 :: v_dual_lshlrev_b32 v3, 16, v3
	v_and_b32_e32 v2, 0xffff, v2
	v_dual_lshlrev_b32 v7, 16, v7 :: v_dual_bitop2_b32 v0, v1, v0 bitop3:0x54
	v_and_b32_e32 v6, 0xffff, v6
	v_or_b32_e32 v4, v5, v4
	s_delay_alu instid0(VALU_DEP_4) | instskip(NEXT) | instid1(VALU_DEP_4)
	v_or3_b32 v1, v3, v2, 0
	v_or3_b32 v0, 0, 0, v0
	v_lshl_add_u32 v5, v136, 8, v8
	v_or3_b32 v3, v7, v6, 0
	v_or3_b32 v2, 0, 0, v4
	ds_store_b64 v9, v[0:1]
	ds_store_b64 v5, v[2:3]
	s_wait_dscnt 0x0
	s_barrier_signal -1
	s_barrier_wait -1
	s_cbranch_scc1 .LBB59_6
; %bb.5:
	s_load_b32 s2, s[0:1], 0xd0
	s_wait_kmcnt 0x0
	s_mul_i32 s2, s2, s34
	s_delay_alu instid0(SALU_CYCLE_1)
	s_add_co_i32 s2, s2, s5
	s_load_b32 s2, s[26:27], s2 offset:0x0 scale_offset
.LBB59_6:
	s_wait_xcnt 0x0
	s_clause 0x2
	s_load_b64 s[26:27], s[0:1], 0x8c
	s_load_b128 s[4:7], s[0:1], 0x98
	s_load_b64 s[42:43], s[0:1], 0xa8
	s_xor_b32 s9, s10, s22
	s_mul_i32 s10, s13, s3
	s_mov_b32 s16, s36
	s_sub_co_i32 s23, s8, s10
	s_ashr_i32 s36, s11, 1
	s_ashr_i32 s35, s34, 31
	s_add_co_i32 s12, s13, 1
	s_sub_co_i32 s44, s23, s3
	v_dual_lshlrev_b32 v139, 2, v128 :: v_dual_lshrrev_b32 v122, 4, v128
	v_mul_u32_u24_e32 v121, 0x110, v128
	v_or_b32_e32 v72, 1, v140
	v_add_nc_u32_e32 v120, 0x8800, v142
	s_delay_alu instid0(VALU_DEP_4)
	v_and_b32_e32 v76, 60, v139
	v_mbcnt_lo_u32_b32 v141, -1, 0
	s_wait_kmcnt 0x0
	s_ashr_i32 s8, s26, 2
	s_ashr_i32 s22, s6, 2
	s_cmp_ge_u32 s23, s3
	s_mul_u64 s[4:5], s[4:5], s[34:35]
	s_cselect_b32 s6, s12, s13
	s_cselect_b32 s12, s44, s23
	s_add_co_i32 s13, s6, 1
	s_cmp_ge_u32 s12, s3
	s_add_nc_u64 s[4:5], s[18:19], s[4:5]
	s_cselect_b32 s3, s13, s6
	s_bfe_u32 s6, ttmp6, 0x40010
	s_xor_b32 s3, s3, s9
	s_and_b32 s18, ttmp7, 0xffff
	s_add_co_i32 s6, s6, 1
	s_sub_co_i32 s3, s3, s9
	s_bfe_u32 s13, ttmp6, 0x40004
	s_mul_i32 s9, s18, s6
	s_mul_i32 s6, s3, s27
	;; [unrolled: 1-line block ×3, first 2 shown]
	s_add_co_i32 s3, s13, s9
	s_ashr_i32 s7, s6, 31
	s_ashr_i32 s13, s12, 31
	s_cmp_eq_u32 s41, 0
	s_mul_u64 s[10:11], s[42:43], s[34:35]
	s_cselect_b32 s35, s18, s3
	s_add_nc_u64 s[4:5], s[4:5], s[6:7]
	s_add_co_i32 s3, s2, 0xffffff80
	s_lshl_b32 s18, s35, 7
	s_add_nc_u64 s[6:7], s[20:21], s[10:11]
	s_cmp_ge_i32 s18, s3
	s_add_nc_u64 s[26:27], s[6:7], s[12:13]
	s_cbranch_scc1 .LBB59_27
; %bb.7:
	v_dual_mov_b32 v79, 0 :: v_dual_add_nc_u32 v2, v122, v138
	v_lshlrev_b32_e32 v3, 2, v76
	s_ashr_i32 s9, s8, 31
	s_lshl_b32 s6, s8, 4
	s_delay_alu instid0(VALU_DEP_2)
	v_mov_b32_e32 v73, v79
	v_mul_lo_u32 v80, s8, v2
	v_mul_lo_u32 v82, s22, v2
	s_cmp_lg_u64 s[14:15], 0
	v_mul_lo_u32 v124, v74, s36
	v_mul_u64_e32 v[0:1], s[16:17], v[72:73]
	s_cselect_b32 s10, -1, 0
	s_lshl_b32 s7, s22, 4
	v_mad_u32_u24 v73, 0x110, v2, v3
	v_lshl_or_b32 v125, v2, 8, v3
	v_dual_mov_b32 v130, v79 :: v_dual_add_nc_u32 v123, 0x9800, v142
	v_dual_add_nc_u32 v84, s6, v80 :: v_dual_add_nc_u32 v86, s7, v82
	v_dual_mov_b32 v35, 0xfeffffff :: v_dual_lshlrev_b32 v78, 2, v76
	v_dual_mov_b32 v131, v79 :: v_dual_add_nc_u32 v126, 0x1100, v73
	s_delay_alu instid0(VALU_DEP_3) | instskip(SKIP_2) | instid1(VALU_DEP_3)
	v_dual_add_nc_u32 v88, s6, v84 :: v_dual_add_nc_u32 v90, s7, v86
	v_dual_mov_b32 v32, v79 :: v_dual_add_nc_u32 v127, 0x2200, v73
	v_dual_mov_b32 v118, v79 :: v_dual_add_nc_u32 v129, 0x3300, v73
	v_dual_add_nc_u32 v92, s6, v88 :: v_dual_add_nc_u32 v94, s7, v90
	v_ashrrev_i32_e32 v87, 31, v86
	v_dual_mov_b32 v33, v79 :: v_dual_add_nc_u32 v134, 0x4400, v73
	s_delay_alu instid0(VALU_DEP_3)
	v_add_nc_u32_e32 v96, s6, v92
	v_add_nc_u32_e32 v135, 0x5500, v73
	v_add_nc_u32_e32 v143, 0x6600, v73
	v_dual_mov_b32 v119, v79 :: v_dual_add_nc_u32 v144, 0x7700, v73
	v_add_nc_u32_e32 v145, 0x1000, v125
	v_add_nc_u32_e32 v146, 0x2000, v125
	v_add_nc_u32_e32 v147, 0x3000, v125
	v_dual_add_nc_u32 v0, v72, v1 :: v_dual_ashrrev_i32 v85, 31, v84
	v_add_nc_u32_e32 v98, s7, v94
	v_add_nc_u32_e32 v148, 0x4000, v125
	;; [unrolled: 1-line block ×3, first 2 shown]
	s_delay_alu instid0(VALU_DEP_4) | instskip(NEXT) | instid1(VALU_DEP_4)
	v_lshrrev_b32_e32 v0, s37, v0
	v_dual_add_nc_u32 v100, s6, v96 :: v_dual_add_nc_u32 v102, s7, v98
	v_ashrrev_i32_e32 v97, 31, v96
	v_add_nc_u32_e32 v150, 0x6000, v125
	s_delay_alu instid0(VALU_DEP_4) | instskip(NEXT) | instid1(VALU_DEP_4)
	v_mul_lo_u32 v0, v0, s38
	v_dual_add_nc_u32 v104, s6, v100 :: v_dual_ashrrev_i32 v99, 31, v98
	v_add_nc_u32_e32 v106, s7, v102
	v_add_nc_u32_e32 v151, 0x7000, v125
	v_dual_ashrrev_i32 v81, 31, v80 :: v_dual_ashrrev_i32 v83, 31, v82
	s_delay_alu instid0(VALU_DEP_3) | instskip(SKIP_4) | instid1(VALU_DEP_3)
	v_dual_add_nc_u32 v108, s6, v104 :: v_dual_add_nc_u32 v110, s7, v106
	v_dual_ashrrev_i32 v89, 31, v88 :: v_dual_ashrrev_i32 v91, 31, v90
	v_dual_sub_nc_u32 v0, v72, v0 :: v_dual_ashrrev_i32 v107, 31, v106
	v_dual_ashrrev_i32 v93, 31, v92 :: v_dual_ashrrev_i32 v95, 31, v94
	v_dual_ashrrev_i32 v101, 31, v100 :: v_dual_ashrrev_i32 v103, 31, v102
	v_mul_lo_u32 v152, v0, s36
	v_dual_ashrrev_i32 v105, 31, v104 :: v_dual_ashrrev_i32 v111, 31, v110
	v_dual_mov_b32 v34, 0xfeffffff :: v_dual_ashrrev_i32 v109, 31, v108
	v_mbcnt_lo_u32_b32 v153, -1, 0
	s_add_nc_u64 s[6:7], s[0:1], 0xd0
	s_ashr_i32 s23, s22, 31
.LBB59_8:                               ; =>This Inner Loop Header: Depth=1
	s_ashr_i32 s19, s18, 31
	s_and_not1_b32 vcc_lo, exec_lo, s10
	s_mul_u64 s[12:13], s[18:19], s[8:9]
	v_mov_b32_e32 v52, 0
	s_lshl_b64 s[12:13], s[12:13], 2
	v_mov_b32_e32 v53, 0
	s_add_nc_u64 s[12:13], s[4:5], s[12:13]
	v_mov_b32_e32 v54, 0
	v_lshl_add_u64 v[0:1], v[80:81], 2, s[12:13]
	v_lshl_add_u64 v[2:3], v[84:85], 2, s[12:13]
	;; [unrolled: 1-line block ×6, first 2 shown]
	v_add_nc_u64_e32 v[36:37], v[0:1], v[78:79]
	v_lshl_add_u64 v[12:13], v[104:105], 2, s[12:13]
	v_add_nc_u64_e32 v[38:39], v[2:3], v[78:79]
	v_lshl_add_u64 v[14:15], v[108:109], 2, s[12:13]
	v_add_nc_u64_e32 v[40:41], v[4:5], v[78:79]
	v_add_nc_u64_e32 v[42:43], v[6:7], v[78:79]
	;; [unrolled: 1-line block ×6, first 2 shown]
	s_clause 0x7
	global_load_b128 v[0:3], v[36:37], off
	global_load_b128 v[4:7], v[38:39], off
	;; [unrolled: 1-line block ×8, first 2 shown]
	s_wait_loadcnt 0x7
	ds_store_b128 v73, v[0:3]
	s_wait_loadcnt 0x6
	ds_store_b128 v126, v[4:7]
	;; [unrolled: 2-line block ×8, first 2 shown]
	s_wait_dscnt 0x0
	s_barrier_signal -1
	s_barrier_wait -1
	ds_load_b128 v[0:3], v121
	ds_load_b128 v[10:13], v123
	ds_load_b128 v[14:17], v123 offset:256
	ds_load_b128 v[18:21], v121 offset:8704
	v_dual_mov_b32 v5, 0 :: v_dual_mov_b32 v51, 0
	ds_load_b128 v[22:25], v121 offset:17408
	ds_load_b128 v[26:29], v121 offset:26112
	v_dual_mov_b32 v6, 0 :: v_dual_mov_b32 v7, 0
	v_mov_b32_e32 v8, 0
	s_wait_dscnt 0x4
	;;#ASMSTART
	v_dot2_f32_f16 v5, v0, v10, v5
	;;#ASMEND
	;;#ASMSTART
	v_dot2_f32_f16 v5, v1, v11, v5
	;;#ASMEND
	;;#ASMSTART
	v_dot2_f32_f16 v5, v2, v12, v5
	;;#ASMEND
	;;#ASMSTART
	v_dot2_f32_f16 v5, v3, v13, v5
	;;#ASMEND
	s_wait_dscnt 0x3
	;;#ASMSTART
	v_dot2_f32_f16 v51, v0, v14, v51
	;;#ASMEND
	;;#ASMSTART
	v_dot2_f32_f16 v51, v1, v15, v51
	;;#ASMEND
	;;#ASMSTART
	v_dot2_f32_f16 v51, v2, v16, v51
	;;#ASMEND
	;;#ASMSTART
	v_dot2_f32_f16 v51, v3, v17, v51
	;;#ASMEND
	;; [unrolled: 13-line block ×3, first 2 shown]
	;;#ASMSTART
	v_dot2_f32_f16 v52, v18, v14, v52
	;;#ASMEND
	;;#ASMSTART
	v_dot2_f32_f16 v52, v19, v15, v52
	;;#ASMEND
	;; [unrolled: 3-line block ×4, first 2 shown]
	s_wait_dscnt 0x1
	;;#ASMSTART
	v_dot2_f32_f16 v7, v22, v10, v7
	;;#ASMEND
	;;#ASMSTART
	v_dot2_f32_f16 v7, v23, v11, v7
	;;#ASMEND
	;; [unrolled: 3-line block ×8, first 2 shown]
	s_wait_dscnt 0x0
	;;#ASMSTART
	v_dot2_f32_f16 v8, v26, v10, v8
	;;#ASMEND
	;;#ASMSTART
	v_dot2_f32_f16 v8, v27, v11, v8
	;;#ASMEND
	;; [unrolled: 3-line block ×8, first 2 shown]
	ds_load_b128 v[0:3], v121 offset:16
	ds_load_b128 v[10:13], v123 offset:16
	;; [unrolled: 1-line block ×6, first 2 shown]
	s_wait_dscnt 0x4
	;;#ASMSTART
	v_dot2_f32_f16 v5, v0, v10, v5
	;;#ASMEND
	;;#ASMSTART
	v_dot2_f32_f16 v5, v1, v11, v5
	;;#ASMEND
	;;#ASMSTART
	v_dot2_f32_f16 v5, v2, v12, v5
	;;#ASMEND
	;;#ASMSTART
	v_dot2_f32_f16 v5, v3, v13, v5
	;;#ASMEND
	s_wait_dscnt 0x3
	;;#ASMSTART
	v_dot2_f32_f16 v51, v0, v14, v51
	;;#ASMEND
	;;#ASMSTART
	v_dot2_f32_f16 v51, v1, v15, v51
	;;#ASMEND
	;;#ASMSTART
	v_dot2_f32_f16 v51, v2, v16, v51
	;;#ASMEND
	;;#ASMSTART
	v_dot2_f32_f16 v51, v3, v17, v51
	;;#ASMEND
	;; [unrolled: 13-line block ×3, first 2 shown]
	;;#ASMSTART
	v_dot2_f32_f16 v52, v18, v14, v52
	;;#ASMEND
	;;#ASMSTART
	v_dot2_f32_f16 v52, v19, v15, v52
	;;#ASMEND
	;; [unrolled: 3-line block ×4, first 2 shown]
	s_wait_dscnt 0x1
	;;#ASMSTART
	v_dot2_f32_f16 v7, v22, v10, v7
	;;#ASMEND
	;;#ASMSTART
	v_dot2_f32_f16 v7, v23, v11, v7
	;;#ASMEND
	;; [unrolled: 3-line block ×8, first 2 shown]
	s_wait_dscnt 0x0
	;;#ASMSTART
	v_dot2_f32_f16 v8, v26, v10, v8
	;;#ASMEND
	;;#ASMSTART
	v_dot2_f32_f16 v8, v27, v11, v8
	;;#ASMEND
	;; [unrolled: 3-line block ×8, first 2 shown]
	ds_load_b128 v[0:3], v121 offset:32
	ds_load_b128 v[10:13], v123 offset:32
	;; [unrolled: 1-line block ×6, first 2 shown]
	s_wait_dscnt 0x4
	;;#ASMSTART
	v_dot2_f32_f16 v5, v0, v10, v5
	;;#ASMEND
	;;#ASMSTART
	v_dot2_f32_f16 v5, v1, v11, v5
	;;#ASMEND
	;;#ASMSTART
	v_dot2_f32_f16 v5, v2, v12, v5
	;;#ASMEND
	;;#ASMSTART
	v_dot2_f32_f16 v5, v3, v13, v5
	;;#ASMEND
	s_wait_dscnt 0x3
	;;#ASMSTART
	v_dot2_f32_f16 v51, v0, v14, v51
	;;#ASMEND
	;;#ASMSTART
	v_dot2_f32_f16 v51, v1, v15, v51
	;;#ASMEND
	;;#ASMSTART
	v_dot2_f32_f16 v51, v2, v16, v51
	;;#ASMEND
	;;#ASMSTART
	v_dot2_f32_f16 v51, v3, v17, v51
	;;#ASMEND
	;; [unrolled: 13-line block ×3, first 2 shown]
	;;#ASMSTART
	v_dot2_f32_f16 v52, v18, v14, v52
	;;#ASMEND
	;;#ASMSTART
	v_dot2_f32_f16 v52, v19, v15, v52
	;;#ASMEND
	;;#ASMSTART
	v_dot2_f32_f16 v52, v20, v16, v52
	;;#ASMEND
	;;#ASMSTART
	v_dot2_f32_f16 v52, v21, v17, v52
	;;#ASMEND
	s_wait_dscnt 0x1
	;;#ASMSTART
	v_dot2_f32_f16 v7, v22, v10, v7
	;;#ASMEND
	;;#ASMSTART
	v_dot2_f32_f16 v7, v23, v11, v7
	;;#ASMEND
	;;#ASMSTART
	v_dot2_f32_f16 v7, v24, v12, v7
	;;#ASMEND
	;;#ASMSTART
	v_dot2_f32_f16 v7, v25, v13, v7
	;;#ASMEND
	;;#ASMSTART
	v_dot2_f32_f16 v53, v22, v14, v53
	;;#ASMEND
	;;#ASMSTART
	v_dot2_f32_f16 v53, v23, v15, v53
	;;#ASMEND
	;;#ASMSTART
	v_dot2_f32_f16 v53, v24, v16, v53
	;;#ASMEND
	;;#ASMSTART
	v_dot2_f32_f16 v53, v25, v17, v53
	;;#ASMEND
	s_wait_dscnt 0x0
	;;#ASMSTART
	v_dot2_f32_f16 v8, v26, v10, v8
	;;#ASMEND
	;;#ASMSTART
	v_dot2_f32_f16 v8, v27, v11, v8
	;;#ASMEND
	;; [unrolled: 3-line block ×8, first 2 shown]
	ds_load_b128 v[0:3], v121 offset:48
	ds_load_b128 v[10:13], v123 offset:48
	;; [unrolled: 1-line block ×6, first 2 shown]
	s_wait_dscnt 0x4
	;;#ASMSTART
	v_dot2_f32_f16 v5, v0, v10, v5
	;;#ASMEND
	;;#ASMSTART
	v_dot2_f32_f16 v5, v1, v11, v5
	;;#ASMEND
	;;#ASMSTART
	v_dot2_f32_f16 v5, v2, v12, v5
	;;#ASMEND
	;;#ASMSTART
	v_dot2_f32_f16 v5, v3, v13, v5
	;;#ASMEND
	s_wait_dscnt 0x3
	;;#ASMSTART
	v_dot2_f32_f16 v51, v0, v14, v51
	;;#ASMEND
	;;#ASMSTART
	v_dot2_f32_f16 v51, v1, v15, v51
	;;#ASMEND
	;;#ASMSTART
	v_dot2_f32_f16 v51, v2, v16, v51
	;;#ASMEND
	;;#ASMSTART
	v_dot2_f32_f16 v51, v3, v17, v51
	;;#ASMEND
	;; [unrolled: 13-line block ×3, first 2 shown]
	;;#ASMSTART
	v_dot2_f32_f16 v52, v18, v14, v52
	;;#ASMEND
	;;#ASMSTART
	v_dot2_f32_f16 v52, v19, v15, v52
	;;#ASMEND
	;; [unrolled: 3-line block ×4, first 2 shown]
	s_wait_dscnt 0x1
	;;#ASMSTART
	v_dot2_f32_f16 v7, v22, v10, v7
	;;#ASMEND
	;;#ASMSTART
	v_dot2_f32_f16 v7, v23, v11, v7
	;;#ASMEND
	;; [unrolled: 3-line block ×8, first 2 shown]
	s_wait_dscnt 0x0
	;;#ASMSTART
	v_dot2_f32_f16 v8, v26, v10, v8
	;;#ASMEND
	;;#ASMSTART
	v_dot2_f32_f16 v8, v27, v11, v8
	;;#ASMEND
	;; [unrolled: 3-line block ×8, first 2 shown]
	ds_load_b128 v[0:3], v121 offset:64
	ds_load_b128 v[10:13], v123 offset:64
	;; [unrolled: 1-line block ×6, first 2 shown]
	s_wait_dscnt 0x4
	;;#ASMSTART
	v_dot2_f32_f16 v5, v0, v10, v5
	;;#ASMEND
	;;#ASMSTART
	v_dot2_f32_f16 v5, v1, v11, v5
	;;#ASMEND
	;;#ASMSTART
	v_dot2_f32_f16 v5, v2, v12, v5
	;;#ASMEND
	;;#ASMSTART
	v_dot2_f32_f16 v5, v3, v13, v5
	;;#ASMEND
	s_wait_dscnt 0x3
	;;#ASMSTART
	v_dot2_f32_f16 v51, v0, v14, v51
	;;#ASMEND
	;;#ASMSTART
	v_dot2_f32_f16 v51, v1, v15, v51
	;;#ASMEND
	;;#ASMSTART
	v_dot2_f32_f16 v51, v2, v16, v51
	;;#ASMEND
	;;#ASMSTART
	v_dot2_f32_f16 v51, v3, v17, v51
	;;#ASMEND
	s_wait_dscnt 0x2
	;;#ASMSTART
	v_dot2_f32_f16 v6, v18, v10, v6
	;;#ASMEND
	;;#ASMSTART
	v_dot2_f32_f16 v6, v19, v11, v6
	;;#ASMEND
	;;#ASMSTART
	v_dot2_f32_f16 v6, v20, v12, v6
	;;#ASMEND
	;;#ASMSTART
	v_dot2_f32_f16 v6, v21, v13, v6
	;;#ASMEND
	;;#ASMSTART
	v_dot2_f32_f16 v52, v18, v14, v52
	;;#ASMEND
	;;#ASMSTART
	v_dot2_f32_f16 v52, v19, v15, v52
	;;#ASMEND
	;; [unrolled: 3-line block ×4, first 2 shown]
	s_wait_dscnt 0x1
	;;#ASMSTART
	v_dot2_f32_f16 v7, v22, v10, v7
	;;#ASMEND
	;;#ASMSTART
	v_dot2_f32_f16 v7, v23, v11, v7
	;;#ASMEND
	;; [unrolled: 3-line block ×8, first 2 shown]
	s_wait_dscnt 0x0
	;;#ASMSTART
	v_dot2_f32_f16 v8, v26, v10, v8
	;;#ASMEND
	;;#ASMSTART
	v_dot2_f32_f16 v8, v27, v11, v8
	;;#ASMEND
	;; [unrolled: 3-line block ×8, first 2 shown]
	ds_load_b128 v[0:3], v121 offset:80
	ds_load_b128 v[10:13], v123 offset:80
	;; [unrolled: 1-line block ×6, first 2 shown]
	s_wait_dscnt 0x4
	;;#ASMSTART
	v_dot2_f32_f16 v5, v0, v10, v5
	;;#ASMEND
	;;#ASMSTART
	v_dot2_f32_f16 v5, v1, v11, v5
	;;#ASMEND
	;;#ASMSTART
	v_dot2_f32_f16 v5, v2, v12, v5
	;;#ASMEND
	;;#ASMSTART
	v_dot2_f32_f16 v5, v3, v13, v5
	;;#ASMEND
	s_wait_dscnt 0x3
	;;#ASMSTART
	v_dot2_f32_f16 v51, v0, v14, v51
	;;#ASMEND
	;;#ASMSTART
	v_dot2_f32_f16 v51, v1, v15, v51
	;;#ASMEND
	;;#ASMSTART
	v_dot2_f32_f16 v51, v2, v16, v51
	;;#ASMEND
	;;#ASMSTART
	v_dot2_f32_f16 v51, v3, v17, v51
	;;#ASMEND
	;; [unrolled: 13-line block ×3, first 2 shown]
	;;#ASMSTART
	v_dot2_f32_f16 v52, v18, v14, v52
	;;#ASMEND
	;;#ASMSTART
	v_dot2_f32_f16 v52, v19, v15, v52
	;;#ASMEND
	;; [unrolled: 3-line block ×4, first 2 shown]
	s_wait_dscnt 0x1
	;;#ASMSTART
	v_dot2_f32_f16 v7, v22, v10, v7
	;;#ASMEND
	;;#ASMSTART
	v_dot2_f32_f16 v7, v23, v11, v7
	;;#ASMEND
	;;#ASMSTART
	v_dot2_f32_f16 v7, v24, v12, v7
	;;#ASMEND
	;;#ASMSTART
	v_dot2_f32_f16 v7, v25, v13, v7
	;;#ASMEND
	;;#ASMSTART
	v_dot2_f32_f16 v53, v22, v14, v53
	;;#ASMEND
	;;#ASMSTART
	v_dot2_f32_f16 v53, v23, v15, v53
	;;#ASMEND
	;;#ASMSTART
	v_dot2_f32_f16 v53, v24, v16, v53
	;;#ASMEND
	;;#ASMSTART
	v_dot2_f32_f16 v53, v25, v17, v53
	;;#ASMEND
	s_wait_dscnt 0x0
	;;#ASMSTART
	v_dot2_f32_f16 v8, v26, v10, v8
	;;#ASMEND
	;;#ASMSTART
	v_dot2_f32_f16 v8, v27, v11, v8
	;;#ASMEND
	;;#ASMSTART
	v_dot2_f32_f16 v8, v28, v12, v8
	;;#ASMEND
	;;#ASMSTART
	v_dot2_f32_f16 v8, v29, v13, v8
	;;#ASMEND
	;;#ASMSTART
	v_dot2_f32_f16 v54, v26, v14, v54
	;;#ASMEND
	;;#ASMSTART
	v_dot2_f32_f16 v54, v27, v15, v54
	;;#ASMEND
	;;#ASMSTART
	v_dot2_f32_f16 v54, v28, v16, v54
	;;#ASMEND
	;;#ASMSTART
	v_dot2_f32_f16 v54, v29, v17, v54
	;;#ASMEND
	ds_load_b128 v[0:3], v121 offset:96
	ds_load_b128 v[10:13], v123 offset:96
	;; [unrolled: 1-line block ×6, first 2 shown]
	s_wait_dscnt 0x4
	;;#ASMSTART
	v_dot2_f32_f16 v5, v0, v10, v5
	;;#ASMEND
	;;#ASMSTART
	v_dot2_f32_f16 v5, v1, v11, v5
	;;#ASMEND
	;;#ASMSTART
	v_dot2_f32_f16 v5, v2, v12, v5
	;;#ASMEND
	;;#ASMSTART
	v_dot2_f32_f16 v5, v3, v13, v5
	;;#ASMEND
	s_wait_dscnt 0x3
	;;#ASMSTART
	v_dot2_f32_f16 v51, v0, v14, v51
	;;#ASMEND
	;;#ASMSTART
	v_dot2_f32_f16 v51, v1, v15, v51
	;;#ASMEND
	;;#ASMSTART
	v_dot2_f32_f16 v51, v2, v16, v51
	;;#ASMEND
	;;#ASMSTART
	v_dot2_f32_f16 v51, v3, v17, v51
	;;#ASMEND
	;; [unrolled: 13-line block ×3, first 2 shown]
	;;#ASMSTART
	v_dot2_f32_f16 v52, v18, v14, v52
	;;#ASMEND
	;;#ASMSTART
	v_dot2_f32_f16 v52, v19, v15, v52
	;;#ASMEND
	;; [unrolled: 3-line block ×4, first 2 shown]
	s_wait_dscnt 0x1
	;;#ASMSTART
	v_dot2_f32_f16 v7, v22, v10, v7
	;;#ASMEND
	;;#ASMSTART
	v_dot2_f32_f16 v7, v23, v11, v7
	;;#ASMEND
	;; [unrolled: 3-line block ×8, first 2 shown]
	s_wait_dscnt 0x0
	;;#ASMSTART
	v_dot2_f32_f16 v8, v26, v10, v8
	;;#ASMEND
	;;#ASMSTART
	v_dot2_f32_f16 v8, v27, v11, v8
	;;#ASMEND
	;; [unrolled: 3-line block ×8, first 2 shown]
	ds_load_b128 v[0:3], v121 offset:112
	ds_load_b128 v[10:13], v123 offset:112
	;; [unrolled: 1-line block ×6, first 2 shown]
	s_wait_dscnt 0x4
	;;#ASMSTART
	v_dot2_f32_f16 v5, v0, v10, v5
	;;#ASMEND
	;;#ASMSTART
	v_dot2_f32_f16 v5, v1, v11, v5
	;;#ASMEND
	;;#ASMSTART
	v_dot2_f32_f16 v5, v2, v12, v5
	;;#ASMEND
	;;#ASMSTART
	v_dot2_f32_f16 v5, v3, v13, v5
	;;#ASMEND
	s_wait_dscnt 0x3
	;;#ASMSTART
	v_dot2_f32_f16 v51, v0, v14, v51
	;;#ASMEND
	;;#ASMSTART
	v_dot2_f32_f16 v51, v1, v15, v51
	;;#ASMEND
	;;#ASMSTART
	v_dot2_f32_f16 v51, v2, v16, v51
	;;#ASMEND
	;;#ASMSTART
	v_dot2_f32_f16 v51, v3, v17, v51
	;;#ASMEND
	;; [unrolled: 13-line block ×3, first 2 shown]
	;;#ASMSTART
	v_dot2_f32_f16 v52, v18, v14, v52
	;;#ASMEND
	;;#ASMSTART
	v_dot2_f32_f16 v52, v19, v15, v52
	;;#ASMEND
	;; [unrolled: 3-line block ×4, first 2 shown]
	s_wait_dscnt 0x1
	;;#ASMSTART
	v_dot2_f32_f16 v7, v22, v10, v7
	;;#ASMEND
	;;#ASMSTART
	v_dot2_f32_f16 v7, v23, v11, v7
	;;#ASMEND
	;; [unrolled: 3-line block ×8, first 2 shown]
	s_wait_dscnt 0x0
	;;#ASMSTART
	v_dot2_f32_f16 v8, v26, v10, v8
	;;#ASMEND
	;;#ASMSTART
	v_dot2_f32_f16 v8, v27, v11, v8
	;;#ASMEND
	;;#ASMSTART
	v_dot2_f32_f16 v8, v28, v12, v8
	;;#ASMEND
	;;#ASMSTART
	v_dot2_f32_f16 v8, v29, v13, v8
	;;#ASMEND
	;;#ASMSTART
	v_dot2_f32_f16 v54, v26, v14, v54
	;;#ASMEND
	;;#ASMSTART
	v_dot2_f32_f16 v54, v27, v15, v54
	;;#ASMEND
	;;#ASMSTART
	v_dot2_f32_f16 v54, v28, v16, v54
	;;#ASMEND
	;;#ASMSTART
	v_dot2_f32_f16 v54, v29, v17, v54
	;;#ASMEND
	ds_load_b128 v[0:3], v121 offset:128
	ds_load_b128 v[10:13], v123 offset:128
	ds_load_b128 v[14:17], v123 offset:384
	ds_load_b128 v[18:21], v121 offset:8832
	ds_load_b128 v[22:25], v121 offset:17536
	ds_load_b128 v[26:29], v121 offset:26240
	s_wait_dscnt 0x4
	;;#ASMSTART
	v_dot2_f32_f16 v5, v0, v10, v5
	;;#ASMEND
	;;#ASMSTART
	v_dot2_f32_f16 v5, v1, v11, v5
	;;#ASMEND
	;;#ASMSTART
	v_dot2_f32_f16 v5, v2, v12, v5
	;;#ASMEND
	;;#ASMSTART
	v_dot2_f32_f16 v5, v3, v13, v5
	;;#ASMEND
	s_wait_dscnt 0x3
	;;#ASMSTART
	v_dot2_f32_f16 v51, v0, v14, v51
	;;#ASMEND
	;;#ASMSTART
	v_dot2_f32_f16 v51, v1, v15, v51
	;;#ASMEND
	;;#ASMSTART
	v_dot2_f32_f16 v51, v2, v16, v51
	;;#ASMEND
	;;#ASMSTART
	v_dot2_f32_f16 v51, v3, v17, v51
	;;#ASMEND
	;; [unrolled: 13-line block ×3, first 2 shown]
	;;#ASMSTART
	v_dot2_f32_f16 v52, v18, v14, v52
	;;#ASMEND
	;;#ASMSTART
	v_dot2_f32_f16 v52, v19, v15, v52
	;;#ASMEND
	;;#ASMSTART
	v_dot2_f32_f16 v52, v20, v16, v52
	;;#ASMEND
	;;#ASMSTART
	v_dot2_f32_f16 v52, v21, v17, v52
	;;#ASMEND
	s_wait_dscnt 0x1
	;;#ASMSTART
	v_dot2_f32_f16 v7, v22, v10, v7
	;;#ASMEND
	;;#ASMSTART
	v_dot2_f32_f16 v7, v23, v11, v7
	;;#ASMEND
	;; [unrolled: 3-line block ×8, first 2 shown]
	s_wait_dscnt 0x0
	;;#ASMSTART
	v_dot2_f32_f16 v8, v26, v10, v8
	;;#ASMEND
	;;#ASMSTART
	v_dot2_f32_f16 v8, v27, v11, v8
	;;#ASMEND
	;; [unrolled: 3-line block ×8, first 2 shown]
	ds_load_b128 v[0:3], v121 offset:144
	ds_load_b128 v[10:13], v123 offset:144
	;; [unrolled: 1-line block ×6, first 2 shown]
	s_wait_dscnt 0x4
	;;#ASMSTART
	v_dot2_f32_f16 v5, v0, v10, v5
	;;#ASMEND
	;;#ASMSTART
	v_dot2_f32_f16 v5, v1, v11, v5
	;;#ASMEND
	;;#ASMSTART
	v_dot2_f32_f16 v5, v2, v12, v5
	;;#ASMEND
	;;#ASMSTART
	v_dot2_f32_f16 v5, v3, v13, v5
	;;#ASMEND
	s_wait_dscnt 0x3
	;;#ASMSTART
	v_dot2_f32_f16 v51, v0, v14, v51
	;;#ASMEND
	;;#ASMSTART
	v_dot2_f32_f16 v51, v1, v15, v51
	;;#ASMEND
	;;#ASMSTART
	v_dot2_f32_f16 v51, v2, v16, v51
	;;#ASMEND
	;;#ASMSTART
	v_dot2_f32_f16 v51, v3, v17, v51
	;;#ASMEND
	;; [unrolled: 13-line block ×3, first 2 shown]
	;;#ASMSTART
	v_dot2_f32_f16 v52, v18, v14, v52
	;;#ASMEND
	;;#ASMSTART
	v_dot2_f32_f16 v52, v19, v15, v52
	;;#ASMEND
	;; [unrolled: 3-line block ×4, first 2 shown]
	s_wait_dscnt 0x1
	;;#ASMSTART
	v_dot2_f32_f16 v7, v22, v10, v7
	;;#ASMEND
	;;#ASMSTART
	v_dot2_f32_f16 v7, v23, v11, v7
	;;#ASMEND
	;;#ASMSTART
	v_dot2_f32_f16 v7, v24, v12, v7
	;;#ASMEND
	;;#ASMSTART
	v_dot2_f32_f16 v7, v25, v13, v7
	;;#ASMEND
	;;#ASMSTART
	v_dot2_f32_f16 v53, v22, v14, v53
	;;#ASMEND
	;;#ASMSTART
	v_dot2_f32_f16 v53, v23, v15, v53
	;;#ASMEND
	;;#ASMSTART
	v_dot2_f32_f16 v53, v24, v16, v53
	;;#ASMEND
	;;#ASMSTART
	v_dot2_f32_f16 v53, v25, v17, v53
	;;#ASMEND
	s_wait_dscnt 0x0
	;;#ASMSTART
	v_dot2_f32_f16 v8, v26, v10, v8
	;;#ASMEND
	;;#ASMSTART
	v_dot2_f32_f16 v8, v27, v11, v8
	;;#ASMEND
	;; [unrolled: 3-line block ×8, first 2 shown]
	ds_load_b128 v[0:3], v121 offset:160
	ds_load_b128 v[10:13], v123 offset:160
	;; [unrolled: 1-line block ×6, first 2 shown]
	s_wait_dscnt 0x4
	;;#ASMSTART
	v_dot2_f32_f16 v5, v0, v10, v5
	;;#ASMEND
	;;#ASMSTART
	v_dot2_f32_f16 v5, v1, v11, v5
	;;#ASMEND
	;;#ASMSTART
	v_dot2_f32_f16 v5, v2, v12, v5
	;;#ASMEND
	;;#ASMSTART
	v_dot2_f32_f16 v5, v3, v13, v5
	;;#ASMEND
	s_wait_dscnt 0x3
	;;#ASMSTART
	v_dot2_f32_f16 v51, v0, v14, v51
	;;#ASMEND
	;;#ASMSTART
	v_dot2_f32_f16 v51, v1, v15, v51
	;;#ASMEND
	;;#ASMSTART
	v_dot2_f32_f16 v51, v2, v16, v51
	;;#ASMEND
	;;#ASMSTART
	v_dot2_f32_f16 v51, v3, v17, v51
	;;#ASMEND
	;; [unrolled: 13-line block ×3, first 2 shown]
	;;#ASMSTART
	v_dot2_f32_f16 v52, v18, v14, v52
	;;#ASMEND
	;;#ASMSTART
	v_dot2_f32_f16 v52, v19, v15, v52
	;;#ASMEND
	;; [unrolled: 3-line block ×4, first 2 shown]
	s_wait_dscnt 0x1
	;;#ASMSTART
	v_dot2_f32_f16 v7, v22, v10, v7
	;;#ASMEND
	;;#ASMSTART
	v_dot2_f32_f16 v7, v23, v11, v7
	;;#ASMEND
	;; [unrolled: 3-line block ×8, first 2 shown]
	s_wait_dscnt 0x0
	;;#ASMSTART
	v_dot2_f32_f16 v8, v26, v10, v8
	;;#ASMEND
	;;#ASMSTART
	v_dot2_f32_f16 v8, v27, v11, v8
	;;#ASMEND
	;; [unrolled: 3-line block ×8, first 2 shown]
	ds_load_b128 v[0:3], v121 offset:176
	ds_load_b128 v[10:13], v123 offset:176
	;; [unrolled: 1-line block ×6, first 2 shown]
	s_wait_dscnt 0x4
	;;#ASMSTART
	v_dot2_f32_f16 v5, v0, v10, v5
	;;#ASMEND
	;;#ASMSTART
	v_dot2_f32_f16 v5, v1, v11, v5
	;;#ASMEND
	;;#ASMSTART
	v_dot2_f32_f16 v5, v2, v12, v5
	;;#ASMEND
	;;#ASMSTART
	v_dot2_f32_f16 v5, v3, v13, v5
	;;#ASMEND
	s_wait_dscnt 0x3
	;;#ASMSTART
	v_dot2_f32_f16 v51, v0, v14, v51
	;;#ASMEND
	;;#ASMSTART
	v_dot2_f32_f16 v51, v1, v15, v51
	;;#ASMEND
	;;#ASMSTART
	v_dot2_f32_f16 v51, v2, v16, v51
	;;#ASMEND
	;;#ASMSTART
	v_dot2_f32_f16 v51, v3, v17, v51
	;;#ASMEND
	;; [unrolled: 13-line block ×3, first 2 shown]
	;;#ASMSTART
	v_dot2_f32_f16 v52, v18, v14, v52
	;;#ASMEND
	;;#ASMSTART
	v_dot2_f32_f16 v52, v19, v15, v52
	;;#ASMEND
	;; [unrolled: 3-line block ×4, first 2 shown]
	s_wait_dscnt 0x1
	;;#ASMSTART
	v_dot2_f32_f16 v7, v22, v10, v7
	;;#ASMEND
	;;#ASMSTART
	v_dot2_f32_f16 v7, v23, v11, v7
	;;#ASMEND
	;; [unrolled: 3-line block ×8, first 2 shown]
	s_wait_dscnt 0x0
	;;#ASMSTART
	v_dot2_f32_f16 v8, v26, v10, v8
	;;#ASMEND
	;;#ASMSTART
	v_dot2_f32_f16 v8, v27, v11, v8
	;;#ASMEND
	;; [unrolled: 3-line block ×8, first 2 shown]
	ds_load_b128 v[0:3], v121 offset:192
	ds_load_b128 v[10:13], v123 offset:192
	;; [unrolled: 1-line block ×6, first 2 shown]
	s_wait_dscnt 0x4
	;;#ASMSTART
	v_dot2_f32_f16 v5, v0, v10, v5
	;;#ASMEND
	;;#ASMSTART
	v_dot2_f32_f16 v5, v1, v11, v5
	;;#ASMEND
	;;#ASMSTART
	v_dot2_f32_f16 v5, v2, v12, v5
	;;#ASMEND
	;;#ASMSTART
	v_dot2_f32_f16 v5, v3, v13, v5
	;;#ASMEND
	s_wait_dscnt 0x3
	;;#ASMSTART
	v_dot2_f32_f16 v51, v0, v14, v51
	;;#ASMEND
	;;#ASMSTART
	v_dot2_f32_f16 v51, v1, v15, v51
	;;#ASMEND
	;;#ASMSTART
	v_dot2_f32_f16 v51, v2, v16, v51
	;;#ASMEND
	;;#ASMSTART
	v_dot2_f32_f16 v51, v3, v17, v51
	;;#ASMEND
	;; [unrolled: 13-line block ×3, first 2 shown]
	;;#ASMSTART
	v_dot2_f32_f16 v52, v18, v14, v52
	;;#ASMEND
	;;#ASMSTART
	v_dot2_f32_f16 v52, v19, v15, v52
	;;#ASMEND
	;; [unrolled: 3-line block ×4, first 2 shown]
	s_wait_dscnt 0x1
	;;#ASMSTART
	v_dot2_f32_f16 v7, v22, v10, v7
	;;#ASMEND
	;;#ASMSTART
	v_dot2_f32_f16 v7, v23, v11, v7
	;;#ASMEND
	;; [unrolled: 3-line block ×8, first 2 shown]
	s_wait_dscnt 0x0
	;;#ASMSTART
	v_dot2_f32_f16 v8, v26, v10, v8
	;;#ASMEND
	;;#ASMSTART
	v_dot2_f32_f16 v8, v27, v11, v8
	;;#ASMEND
	;; [unrolled: 3-line block ×8, first 2 shown]
	ds_load_b128 v[0:3], v121 offset:208
	ds_load_b128 v[10:13], v123 offset:208
	;; [unrolled: 1-line block ×6, first 2 shown]
	s_wait_dscnt 0x4
	;;#ASMSTART
	v_dot2_f32_f16 v5, v0, v10, v5
	;;#ASMEND
	;;#ASMSTART
	v_dot2_f32_f16 v5, v1, v11, v5
	;;#ASMEND
	;;#ASMSTART
	v_dot2_f32_f16 v5, v2, v12, v5
	;;#ASMEND
	;;#ASMSTART
	v_dot2_f32_f16 v5, v3, v13, v5
	;;#ASMEND
	s_wait_dscnt 0x3
	;;#ASMSTART
	v_dot2_f32_f16 v51, v0, v14, v51
	;;#ASMEND
	;;#ASMSTART
	v_dot2_f32_f16 v51, v1, v15, v51
	;;#ASMEND
	;;#ASMSTART
	v_dot2_f32_f16 v51, v2, v16, v51
	;;#ASMEND
	;;#ASMSTART
	v_dot2_f32_f16 v51, v3, v17, v51
	;;#ASMEND
	;; [unrolled: 13-line block ×3, first 2 shown]
	;;#ASMSTART
	v_dot2_f32_f16 v52, v18, v14, v52
	;;#ASMEND
	;;#ASMSTART
	v_dot2_f32_f16 v52, v19, v15, v52
	;;#ASMEND
	;; [unrolled: 3-line block ×4, first 2 shown]
	s_wait_dscnt 0x1
	;;#ASMSTART
	v_dot2_f32_f16 v7, v22, v10, v7
	;;#ASMEND
	;;#ASMSTART
	v_dot2_f32_f16 v7, v23, v11, v7
	;;#ASMEND
	;; [unrolled: 3-line block ×8, first 2 shown]
	s_wait_dscnt 0x0
	;;#ASMSTART
	v_dot2_f32_f16 v8, v26, v10, v8
	;;#ASMEND
	;;#ASMSTART
	v_dot2_f32_f16 v8, v27, v11, v8
	;;#ASMEND
	;; [unrolled: 3-line block ×8, first 2 shown]
	ds_load_b128 v[0:3], v121 offset:224
	ds_load_b128 v[10:13], v123 offset:224
	;; [unrolled: 1-line block ×6, first 2 shown]
	s_wait_dscnt 0x4
	;;#ASMSTART
	v_dot2_f32_f16 v5, v0, v10, v5
	;;#ASMEND
	;;#ASMSTART
	v_dot2_f32_f16 v5, v1, v11, v5
	;;#ASMEND
	;;#ASMSTART
	v_dot2_f32_f16 v5, v2, v12, v5
	;;#ASMEND
	;;#ASMSTART
	v_dot2_f32_f16 v5, v3, v13, v5
	;;#ASMEND
	s_wait_dscnt 0x3
	;;#ASMSTART
	v_dot2_f32_f16 v51, v0, v14, v51
	;;#ASMEND
	;;#ASMSTART
	v_dot2_f32_f16 v51, v1, v15, v51
	;;#ASMEND
	;;#ASMSTART
	v_dot2_f32_f16 v51, v2, v16, v51
	;;#ASMEND
	;;#ASMSTART
	v_dot2_f32_f16 v51, v3, v17, v51
	;;#ASMEND
	;; [unrolled: 13-line block ×3, first 2 shown]
	;;#ASMSTART
	v_dot2_f32_f16 v52, v18, v14, v52
	;;#ASMEND
	;;#ASMSTART
	v_dot2_f32_f16 v52, v19, v15, v52
	;;#ASMEND
	;; [unrolled: 3-line block ×4, first 2 shown]
	s_wait_dscnt 0x1
	;;#ASMSTART
	v_dot2_f32_f16 v7, v22, v10, v7
	;;#ASMEND
	;;#ASMSTART
	v_dot2_f32_f16 v7, v23, v11, v7
	;;#ASMEND
	;; [unrolled: 3-line block ×8, first 2 shown]
	s_wait_dscnt 0x0
	;;#ASMSTART
	v_dot2_f32_f16 v8, v26, v10, v8
	;;#ASMEND
	;;#ASMSTART
	v_dot2_f32_f16 v8, v27, v11, v8
	;;#ASMEND
	;; [unrolled: 3-line block ×8, first 2 shown]
	ds_load_b128 v[10:13], v121 offset:240
	ds_load_b128 v[14:17], v123 offset:240
	;; [unrolled: 1-line block ×6, first 2 shown]
	s_wait_dscnt 0x4
	;;#ASMSTART
	v_dot2_f32_f16 v5, v10, v14, v5
	;;#ASMEND
	;;#ASMSTART
	v_dot2_f32_f16 v5, v11, v15, v5
	;;#ASMEND
	;;#ASMSTART
	v_dot2_f32_f16 v5, v12, v16, v5
	;;#ASMEND
	;;#ASMSTART
	v_dot2_f32_f16 v5, v13, v17, v5
	;;#ASMEND
	s_wait_dscnt 0x3
	;;#ASMSTART
	v_dot2_f32_f16 v51, v10, v18, v51
	;;#ASMEND
	;;#ASMSTART
	v_dot2_f32_f16 v51, v11, v19, v51
	;;#ASMEND
	;;#ASMSTART
	v_dot2_f32_f16 v51, v12, v20, v51
	;;#ASMEND
	;;#ASMSTART
	v_dot2_f32_f16 v51, v13, v21, v51
	;;#ASMEND
	;; [unrolled: 13-line block ×3, first 2 shown]
	;;#ASMSTART
	v_dot2_f32_f16 v52, v22, v18, v52
	;;#ASMEND
	;;#ASMSTART
	v_dot2_f32_f16 v52, v23, v19, v52
	;;#ASMEND
	;; [unrolled: 3-line block ×4, first 2 shown]
	s_wait_dscnt 0x1
	;;#ASMSTART
	v_dot2_f32_f16 v7, v26, v14, v7
	;;#ASMEND
	;;#ASMSTART
	v_dot2_f32_f16 v7, v27, v15, v7
	;;#ASMEND
	v_dual_mov_b32 v9, 0 :: v_dual_add_nc_u32 v0, s18, v128
	;;#ASMSTART
	v_dot2_f32_f16 v7, v28, v16, v7
	;;#ASMEND
	;;#ASMSTART
	v_dot2_f32_f16 v7, v29, v17, v7
	;;#ASMEND
	;; [unrolled: 3-line block ×6, first 2 shown]
	s_wait_dscnt 0x0
	;;#ASMSTART
	v_dot2_f32_f16 v8, v36, v14, v8
	;;#ASMEND
	v_add_nc_u32_e32 v1, v0, v124
	;;#ASMSTART
	v_dot2_f32_f16 v8, v37, v15, v8
	;;#ASMEND
	;;#ASMSTART
	v_dot2_f32_f16 v8, v38, v16, v8
	;;#ASMEND
	;; [unrolled: 3-line block ×7, first 2 shown]
	s_cbranch_vccnz .LBB59_10
; %bb.9:                                ;   in Loop: Header=BB59_8 Depth=1
	global_load_u16 v2, v1, s[14:15] scale_offset
	s_wait_loadcnt 0x0
	v_cvt_f32_f16_e32 v2, v2
	s_delay_alu instid0(VALU_DEP_1)
	v_mul_f32_e32 v9, v77, v2
.LBB59_10:                              ;   in Loop: Header=BB59_8 Depth=1
	v_dual_mov_b32 v2, 0 :: v_dual_mov_b32 v4, 0
	s_and_not1_b32 vcc_lo, exec_lo, s10
	s_cbranch_vccnz .LBB59_12
; %bb.11:                               ;   in Loop: Header=BB59_8 Depth=1
	global_load_u16 v3, v1, s[14:15] offset:64 scale_offset
	s_wait_loadcnt 0x0
	v_cvt_f32_f16_e32 v3, v3
	s_delay_alu instid0(VALU_DEP_1)
	v_mul_f32_e32 v4, v77, v3
.LBB59_12:                              ;   in Loop: Header=BB59_8 Depth=1
	s_and_not1_b32 vcc_lo, exec_lo, s10
	s_cbranch_vccnz .LBB59_14
; %bb.13:                               ;   in Loop: Header=BB59_8 Depth=1
	global_load_u16 v2, v1, s[14:15] offset:128 scale_offset
	s_wait_loadcnt 0x0
	v_cvt_f32_f16_e32 v2, v2
	s_delay_alu instid0(VALU_DEP_1)
	v_mul_f32_e32 v2, v77, v2
.LBB59_14:                              ;   in Loop: Header=BB59_8 Depth=1
	v_dual_mov_b32 v42, 0 :: v_dual_mov_b32 v3, 0
	s_and_not1_b32 vcc_lo, exec_lo, s10
	s_cbranch_vccnz .LBB59_16
; %bb.15:                               ;   in Loop: Header=BB59_8 Depth=1
	global_load_u16 v1, v1, s[14:15] offset:192 scale_offset
	s_wait_loadcnt 0x0
	v_cvt_f32_f16_e32 v1, v1
	s_delay_alu instid0(VALU_DEP_1)
	v_mul_f32_e32 v3, v77, v1
.LBB59_16:                              ;   in Loop: Header=BB59_8 Depth=1
	s_delay_alu instid0(VALU_DEP_2) | instskip(SKIP_2) | instid1(VALU_DEP_3)
	v_dual_add_f32 v39, v7, v2 :: v_dual_bitop2_b32 v1, 16, v153 bitop3:0x14
	v_dual_add_f32 v37, v5, v9 :: v_dual_add_f32 v38, v6, v4
	v_add_nc_u32_e32 v0, v0, v152
	v_cmp_gt_i32_e32 vcc_lo, 32, v1
	s_delay_alu instid0(VALU_DEP_3) | instskip(NEXT) | instid1(VALU_DEP_4)
	v_add_f32_e32 v2, 0x40051340, v37
	v_dual_add_f32 v4, 0x40051340, v38 :: v_dual_cndmask_b32 v1, v153, v1
	v_add_f32_e32 v40, v8, v3
	v_add_f32_e32 v3, 0x40051340, v39
	s_delay_alu instid0(VALU_DEP_3) | instskip(NEXT) | instid1(VALU_DEP_3)
	v_max3_num_f32 v2, v35, v2, v4
	v_dual_add_f32 v4, 0x40051340, v40 :: v_dual_lshlrev_b32 v43, 2, v1
	s_delay_alu instid0(VALU_DEP_1) | instskip(SKIP_3) | instid1(VALU_DEP_1)
	v_max3_num_f32 v1, v2, v3, v4
	ds_bpermute_b32 v2, v43, v1
	s_wait_dscnt 0x0
	v_dual_max_num_f32 v2, v2, v2 :: v_dual_bitop2_b32 v3, 8, v153 bitop3:0x14
	v_cmp_gt_i32_e32 vcc_lo, 32, v3
	s_delay_alu instid0(VALU_DEP_2) | instskip(SKIP_1) | instid1(VALU_DEP_1)
	v_max_num_f32_e32 v1, v1, v2
	v_cndmask_b32_e32 v3, v153, v3, vcc_lo
	v_lshlrev_b32_e32 v44, 2, v3
	ds_bpermute_b32 v2, v44, v1
	s_wait_dscnt 0x0
	v_dual_max_num_f32 v2, v2, v2 :: v_dual_bitop2_b32 v3, 4, v153 bitop3:0x14
	s_delay_alu instid0(VALU_DEP_1) | instskip(NEXT) | instid1(VALU_DEP_2)
	v_cmp_gt_i32_e32 vcc_lo, 32, v3
	v_max_num_f32_e32 v1, v1, v2
	v_cndmask_b32_e32 v3, v153, v3, vcc_lo
	s_delay_alu instid0(VALU_DEP_1) | instskip(SKIP_3) | instid1(VALU_DEP_1)
	v_lshlrev_b32_e32 v45, 2, v3
	ds_bpermute_b32 v2, v45, v1
	s_wait_dscnt 0x0
	v_dual_max_num_f32 v2, v2, v2 :: v_dual_bitop2_b32 v3, 2, v153 bitop3:0x14
	v_max_num_f32_e32 v1, v1, v2
	s_delay_alu instid0(VALU_DEP_2) | instskip(SKIP_1) | instid1(VALU_DEP_1)
	v_cmp_gt_i32_e32 vcc_lo, 32, v3
	v_cndmask_b32_e32 v3, v153, v3, vcc_lo
	v_dual_lshlrev_b32 v41, 2, v3 :: v_dual_bitop2_b32 v3, 1, v153 bitop3:0x14
	ds_bpermute_b32 v2, v41, v1
	v_cmp_gt_i32_e32 vcc_lo, 32, v3
	v_cndmask_b32_e32 v3, v153, v3, vcc_lo
	s_and_not1_b32 vcc_lo, exec_lo, s10
	s_wait_dscnt 0x0
	s_delay_alu instid0(VALU_DEP_1) | instskip(NEXT) | instid1(VALU_DEP_1)
	v_dual_max_num_f32 v2, v2, v2 :: v_dual_lshlrev_b32 v36, 2, v3
	v_max_num_f32_e32 v46, v1, v2
	ds_bpermute_b32 v47, v36, v46
	s_cbranch_vccnz .LBB59_18
; %bb.17:                               ;   in Loop: Header=BB59_8 Depth=1
	global_load_u16 v1, v0, s[14:15] scale_offset
	s_wait_loadcnt 0x0
	v_cvt_f32_f16_e32 v1, v1
	s_delay_alu instid0(VALU_DEP_1)
	v_mul_f32_e32 v42, v77, v1
.LBB59_18:                              ;   in Loop: Header=BB59_8 Depth=1
	v_dual_mov_b32 v48, 0 :: v_dual_mov_b32 v49, 0
	s_and_not1_b32 vcc_lo, exec_lo, s10
	s_cbranch_vccnz .LBB59_20
; %bb.19:                               ;   in Loop: Header=BB59_8 Depth=1
	global_load_u16 v1, v0, s[14:15] offset:64 scale_offset
	s_wait_loadcnt 0x0
	v_cvt_f32_f16_e32 v1, v1
	s_delay_alu instid0(VALU_DEP_1)
	v_mul_f32_e32 v49, v77, v1
.LBB59_20:                              ;   in Loop: Header=BB59_8 Depth=1
	s_and_not1_b32 vcc_lo, exec_lo, s10
	s_cbranch_vccnz .LBB59_22
; %bb.21:                               ;   in Loop: Header=BB59_8 Depth=1
	global_load_u16 v1, v0, s[14:15] offset:128 scale_offset
	s_wait_loadcnt 0x0
	v_cvt_f32_f16_e32 v1, v1
	s_delay_alu instid0(VALU_DEP_1)
	v_mul_f32_e32 v48, v77, v1
.LBB59_22:                              ;   in Loop: Header=BB59_8 Depth=1
	s_and_not1_b32 vcc_lo, exec_lo, s10
	s_cbranch_vccnz .LBB59_24
; %bb.23:                               ;   in Loop: Header=BB59_8 Depth=1
	global_load_u16 v0, v0, s[14:15] offset:192 scale_offset
	s_wait_loadcnt 0x0
	v_cvt_f32_f16_e32 v0, v0
	s_delay_alu instid0(VALU_DEP_1)
	v_mul_f32_e32 v50, v77, v0
	s_branch .LBB59_25
.LBB59_24:                              ;   in Loop: Header=BB59_8 Depth=1
	v_mov_b32_e32 v50, 0
.LBB59_25:                              ;   in Loop: Header=BB59_8 Depth=1
	s_mul_u64 s[12:13], s[18:19], s[22:23]
	s_wait_dscnt 0x0
	s_lshl_b64 s[12:13], s[12:13], 2
	s_barrier_signal -1
	s_add_nc_u64 s[12:13], s[26:27], s[12:13]
	s_barrier_wait -1
	v_lshl_add_u64 v[0:1], v[82:83], 2, s[12:13]
	v_lshl_add_u64 v[2:3], v[86:87], 2, s[12:13]
	;; [unrolled: 1-line block ×5, first 2 shown]
	v_add_nc_u64_e32 v[56:57], v[0:1], v[78:79]
	v_lshl_add_u64 v[0:1], v[94:95], 2, s[12:13]
	v_add_nc_u64_e32 v[58:59], v[2:3], v[78:79]
	v_lshl_add_u64 v[2:3], v[98:99], 2, s[12:13]
	;; [unrolled: 2-line block ×3, first 2 shown]
	v_add_nc_u64_e32 v[62:63], v[0:1], v[78:79]
	v_add_nc_u64_e32 v[68:69], v[6:7], v[78:79]
	v_add_nc_u64_e32 v[64:65], v[2:3], v[78:79]
	s_delay_alu instid0(VALU_DEP_4)
	v_add_nc_u64_e32 v[66:67], v[4:5], v[78:79]
	v_add_nc_u64_e32 v[70:71], v[8:9], v[78:79]
	s_clause 0x7
	global_load_b128 v[0:3], v[56:57], off
	global_load_b128 v[4:7], v[58:59], off
	;; [unrolled: 1-line block ×8, first 2 shown]
	v_dual_add_f32 v42, v51, v42 :: v_dual_add_f32 v49, v52, v49
	v_dual_add_f32 v48, v53, v48 :: v_dual_add_f32 v50, v54, v50
	v_max_num_f32_e32 v46, v46, v46
	s_delay_alu instid0(VALU_DEP_3) | instskip(NEXT) | instid1(VALU_DEP_3)
	v_dual_add_f32 v51, 0x40051340, v42 :: v_dual_add_f32 v52, 0x40051340, v49
	v_dual_add_f32 v53, 0x40051340, v48 :: v_dual_add_f32 v54, 0x40051340, v50
	s_delay_alu instid0(VALU_DEP_2) | instskip(NEXT) | instid1(VALU_DEP_1)
	v_max3_num_f32 v51, v34, v51, v52
	v_max3_num_f32 v51, v51, v53, v54
	ds_bpermute_b32 v43, v43, v51
	s_wait_dscnt 0x0
	v_max_num_f32_e32 v43, v43, v43
	s_delay_alu instid0(VALU_DEP_1) | instskip(SKIP_4) | instid1(VALU_DEP_1)
	v_max_num_f32_e32 v43, v51, v43
	v_add_nc_u32_e32 v51, 0x800, v75
	ds_bpermute_b32 v44, v44, v43
	s_wait_dscnt 0x0
	v_max_num_f32_e32 v44, v44, v44
	v_max_num_f32_e32 v43, v43, v44
	;; [unrolled: 1-line block ×3, first 2 shown]
	v_add_nc_u32_e32 v47, v120, v139
	ds_bpermute_b32 v45, v45, v43
	s_wait_xcnt 0x7
	v_dual_max_num_f32 v132, v46, v44 :: v_dual_add_nc_u32 v57, 0x1800, v75
	v_add_nc_u32_e32 v56, 0x1000, v75
	s_delay_alu instid0(VALU_DEP_2) | instskip(SKIP_2) | instid1(VALU_DEP_3)
	v_dual_sub_f32 v35, v35, v132 :: v_dual_add_nc_u32 v154, 0x2000, v75
	v_dual_sub_f32 v38, v38, v132 :: v_dual_sub_f32 v44, v40, v132
	v_dual_sub_f32 v37, v37, v132 :: v_dual_sub_f32 v39, v39, v132
	v_cmp_ngt_f32_e32 vcc_lo, 0xc2ce8ed0, v35
	s_wait_dscnt 0x0
	s_delay_alu instid0(VALU_DEP_3) | instskip(NEXT) | instid1(VALU_DEP_3)
	v_dual_max_num_f32 v45, v45, v45 :: v_dual_mul_f32 v46, 0x3fb8aa3b, v38
	v_dual_mul_f32 v40, 0x3fb8aa3b, v37 :: v_dual_mul_f32 v53, 0x3fb8aa3b, v44
	s_delay_alu instid0(VALU_DEP_2) | instskip(SKIP_1) | instid1(VALU_DEP_3)
	v_max_num_f32_e32 v43, v43, v45
	s_wait_xcnt 0x6
	v_fma_f32 v59, 0x3fb8aa3b, v38, -v46
	v_rndne_f32_e32 v45, v46
	s_wait_xcnt 0x4
	v_rndne_f32_e32 v63, v53
	v_fma_f32 v62, 0x3fb8aa3b, v44, -v53
	ds_bpermute_b32 v41, v41, v43
	v_mul_f32_e32 v52, 0x3fb8aa3b, v39
	v_dual_fmac_f32 v59, 0x32a5705f, v38 :: v_dual_sub_f32 v46, v46, v45
	v_dual_sub_f32 v53, v53, v63 :: v_dual_fmac_f32 v62, 0x32a5705f, v44
	v_mul_f32_e32 v54, 0x3fb8aa3b, v35
	v_fma_f32 v55, 0x3fb8aa3b, v37, -v40
	v_rndne_f32_e32 v58, v40
	v_cvt_i32_f32_e32 v45, v45
	v_add_f32_e32 v53, v53, v62
	s_wait_xcnt 0x3
	v_fma_f32 v64, 0x3fb8aa3b, v35, -v54
	v_rndne_f32_e32 v65, v54
	v_dual_fmac_f32 v55, 0x32a5705f, v37 :: v_dual_sub_f32 v40, v40, v58
	v_cvt_i32_f32_e32 v58, v58
	v_exp_f32_e32 v53, v53
	s_delay_alu instid0(VALU_DEP_3)
	v_sub_f32_e32 v54, v54, v65
	v_cvt_i32_f32_e32 v65, v65
	s_wait_dscnt 0x0
	v_dual_add_f32 v40, v40, v55 :: v_dual_max_num_f32 v41, v41, v41
	v_fma_f32 v60, 0x3fb8aa3b, v39, -v52
	v_rndne_f32_e32 v61, v52
	s_delay_alu instid0(VALU_DEP_3) | instskip(NEXT) | instid1(VALU_DEP_2)
	v_exp_f32_e32 v40, v40
	v_dual_max_num_f32 v41, v43, v41 :: v_dual_fmac_f32 v60, 0x32a5705f, v39
	s_delay_alu instid0(VALU_DEP_2)
	v_dual_sub_f32 v52, v52, v61 :: v_dual_add_f32 v46, v46, v59
	v_cvt_i32_f32_e32 v61, v61
	ds_bpermute_b32 v36, v36, v41
	v_ldexp_f32 v40, v40, v58
	v_add_f32_e32 v52, v52, v60
	v_exp_f32_e32 v46, v46
	s_delay_alu instid0(VALU_DEP_1) | instskip(NEXT) | instid1(TRANS32_DEP_2)
	v_exp_f32_e32 v52, v52
	v_ldexp_f32 v45, v46, v45
	v_fmac_f32_e32 v64, 0x32a5705f, v35
	s_delay_alu instid0(TRANS32_DEP_1) | instskip(NEXT) | instid1(VALU_DEP_2)
	v_ldexp_f32 v46, v52, v61
	v_add_f32_e32 v54, v54, v64
	s_delay_alu instid0(VALU_DEP_1) | instskip(SKIP_2) | instid1(VALU_DEP_1)
	v_exp_f32_e32 v43, v54
	v_nop
	v_cvt_i32_f32_e32 v54, v63
	v_ldexp_f32 v52, v53, v54
	s_delay_alu instid0(TRANS32_DEP_1) | instskip(NEXT) | instid1(VALU_DEP_1)
	v_ldexp_f32 v43, v43, v65
	v_cndmask_b32_e32 v43, 0, v43, vcc_lo
	v_cmp_ngt_f32_e32 vcc_lo, 0xc2ce8ed0, v37
	v_cndmask_b32_e32 v40, 0, v40, vcc_lo
	v_cmp_ngt_f32_e32 vcc_lo, 0xc2ce8ed0, v38
	v_cndmask_b32_e32 v45, 0, v45, vcc_lo
	v_cmp_nlt_f32_e32 vcc_lo, 0x42b17218, v35
	v_cndmask_b32_e32 v112, 0x7f800000, v43, vcc_lo
	v_cmp_ngt_f32_e32 vcc_lo, 0xc2ce8ed0, v39
	v_cndmask_b32_e32 v35, 0, v46, vcc_lo
	v_cmp_ngt_f32_e32 vcc_lo, 0xc2ce8ed0, v44
	v_cndmask_b32_e32 v43, 0, v52, vcc_lo
	s_wait_dscnt 0x0
	v_max_num_f32_e32 v52, v36, v36
	v_cmp_nlt_f32_e32 vcc_lo, 0x42b17218, v37
	s_delay_alu instid0(VALU_DEP_2) | instskip(SKIP_3) | instid1(VALU_DEP_4)
	v_max_num_f32_e32 v133, v41, v52
	v_cndmask_b32_e32 v36, 0x7f800000, v40, vcc_lo
	v_cmp_nlt_f32_e32 vcc_lo, 0x42b17218, v38
	v_cvt_f16_f32_e32 v46, v112
	v_sub_f32_e32 v41, v48, v133
	v_cndmask_b32_e32 v38, 0x7f800000, v45, vcc_lo
	v_cmp_nlt_f32_e32 vcc_lo, 0x42b17218, v39
	s_delay_alu instid0(VALU_DEP_4) | instskip(SKIP_2) | instid1(VALU_DEP_3)
	v_and_b32_e32 v37, 0xffff, v46
	v_dual_sub_f32 v39, v49, v133 :: v_dual_cndmask_b32 v40, 0x7f800000, v35
	v_sub_f32_e32 v35, v42, v133
	v_mul_u32_u24_e32 v155, 0x10001, v37
	v_sub_f32_e32 v34, v34, v133
	v_sub_f32_e32 v42, v50, v133
	v_cmp_nlt_f32_e32 vcc_lo, 0x42b17218, v44
	v_dual_mul_f32 v37, 0x3fb8aa3b, v35 :: v_dual_mul_f32 v44, 0x3fb8aa3b, v41
	v_pk_mul_f16 v193, v33, v155
	s_delay_alu instid0(VALU_DEP_2) | instskip(SKIP_1) | instid1(VALU_DEP_4)
	v_fma_f32 v48, 0x3fb8aa3b, v35, -v37
	v_rndne_f32_e32 v49, v37
	v_fma_f32 v53, 0x3fb8aa3b, v41, -v44
	v_rndne_f32_e32 v54, v44
	s_delay_alu instid0(VALU_DEP_3) | instskip(SKIP_1) | instid1(VALU_DEP_4)
	v_dual_fmac_f32 v48, 0x32a5705f, v35 :: v_dual_sub_f32 v37, v37, v49
	v_mul_f32_e32 v46, 0x3fb8aa3b, v34
	v_fmac_f32_e32 v53, 0x32a5705f, v41
	v_cvt_i32_f32_e32 v49, v49
	s_delay_alu instid0(VALU_DEP_4) | instskip(NEXT) | instid1(VALU_DEP_4)
	v_add_f32_e32 v37, v37, v48
	v_rndne_f32_e32 v60, v46
	v_mul_f32_e32 v45, 0x3fb8aa3b, v42
	v_fma_f32 v59, 0x3fb8aa3b, v34, -v46
	s_delay_alu instid0(VALU_DEP_4) | instskip(NEXT) | instid1(VALU_DEP_3)
	v_exp_f32_e32 v37, v37
	v_sub_f32_e32 v46, v46, v60
	s_delay_alu instid0(VALU_DEP_3)
	v_rndne_f32_e32 v58, v45
	v_cndmask_b32_e32 v114, 0x7f800000, v43, vcc_lo
	v_mul_f32_e32 v43, 0x3fb8aa3b, v39
	v_fma_f32 v55, 0x3fb8aa3b, v42, -v45
	v_cmp_ngt_f32_e32 vcc_lo, 0xc2ce8ed0, v35
	v_sub_f32_e32 v45, v45, v58
	v_ldexp_f32 v37, v37, v49
	v_fma_f32 v50, 0x3fb8aa3b, v39, -v43
	v_rndne_f32_e32 v52, v43
	v_fmac_f32_e32 v55, 0x32a5705f, v42
	v_sub_f32_e32 v44, v44, v54
	v_cvt_i32_f32_e32 v54, v54
	s_delay_alu instid0(VALU_DEP_4) | instskip(NEXT) | instid1(VALU_DEP_4)
	v_dual_fmac_f32 v50, 0x32a5705f, v39 :: v_dual_sub_f32 v43, v43, v52
	v_add_f32_e32 v45, v45, v55
	s_delay_alu instid0(VALU_DEP_4) | instskip(SKIP_1) | instid1(VALU_DEP_4)
	v_dual_fmac_f32 v59, 0x32a5705f, v34 :: v_dual_add_f32 v44, v44, v53
	v_cvt_i32_f32_e32 v52, v52
	v_add_f32_e32 v43, v43, v50
	v_cvt_i32_f32_e32 v50, v60
	s_delay_alu instid0(VALU_DEP_4)
	v_add_f32_e32 v46, v46, v59
	v_exp_f32_e32 v44, v44
	v_exp_f32_e32 v45, v45
	;; [unrolled: 1-line block ×3, first 2 shown]
	v_cvt_i32_f32_e32 v48, v58
	v_exp_f32_e32 v46, v46
	v_ldexp_f32 v44, v44, v54
	s_delay_alu instid0(TRANS32_DEP_3) | instid1(VALU_DEP_2)
	v_ldexp_f32 v45, v45, v48
	s_delay_alu instid0(TRANS32_DEP_2) | instskip(SKIP_2) | instid1(TRANS32_DEP_1)
	v_ldexp_f32 v43, v43, v52
	v_cndmask_b32_e32 v37, 0, v37, vcc_lo
	v_cmp_ngt_f32_e32 vcc_lo, 0xc2ce8ed0, v39
	v_ldexp_f32 v46, v46, v50
	s_delay_alu instid0(VALU_DEP_4) | instskip(SKIP_1) | instid1(VALU_DEP_3)
	v_cndmask_b32_e32 v43, 0, v43, vcc_lo
	v_cmp_ngt_f32_e32 vcc_lo, 0xc2ce8ed0, v34
	v_cndmask_b32_e32 v46, 0, v46, vcc_lo
	v_cmp_ngt_f32_e32 vcc_lo, 0xc2ce8ed0, v41
	;; [unrolled: 2-line block ×3, first 2 shown]
	v_cndmask_b32_e32 v45, 0, v45, vcc_lo
	v_cmp_nlt_f32_e32 vcc_lo, 0x42b17218, v34
	v_cndmask_b32_e32 v113, 0x7f800000, v46, vcc_lo
	v_cmp_nlt_f32_e32 vcc_lo, 0x42b17218, v35
	s_delay_alu instid0(VALU_DEP_2)
	v_cvt_f16_f32_e32 v34, v113
	v_cndmask_b32_e32 v37, 0x7f800000, v37, vcc_lo
	v_cmp_nlt_f32_e32 vcc_lo, 0x42b17218, v39
	v_cndmask_b32_e32 v39, 0x7f800000, v43, vcc_lo
	v_cmp_nlt_f32_e32 vcc_lo, 0x42b17218, v41
	v_and_b32_e32 v43, 0xffff, v34
	s_delay_alu instid0(VALU_DEP_3)
	v_pk_add_f32 v[34:35], v[36:37], v[38:39]
	v_cndmask_b32_e32 v41, 0x7f800000, v44, vcc_lo
	v_cmp_nlt_f32_e32 vcc_lo, 0x42b17218, v42
	v_cvt_pk_f16_f32 v42, v36, v37
	v_cvt_pk_f16_f32 v44, v38, v39
	v_mul_u32_u24_e32 v192, 0x10001, v43
	v_pk_add_f32 v[116:117], v[40:41], v[34:35]
	v_cndmask_b32_e32 v115, 0x7f800000, v45, vcc_lo
	v_cvt_pk_f16_f32 v45, v40, v41
	s_delay_alu instid0(VALU_DEP_4) | instskip(NEXT) | instid1(VALU_DEP_3)
	v_pk_mul_f16 v194, v32, v192
	v_cvt_pk_f16_f32 v46, v114, v115
	ds_store_2addr_b32 v47, v42, v44 offset1:32
	ds_store_2addr_b32 v47, v45, v46 offset0:64 offset1:96
	s_wait_loadcnt 0x7
	ds_store_b128 v125, v[0:3]
	s_wait_loadcnt 0x6
	ds_store_b128 v145, v[4:7]
	;; [unrolled: 2-line block ×8, first 2 shown]
	s_wait_dscnt 0x0
	s_barrier_signal -1
	s_barrier_wait -1
	ds_load_2addr_b64 v[156:159], v75 offset1:32
	ds_load_2addr_b64 v[68:71], v75 offset0:64 offset1:96
	ds_load_2addr_b64 v[64:67], v75 offset0:128 offset1:160
	ds_load_b128 v[160:163], v120
	ds_load_b128 v[164:167], v120 offset:16
	ds_load_2addr_b64 v[52:55], v75 offset0:192 offset1:224
	ds_load_2addr_b64 v[44:47], v51 offset1:32
	ds_load_2addr_b64 v[40:43], v51 offset0:64 offset1:96
	ds_load_2addr_b64 v[32:35], v51 offset0:128 offset1:160
	ds_load_b128 v[168:171], v120 offset:32
	ds_load_b128 v[172:175], v120 offset:48
	ds_load_2addr_b64 v[28:31], v51 offset0:192 offset1:224
	ds_load_2addr_b64 v[20:23], v56 offset1:32
	ds_load_2addr_b64 v[12:15], v56 offset0:64 offset1:96
	ds_load_2addr_b64 v[0:3], v56 offset0:128 offset1:160
	ds_load_b128 v[176:179], v120 offset:64
	ds_load_b128 v[180:183], v120 offset:80
	ds_load_2addr_b64 v[8:11], v56 offset0:192 offset1:224
	ds_load_2addr_b64 v[4:7], v57 offset1:32
	ds_load_2addr_b64 v[16:19], v57 offset0:64 offset1:96
	ds_load_2addr_b64 v[24:27], v57 offset0:128 offset1:160
	ds_load_b128 v[184:187], v120 offset:96
	ds_load_b128 v[188:191], v120 offset:112
	ds_load_2addr_b64 v[36:39], v57 offset0:192 offset1:224
	ds_load_2addr_b64 v[48:51], v154 offset1:32
	ds_load_2addr_b64 v[56:59], v154 offset0:64 offset1:96
	ds_load_2addr_b64 v[60:63], v154 offset0:128 offset1:160
	s_wait_dscnt 0x17
	v_and_b32_e32 v195, 0xffff, v160
	v_dual_lshrrev_b32 v160, 16, v160 :: v_dual_lshrrev_b32 v196, 16, v161
	v_and_b32_e32 v197, 0xffff, v161
	v_lshrrev_b32_e32 v198, 16, v162
	v_and_b32_e32 v199, 0xffff, v162
	v_lshrrev_b32_e32 v200, 16, v163
	v_and_b32_e32 v201, 0xffff, v163
	v_mul_u32_u24_e32 v195, 0x10001, v195
	v_mul_u32_u24_e32 v228, 0x10001, v160
	ds_load_b128 v[160:163], v120 offset:128
	s_wait_dscnt 0x17
	v_lshrrev_b32_e32 v202, 16, v164
	v_and_b32_e32 v203, 0xffff, v164
	v_pk_mul_f16 v164, v156, v195
	v_pk_mul_f16 v156, v156, v228
	v_dual_lshrrev_b32 v204, 16, v165 :: v_dual_lshrrev_b32 v208, 16, v167
	v_and_b32_e32 v205, 0xffff, v165
	s_delay_alu instid0(VALU_DEP_4) | instskip(NEXT) | instid1(VALU_DEP_4)
	v_pk_fma_f16 v119, v119, v155, v164
	v_pk_fma_f16 v118, v118, v192, v156
	v_mul_u32_u24_e32 v155, 0x10001, v197
	v_pk_fma_f16 v156, v157, v195, v193
	v_mul_u32_u24_e32 v193, 0x10001, v196
	;; [unrolled: 2-line block ×3, first 2 shown]
	v_pk_fma_f16 v119, v158, v155, v119
	v_pk_fma_f16 v156, v159, v155, v156
	;; [unrolled: 1-line block ×4, first 2 shown]
	v_mul_u32_u24_e32 v196, 0x10001, v198
	v_lshrrev_b32_e32 v206, 16, v166
	v_and_b32_e32 v207, 0xffff, v166
	v_and_b32_e32 v209, 0xffff, v167
	ds_load_b128 v[164:167], v120 offset:144
	v_mul_u32_u24_e32 v197, 0x10001, v201
	v_pk_fma_f16 v156, v69, v194, v156
	v_pk_fma_f16 v119, v68, v194, v119
	s_wait_dscnt 0x1
	v_lshrrev_b32_e32 v194, 16, v162
	v_pk_fma_f16 v69, v69, v196, v157
	v_pk_fma_f16 v68, v68, v196, v118
	v_and_b32_e32 v118, 0xffff, v162
	v_mul_u32_u24_e32 v162, 0x10001, v200
	v_pk_fma_f16 v156, v71, v197, v156
	v_pk_fma_f16 v119, v70, v197, v119
	v_mul_u32_u24_e32 v196, 0x10001, v203
	v_mul_u32_u24_e32 v197, 0x10001, v202
	v_pk_fma_f16 v68, v70, v162, v68
	v_pk_fma_f16 v69, v71, v162, v69
	v_mul_u32_u24_e32 v198, 0x10001, v205
	v_mul_u32_u24_e32 v199, 0x10001, v204
	v_pk_fma_f16 v71, v65, v196, v156
	v_pk_fma_f16 v119, v64, v196, v119
	;; [unrolled: 1-line block ×4, first 2 shown]
	v_mul_u32_u24_e32 v200, 0x10001, v207
	v_mul_u32_u24_e32 v201, 0x10001, v206
	v_pk_fma_f16 v69, v67, v198, v71
	v_pk_fma_f16 v71, v66, v198, v119
	v_pk_fma_f16 v64, v66, v199, v64
	v_pk_fma_f16 v65, v67, v199, v65
	v_dual_lshrrev_b32 v210, 16, v168 :: v_dual_lshrrev_b32 v211, 16, v169
	v_and_b32_e32 v168, 0xffff, v168
	v_mul_u32_u24_e32 v202, 0x10001, v209
	v_mul_u32_u24_e32 v203, 0x10001, v208
	v_pk_fma_f16 v67, v53, v200, v69
	v_pk_fma_f16 v69, v52, v200, v71
	v_pk_fma_f16 v52, v52, v201, v64
	v_pk_fma_f16 v53, v53, v201, v65
	v_and_b32_e32 v169, 0xffff, v169
	v_mul_u32_u24_e32 v168, 0x10001, v168
	v_mul_u32_u24_e32 v204, 0x10001, v210
	v_pk_fma_f16 v65, v55, v202, v67
	v_pk_fma_f16 v67, v54, v202, v69
	v_pk_fma_f16 v52, v54, v203, v52
	v_pk_fma_f16 v53, v55, v203, v53
	v_dual_lshrrev_b32 v212, 16, v170 :: v_dual_lshrrev_b32 v213, 16, v171
	v_and_b32_e32 v170, 0xffff, v170
	v_mul_u32_u24_e32 v169, 0x10001, v169
	v_mul_u32_u24_e32 v205, 0x10001, v211
	v_pk_fma_f16 v55, v45, v168, v65
	v_pk_fma_f16 v65, v44, v168, v67
	v_pk_fma_f16 v44, v44, v204, v52
	v_pk_fma_f16 v45, v45, v204, v53
	v_and_b32_e32 v171, 0xffff, v171
	;; [unrolled: 15-line block ×11, first 2 shown]
	v_mul_u32_u24_e32 v14, 0x10001, v188
	v_mul_u32_u24_e32 v12, 0x10001, v192
	v_pk_fma_f16 v3, v19, v22, v3
	v_pk_fma_f16 v5, v18, v22, v5
	;; [unrolled: 1-line block ×4, first 2 shown]
	v_lshrrev_b32_e32 v159, 16, v190
	v_and_b32_e32 v189, 0xffff, v190
	v_mul_u32_u24_e32 v2, 0x10001, v158
	v_mul_u32_u24_e32 v8, 0x10001, v155
	v_pk_fma_f16 v3, v25, v14, v3
	v_pk_fma_f16 v5, v24, v14, v5
	;; [unrolled: 1-line block ×4, first 2 shown]
	v_lshrrev_b32_e32 v190, 16, v191
	v_and_b32_e32 v191, 0xffff, v191
	v_mul_u32_u24_e32 v10, 0x10001, v189
	v_mul_u32_u24_e32 v4, 0x10001, v159
	v_pk_fma_f16 v3, v27, v2, v3
	v_pk_fma_f16 v2, v26, v2, v5
	v_pk_fma_f16 v0, v26, v8, v0
	v_pk_fma_f16 v1, v27, v8, v1
	v_dual_lshrrev_b32 v193, 16, v160 :: v_dual_lshrrev_b32 v195, 16, v161
	v_and_b32_e32 v160, 0xffff, v160
	v_mul_u32_u24_e32 v6, 0x10001, v191
	v_mul_u32_u24_e32 v7, 0x10001, v190
	v_pk_fma_f16 v3, v37, v10, v3
	v_pk_fma_f16 v2, v36, v10, v2
	;; [unrolled: 1-line block ×4, first 2 shown]
	v_and_b32_e32 v161, 0xffff, v161
	v_mul_u32_u24_e32 v9, 0x10001, v160
	v_mul_u32_u24_e32 v11, 0x10001, v193
	v_pk_fma_f16 v3, v39, v6, v3
	v_pk_fma_f16 v2, v38, v6, v2
	;; [unrolled: 1-line block ×4, first 2 shown]
	v_mul_u32_u24_e32 v5, 0x10001, v161
	v_mul_u32_u24_e32 v8, 0x10001, v195
	v_pk_fma_f16 v3, v49, v9, v3
	v_pk_fma_f16 v2, v48, v9, v2
	;; [unrolled: 1-line block ×4, first 2 shown]
	v_lshrrev_b32_e32 v157, 16, v163
	v_mul_u32_u24_e32 v4, 0x10001, v118
	v_mul_u32_u24_e32 v6, 0x10001, v194
	v_pk_fma_f16 v3, v51, v5, v3
	v_pk_fma_f16 v2, v50, v5, v2
	;; [unrolled: 1-line block ×3, first 2 shown]
	v_and_b32_e32 v5, 0xffff, v163
	v_pk_fma_f16 v1, v51, v8, v1
	v_pk_fma_f16 v3, v57, v4, v3
	;; [unrolled: 1-line block ×4, first 2 shown]
	v_mul_u32_u24_e32 v4, 0x10001, v5
	v_mul_u32_u24_e32 v5, 0x10001, v157
	v_pk_fma_f16 v6, v57, v6, v1
	s_wait_dscnt 0x0
	v_and_b32_e32 v1, 0xffff, v164
	v_lshrrev_b32_e32 v7, 16, v164
	v_pk_fma_f16 v8, v58, v4, v2
	v_pk_fma_f16 v9, v58, v5, v0
	;; [unrolled: 1-line block ×3, first 2 shown]
	v_mul_u32_u24_e32 v10, 0x10001, v1
	ds_load_2addr_b64 v[0:3], v154 offset0:192 offset1:224
	v_pk_fma_f16 v12, v59, v5, v6
	v_and_b32_e32 v5, 0xffff, v165
	v_lshrrev_b32_e32 v6, 16, v165
	v_mul_u32_u24_e32 v11, 0x10001, v7
	v_pk_fma_f16 v8, v60, v10, v8
	v_pk_fma_f16 v10, v61, v10, v4
	v_mul_u32_u24_e32 v13, 0x10001, v5
	v_mul_u32_u24_e32 v14, 0x10001, v6
	v_pk_fma_f16 v9, v60, v11, v9
	v_and_b32_e32 v15, 0xffff, v166
	ds_load_b128 v[4:7], v120 offset:160
	v_pk_fma_f16 v11, v61, v11, v12
	v_pk_fma_f16 v8, v62, v13, v8
	;; [unrolled: 1-line block ×3, first 2 shown]
	v_dual_lshrrev_b32 v9, 16, v166 :: v_dual_lshrrev_b32 v19, 16, v167
	v_mul_u32_u24_e32 v15, 0x10001, v15
	v_add_nc_u32_e32 v20, 0x2800, v75
	v_pk_fma_f16 v13, v63, v13, v10
	v_pk_fma_f16 v14, v63, v14, v11
	v_mul_u32_u24_e32 v16, 0x10001, v9
	s_wait_dscnt 0x1
	v_pk_fma_f16 v17, v0, v15, v8
	ds_load_2addr_b64 v[8:11], v20 offset1:32
	v_and_b32_e32 v18, 0xffff, v167
	v_pk_fma_f16 v21, v1, v15, v13
	v_pk_fma_f16 v0, v0, v16, v12
	;; [unrolled: 1-line block ×3, first 2 shown]
	v_mul_u32_u24_e32 v22, 0x10001, v19
	v_mul_u32_u24_e32 v16, 0x10001, v18
	ds_load_b128 v[12:15], v120 offset:176
	s_wait_dscnt 0x2
	v_and_b32_e32 v18, 0xffff, v4
	v_lshrrev_b32_e32 v4, 16, v4
	v_pk_fma_f16 v0, v2, v22, v0
	v_pk_fma_f16 v23, v2, v16, v17
	;; [unrolled: 1-line block ×3, first 2 shown]
	v_mul_u32_u24_e32 v21, 0x10001, v18
	v_and_b32_e32 v24, 0xffff, v5
	ds_load_2addr_b64 v[16:19], v20 offset0:64 offset1:96
	v_pk_fma_f16 v1, v3, v22, v1
	v_lshrrev_b32_e32 v3, 16, v5
	v_mul_u32_u24_e32 v4, 0x10001, v4
	v_mul_u32_u24_e32 v22, 0x10001, v24
	s_wait_dscnt 0x2
	v_pk_fma_f16 v5, v8, v21, v23
	v_pk_fma_f16 v2, v9, v21, v2
	v_mul_u32_u24_e32 v3, 0x10001, v3
	v_pk_fma_f16 v0, v8, v4, v0
	v_pk_fma_f16 v1, v9, v4, v1
	;; [unrolled: 1-line block ×3, first 2 shown]
	v_and_b32_e32 v5, 0xffff, v6
	v_lshrrev_b32_e32 v6, 16, v6
	v_pk_fma_f16 v8, v10, v3, v0
	v_pk_fma_f16 v9, v11, v22, v2
	;; [unrolled: 1-line block ×3, first 2 shown]
	ds_load_2addr_b64 v[0:3], v20 offset0:128 offset1:160
	v_mul_u32_u24_e32 v5, 0x10001, v5
	v_and_b32_e32 v11, 0xffff, v7
	v_lshrrev_b32_e32 v7, 16, v7
	v_mul_u32_u24_e32 v6, 0x10001, v6
	s_wait_dscnt 0x1
	v_pk_fma_f16 v4, v16, v5, v4
	v_pk_fma_f16 v5, v17, v5, v9
	v_mul_u32_u24_e32 v9, 0x10001, v11
	v_pk_fma_f16 v8, v16, v6, v8
	v_mul_u32_u24_e32 v11, 0x10001, v7
	v_pk_fma_f16 v10, v17, v6, v10
	v_and_b32_e32 v6, 0xffff, v12
	v_lshrrev_b32_e32 v7, 16, v12
	v_pk_fma_f16 v12, v18, v9, v4
	v_pk_fma_f16 v8, v18, v11, v8
	;; [unrolled: 1-line block ×3, first 2 shown]
	v_mul_u32_u24_e32 v16, 0x10001, v6
	v_pk_fma_f16 v18, v19, v11, v10
	v_and_b32_e32 v10, 0xffff, v13
	v_lshrrev_b32_e32 v11, 16, v13
	v_mul_u32_u24_e32 v17, 0x10001, v7
	ds_load_2addr_b64 v[4:7], v20 offset0:192 offset1:224
	s_wait_dscnt 0x1
	v_pk_fma_f16 v12, v0, v16, v12
	v_pk_fma_f16 v13, v1, v16, v9
	v_mul_u32_u24_e32 v16, 0x10001, v10
	v_pk_fma_f16 v0, v0, v17, v8
	v_mul_u32_u24_e32 v19, 0x10001, v11
	ds_load_b128 v[8:11], v120 offset:192
	v_and_b32_e32 v20, 0xffff, v14
	v_pk_fma_f16 v1, v1, v17, v18
	v_pk_fma_f16 v12, v2, v16, v12
	;; [unrolled: 1-line block ×3, first 2 shown]
	v_lshrrev_b32_e32 v0, 16, v14
	v_mul_u32_u24_e32 v14, 0x10001, v20
	v_add_nc_u32_e32 v20, 0x3000, v75
	v_pk_fma_f16 v13, v3, v16, v13
	v_pk_fma_f16 v16, v3, v19, v1
	s_wait_dscnt 0x1
	v_pk_fma_f16 v19, v4, v14, v12
	v_and_b32_e32 v12, 0xffff, v15
	v_lshrrev_b32_e32 v15, 16, v15
	v_mul_u32_u24_e32 v18, 0x10001, v0
	ds_load_2addr_b64 v[0:3], v20 offset1:32
	v_mul_u32_u24_e32 v21, 0x10001, v15
	v_pk_fma_f16 v4, v4, v18, v17
	v_pk_fma_f16 v17, v5, v14, v13
	;; [unrolled: 1-line block ×3, first 2 shown]
	v_mul_u32_u24_e32 v16, 0x10001, v12
	ds_load_b128 v[12:15], v120 offset:208
	s_wait_dscnt 0x2
	v_and_b32_e32 v18, 0xffff, v8
	v_lshrrev_b32_e32 v8, 16, v8
	v_pk_fma_f16 v4, v6, v21, v4
	v_pk_fma_f16 v22, v6, v16, v19
	v_pk_fma_f16 v6, v7, v16, v17
	v_mul_u32_u24_e32 v23, 0x10001, v18
	ds_load_2addr_b64 v[16:19], v20 offset0:64 offset1:96
	v_and_b32_e32 v24, 0xffff, v9
	v_pk_fma_f16 v5, v7, v21, v5
	v_lshrrev_b32_e32 v7, 16, v9
	v_mul_u32_u24_e32 v8, 0x10001, v8
	s_wait_dscnt 0x2
	v_pk_fma_f16 v9, v0, v23, v22
	v_mul_u32_u24_e32 v21, 0x10001, v24
	s_delay_alu instid0(VALU_DEP_3)
	v_pk_fma_f16 v0, v0, v8, v4
	v_pk_fma_f16 v4, v1, v23, v6
	v_mul_u32_u24_e32 v6, 0x10001, v7
	v_pk_fma_f16 v1, v1, v8, v5
	v_and_b32_e32 v7, 0xffff, v10
	v_lshrrev_b32_e32 v8, 16, v10
	v_pk_fma_f16 v5, v2, v21, v9
	v_pk_fma_f16 v9, v2, v6, v0
	v_pk_fma_f16 v4, v3, v21, v4
	v_pk_fma_f16 v6, v3, v6, v1
	v_mul_u32_u24_e32 v7, 0x10001, v7
	ds_load_2addr_b64 v[0:3], v20 offset0:128 offset1:160
	v_and_b32_e32 v10, 0xffff, v11
	v_lshrrev_b32_e32 v11, 16, v11
	v_mul_u32_u24_e32 v8, 0x10001, v8
	s_wait_dscnt 0x1
	v_pk_fma_f16 v5, v16, v7, v5
	v_pk_fma_f16 v4, v17, v7, v4
	v_mul_u32_u24_e32 v7, 0x10001, v10
	v_mul_u32_u24_e32 v10, 0x10001, v11
	v_pk_fma_f16 v9, v16, v8, v9
	v_pk_fma_f16 v8, v17, v8, v6
	v_and_b32_e32 v6, 0xffff, v12
	v_lshrrev_b32_e32 v11, 16, v12
	v_pk_fma_f16 v12, v18, v7, v5
	v_pk_fma_f16 v16, v19, v7, v4
	;; [unrolled: 1-line block ×3, first 2 shown]
	v_mul_u32_u24_e32 v17, 0x10001, v6
	ds_load_2addr_b64 v[4:7], v20 offset0:192 offset1:224
	v_pk_fma_f16 v19, v19, v10, v8
	v_and_b32_e32 v8, 0xffff, v13
	v_lshrrev_b32_e32 v10, 16, v13
	v_mul_u32_u24_e32 v18, 0x10001, v11
	s_wait_dscnt 0x1
	v_pk_fma_f16 v12, v0, v17, v12
	v_pk_fma_f16 v13, v1, v17, v16
	v_mul_u32_u24_e32 v16, 0x10001, v8
	v_mul_u32_u24_e32 v17, 0x10001, v10
	v_pk_fma_f16 v0, v0, v18, v9
	v_and_b32_e32 v20, 0xffff, v14
	ds_load_b128 v[8:11], v120 offset:224
	v_pk_fma_f16 v1, v1, v18, v19
	v_pk_fma_f16 v12, v2, v16, v12
	;; [unrolled: 1-line block ×3, first 2 shown]
	v_lshrrev_b32_e32 v0, 16, v14
	v_mul_u32_u24_e32 v14, 0x10001, v20
	v_add_nc_u32_e32 v20, 0x3800, v75
	v_pk_fma_f16 v13, v3, v16, v13
	v_pk_fma_f16 v16, v3, v17, v1
	s_wait_dscnt 0x1
	v_pk_fma_f16 v19, v4, v14, v12
	v_and_b32_e32 v12, 0xffff, v15
	v_lshrrev_b32_e32 v15, 16, v15
	v_mul_u32_u24_e32 v17, 0x10001, v0
	ds_load_2addr_b64 v[0:3], v20 offset1:32
	v_mul_u32_u24_e32 v21, 0x10001, v15
	v_pk_fma_f16 v4, v4, v17, v18
	v_pk_fma_f16 v18, v5, v14, v13
	;; [unrolled: 1-line block ×3, first 2 shown]
	v_mul_u32_u24_e32 v16, 0x10001, v12
	ds_load_b128 v[12:15], v120 offset:240
	s_wait_dscnt 0x2
	v_and_b32_e32 v17, 0xffff, v8
	v_lshrrev_b32_e32 v8, 16, v8
	v_pk_fma_f16 v4, v6, v21, v4
	v_pk_fma_f16 v22, v6, v16, v19
	;; [unrolled: 1-line block ×3, first 2 shown]
	v_mul_u32_u24_e32 v23, 0x10001, v17
	v_and_b32_e32 v24, 0xffff, v9
	ds_load_2addr_b64 v[16:19], v20 offset0:64 offset1:96
	v_pk_fma_f16 v5, v7, v21, v5
	v_lshrrev_b32_e32 v7, 16, v9
	v_mul_u32_u24_e32 v8, 0x10001, v8
	s_wait_dscnt 0x2
	v_pk_fma_f16 v9, v0, v23, v22
	v_mul_u32_u24_e32 v21, 0x10001, v24
	s_delay_alu instid0(VALU_DEP_3)
	v_pk_fma_f16 v0, v0, v8, v4
	v_pk_fma_f16 v4, v1, v23, v6
	v_mul_u32_u24_e32 v6, 0x10001, v7
	v_pk_fma_f16 v1, v1, v8, v5
	v_pk_fma_f16 v5, v2, v21, v9
	v_and_b32_e32 v7, 0xffff, v10
	v_lshrrev_b32_e32 v8, 16, v10
	v_pk_fma_f16 v9, v2, v6, v0
	v_pk_fma_f16 v4, v3, v21, v4
	;; [unrolled: 1-line block ×3, first 2 shown]
	ds_load_2addr_b64 v[0:3], v20 offset0:128 offset1:160
	v_mul_u32_u24_e32 v7, 0x10001, v7
	v_and_b32_e32 v10, 0xffff, v11
	v_lshrrev_b32_e32 v11, 16, v11
	v_mul_u32_u24_e32 v8, 0x10001, v8
	s_wait_dscnt 0x1
	v_pk_fma_f16 v5, v16, v7, v5
	v_pk_fma_f16 v4, v17, v7, v4
	v_mul_u32_u24_e32 v7, 0x10001, v10
	v_pk_fma_f16 v9, v16, v8, v9
	v_mul_u32_u24_e32 v10, 0x10001, v11
	v_pk_fma_f16 v8, v17, v8, v6
	v_and_b32_e32 v6, 0xffff, v12
	v_lshrrev_b32_e32 v11, 16, v12
	v_pk_fma_f16 v12, v18, v7, v5
	v_pk_fma_f16 v9, v18, v10, v9
	;; [unrolled: 1-line block ×3, first 2 shown]
	v_mul_u32_u24_e32 v17, 0x10001, v6
	ds_load_2addr_b64 v[4:7], v20 offset0:192 offset1:224
	v_pk_fma_f16 v19, v19, v10, v8
	v_and_b32_e32 v8, 0xffff, v13
	v_lshrrev_b32_e32 v10, 16, v13
	v_mul_u32_u24_e32 v18, 0x10001, v11
	s_wait_dscnt 0x1
	v_pk_fma_f16 v12, v0, v17, v12
	v_pk_fma_f16 v13, v1, v17, v16
	v_mul_u32_u24_e32 v16, 0x10001, v8
	v_mul_u32_u24_e32 v17, 0x10001, v10
	v_pk_fma_f16 v0, v0, v18, v9
	ds_load_b128 v[8:11], v120 offset:256
	v_and_b32_e32 v20, 0xffff, v14
	v_pk_fma_f16 v1, v1, v18, v19
	v_pk_fma_f16 v12, v2, v16, v12
	v_pk_fma_f16 v18, v2, v17, v0
	v_lshrrev_b32_e32 v0, 16, v14
	v_mul_u32_u24_e32 v14, 0x10001, v20
	v_add_nc_u32_e32 v20, 0x4000, v75
	v_pk_fma_f16 v13, v3, v16, v13
	v_pk_fma_f16 v16, v3, v17, v1
	s_wait_dscnt 0x1
	v_pk_fma_f16 v19, v4, v14, v12
	v_and_b32_e32 v12, 0xffff, v15
	v_lshrrev_b32_e32 v15, 16, v15
	v_mul_u32_u24_e32 v17, 0x10001, v0
	ds_load_2addr_b64 v[0:3], v20 offset1:32
	v_mul_u32_u24_e32 v21, 0x10001, v15
	v_pk_fma_f16 v4, v4, v17, v18
	v_pk_fma_f16 v18, v5, v14, v13
	v_pk_fma_f16 v5, v5, v17, v16
	v_mul_u32_u24_e32 v16, 0x10001, v12
	ds_load_b128 v[12:15], v120 offset:272
	s_wait_dscnt 0x2
	v_and_b32_e32 v17, 0xffff, v8
	v_lshrrev_b32_e32 v8, 16, v8
	v_pk_fma_f16 v4, v6, v21, v4
	v_pk_fma_f16 v22, v6, v16, v19
	;; [unrolled: 1-line block ×3, first 2 shown]
	v_mul_u32_u24_e32 v23, 0x10001, v17
	ds_load_2addr_b64 v[16:19], v20 offset0:64 offset1:96
	v_and_b32_e32 v24, 0xffff, v9
	v_pk_fma_f16 v5, v7, v21, v5
	v_lshrrev_b32_e32 v7, 16, v9
	v_mul_u32_u24_e32 v8, 0x10001, v8
	s_wait_dscnt 0x2
	v_pk_fma_f16 v9, v0, v23, v22
	v_mul_u32_u24_e32 v21, 0x10001, v24
	s_delay_alu instid0(VALU_DEP_3)
	v_pk_fma_f16 v0, v0, v8, v4
	v_pk_fma_f16 v4, v1, v23, v6
	v_mul_u32_u24_e32 v6, 0x10001, v7
	v_pk_fma_f16 v1, v1, v8, v5
	v_and_b32_e32 v7, 0xffff, v10
	v_lshrrev_b32_e32 v8, 16, v10
	v_pk_fma_f16 v5, v2, v21, v9
	v_pk_fma_f16 v9, v2, v6, v0
	v_pk_fma_f16 v4, v3, v21, v4
	v_pk_fma_f16 v6, v3, v6, v1
	v_mul_u32_u24_e32 v7, 0x10001, v7
	ds_load_2addr_b64 v[0:3], v20 offset0:128 offset1:160
	v_and_b32_e32 v10, 0xffff, v11
	v_lshrrev_b32_e32 v11, 16, v11
	v_mul_u32_u24_e32 v8, 0x10001, v8
	s_wait_dscnt 0x1
	v_pk_fma_f16 v5, v16, v7, v5
	v_pk_fma_f16 v4, v17, v7, v4
	v_mul_u32_u24_e32 v7, 0x10001, v10
	v_mul_u32_u24_e32 v10, 0x10001, v11
	v_pk_fma_f16 v9, v16, v8, v9
	v_pk_fma_f16 v8, v17, v8, v6
	v_and_b32_e32 v6, 0xffff, v12
	v_lshrrev_b32_e32 v11, 16, v12
	v_pk_fma_f16 v12, v18, v7, v5
	v_pk_fma_f16 v16, v19, v7, v4
	;; [unrolled: 1-line block ×3, first 2 shown]
	v_mul_u32_u24_e32 v17, 0x10001, v6
	ds_load_2addr_b64 v[4:7], v20 offset0:192 offset1:224
	v_pk_fma_f16 v19, v19, v10, v8
	v_and_b32_e32 v8, 0xffff, v13
	v_lshrrev_b32_e32 v10, 16, v13
	v_mul_u32_u24_e32 v18, 0x10001, v11
	s_wait_dscnt 0x1
	v_pk_fma_f16 v12, v0, v17, v12
	v_pk_fma_f16 v13, v1, v17, v16
	v_mul_u32_u24_e32 v16, 0x10001, v8
	v_mul_u32_u24_e32 v17, 0x10001, v10
	v_pk_fma_f16 v0, v0, v18, v9
	v_and_b32_e32 v20, 0xffff, v14
	ds_load_b128 v[8:11], v120 offset:288
	v_pk_fma_f16 v1, v1, v18, v19
	v_pk_fma_f16 v12, v2, v16, v12
	;; [unrolled: 1-line block ×3, first 2 shown]
	v_lshrrev_b32_e32 v0, 16, v14
	v_mul_u32_u24_e32 v14, 0x10001, v20
	v_add_nc_u32_e32 v20, 0x4800, v75
	v_pk_fma_f16 v13, v3, v16, v13
	v_pk_fma_f16 v16, v3, v17, v1
	s_wait_dscnt 0x1
	v_pk_fma_f16 v19, v4, v14, v12
	v_and_b32_e32 v12, 0xffff, v15
	v_lshrrev_b32_e32 v15, 16, v15
	v_mul_u32_u24_e32 v17, 0x10001, v0
	ds_load_2addr_b64 v[0:3], v20 offset1:32
	v_mul_u32_u24_e32 v21, 0x10001, v15
	v_pk_fma_f16 v4, v4, v17, v18
	v_pk_fma_f16 v18, v5, v14, v13
	;; [unrolled: 1-line block ×3, first 2 shown]
	v_mul_u32_u24_e32 v16, 0x10001, v12
	ds_load_b128 v[12:15], v120 offset:304
	s_wait_dscnt 0x2
	v_and_b32_e32 v17, 0xffff, v8
	v_lshrrev_b32_e32 v8, 16, v8
	v_pk_fma_f16 v4, v6, v21, v4
	v_pk_fma_f16 v22, v6, v16, v19
	;; [unrolled: 1-line block ×3, first 2 shown]
	v_mul_u32_u24_e32 v23, 0x10001, v17
	v_and_b32_e32 v24, 0xffff, v9
	ds_load_2addr_b64 v[16:19], v20 offset0:64 offset1:96
	v_pk_fma_f16 v5, v7, v21, v5
	v_lshrrev_b32_e32 v7, 16, v9
	v_mul_u32_u24_e32 v8, 0x10001, v8
	s_wait_dscnt 0x2
	v_pk_fma_f16 v9, v0, v23, v22
	v_mul_u32_u24_e32 v21, 0x10001, v24
	s_delay_alu instid0(VALU_DEP_3)
	v_pk_fma_f16 v0, v0, v8, v4
	v_pk_fma_f16 v4, v1, v23, v6
	v_mul_u32_u24_e32 v6, 0x10001, v7
	v_pk_fma_f16 v1, v1, v8, v5
	v_pk_fma_f16 v5, v2, v21, v9
	v_and_b32_e32 v7, 0xffff, v10
	v_lshrrev_b32_e32 v8, 16, v10
	v_pk_fma_f16 v9, v2, v6, v0
	v_pk_fma_f16 v4, v3, v21, v4
	;; [unrolled: 1-line block ×3, first 2 shown]
	ds_load_2addr_b64 v[0:3], v20 offset0:128 offset1:160
	v_mul_u32_u24_e32 v7, 0x10001, v7
	v_and_b32_e32 v10, 0xffff, v11
	v_lshrrev_b32_e32 v11, 16, v11
	v_mul_u32_u24_e32 v8, 0x10001, v8
	s_wait_dscnt 0x1
	v_pk_fma_f16 v5, v16, v7, v5
	v_pk_fma_f16 v4, v17, v7, v4
	v_mul_u32_u24_e32 v7, 0x10001, v10
	v_pk_fma_f16 v9, v16, v8, v9
	v_mul_u32_u24_e32 v10, 0x10001, v11
	v_pk_fma_f16 v8, v17, v8, v6
	v_and_b32_e32 v6, 0xffff, v12
	v_lshrrev_b32_e32 v11, 16, v12
	v_pk_fma_f16 v12, v18, v7, v5
	v_pk_fma_f16 v9, v18, v10, v9
	;; [unrolled: 1-line block ×3, first 2 shown]
	v_mul_u32_u24_e32 v17, 0x10001, v6
	ds_load_2addr_b64 v[4:7], v20 offset0:192 offset1:224
	v_pk_fma_f16 v19, v19, v10, v8
	v_and_b32_e32 v8, 0xffff, v13
	v_lshrrev_b32_e32 v10, 16, v13
	v_mul_u32_u24_e32 v18, 0x10001, v11
	s_wait_dscnt 0x1
	v_pk_fma_f16 v12, v0, v17, v12
	v_pk_fma_f16 v13, v1, v17, v16
	v_mul_u32_u24_e32 v16, 0x10001, v8
	v_mul_u32_u24_e32 v17, 0x10001, v10
	v_pk_fma_f16 v0, v0, v18, v9
	ds_load_b128 v[8:11], v120 offset:320
	v_and_b32_e32 v20, 0xffff, v14
	v_pk_fma_f16 v1, v1, v18, v19
	v_pk_fma_f16 v12, v2, v16, v12
	v_pk_fma_f16 v18, v2, v17, v0
	v_lshrrev_b32_e32 v0, 16, v14
	v_mul_u32_u24_e32 v14, 0x10001, v20
	v_add_nc_u32_e32 v20, 0x5000, v75
	v_pk_fma_f16 v13, v3, v16, v13
	v_pk_fma_f16 v16, v3, v17, v1
	s_wait_dscnt 0x1
	v_pk_fma_f16 v19, v4, v14, v12
	v_and_b32_e32 v12, 0xffff, v15
	v_lshrrev_b32_e32 v15, 16, v15
	v_mul_u32_u24_e32 v17, 0x10001, v0
	ds_load_2addr_b64 v[0:3], v20 offset1:32
	v_mul_u32_u24_e32 v21, 0x10001, v15
	v_pk_fma_f16 v4, v4, v17, v18
	v_pk_fma_f16 v18, v5, v14, v13
	;; [unrolled: 1-line block ×3, first 2 shown]
	v_mul_u32_u24_e32 v16, 0x10001, v12
	ds_load_b128 v[12:15], v120 offset:336
	s_wait_dscnt 0x2
	v_and_b32_e32 v17, 0xffff, v8
	v_lshrrev_b32_e32 v8, 16, v8
	v_pk_fma_f16 v4, v6, v21, v4
	v_pk_fma_f16 v22, v6, v16, v19
	;; [unrolled: 1-line block ×3, first 2 shown]
	v_mul_u32_u24_e32 v23, 0x10001, v17
	ds_load_2addr_b64 v[16:19], v20 offset0:64 offset1:96
	v_and_b32_e32 v24, 0xffff, v9
	v_pk_fma_f16 v5, v7, v21, v5
	v_lshrrev_b32_e32 v7, 16, v9
	v_mul_u32_u24_e32 v8, 0x10001, v8
	s_wait_dscnt 0x2
	v_pk_fma_f16 v9, v0, v23, v22
	v_mul_u32_u24_e32 v21, 0x10001, v24
	s_delay_alu instid0(VALU_DEP_3)
	v_pk_fma_f16 v0, v0, v8, v4
	v_pk_fma_f16 v4, v1, v23, v6
	v_mul_u32_u24_e32 v6, 0x10001, v7
	v_pk_fma_f16 v1, v1, v8, v5
	v_and_b32_e32 v7, 0xffff, v10
	v_lshrrev_b32_e32 v8, 16, v10
	v_pk_fma_f16 v5, v2, v21, v9
	v_pk_fma_f16 v9, v2, v6, v0
	;; [unrolled: 1-line block ×4, first 2 shown]
	v_mul_u32_u24_e32 v7, 0x10001, v7
	ds_load_2addr_b64 v[0:3], v20 offset0:128 offset1:160
	v_and_b32_e32 v10, 0xffff, v11
	v_lshrrev_b32_e32 v11, 16, v11
	v_mul_u32_u24_e32 v8, 0x10001, v8
	s_wait_dscnt 0x1
	v_pk_fma_f16 v5, v16, v7, v5
	v_pk_fma_f16 v4, v17, v7, v4
	v_mul_u32_u24_e32 v7, 0x10001, v10
	v_mul_u32_u24_e32 v10, 0x10001, v11
	v_pk_fma_f16 v9, v16, v8, v9
	v_pk_fma_f16 v8, v17, v8, v6
	v_and_b32_e32 v6, 0xffff, v12
	v_lshrrev_b32_e32 v11, 16, v12
	v_pk_fma_f16 v12, v18, v7, v5
	v_pk_fma_f16 v16, v19, v7, v4
	;; [unrolled: 1-line block ×3, first 2 shown]
	v_mul_u32_u24_e32 v17, 0x10001, v6
	ds_load_2addr_b64 v[4:7], v20 offset0:192 offset1:224
	v_pk_fma_f16 v19, v19, v10, v8
	v_and_b32_e32 v8, 0xffff, v13
	v_lshrrev_b32_e32 v10, 16, v13
	v_mul_u32_u24_e32 v18, 0x10001, v11
	s_wait_dscnt 0x1
	v_pk_fma_f16 v12, v0, v17, v12
	v_pk_fma_f16 v13, v1, v17, v16
	v_mul_u32_u24_e32 v16, 0x10001, v8
	v_mul_u32_u24_e32 v17, 0x10001, v10
	v_pk_fma_f16 v0, v0, v18, v9
	v_and_b32_e32 v20, 0xffff, v14
	ds_load_b128 v[8:11], v120 offset:352
	v_pk_fma_f16 v1, v1, v18, v19
	v_pk_fma_f16 v12, v2, v16, v12
	;; [unrolled: 1-line block ×3, first 2 shown]
	v_lshrrev_b32_e32 v0, 16, v14
	v_mul_u32_u24_e32 v14, 0x10001, v20
	v_add_nc_u32_e32 v20, 0x5800, v75
	v_pk_fma_f16 v13, v3, v16, v13
	v_pk_fma_f16 v16, v3, v17, v1
	s_wait_dscnt 0x1
	v_pk_fma_f16 v19, v4, v14, v12
	v_and_b32_e32 v12, 0xffff, v15
	v_lshrrev_b32_e32 v15, 16, v15
	v_mul_u32_u24_e32 v17, 0x10001, v0
	ds_load_2addr_b64 v[0:3], v20 offset1:32
	v_mul_u32_u24_e32 v21, 0x10001, v15
	v_pk_fma_f16 v4, v4, v17, v18
	v_pk_fma_f16 v18, v5, v14, v13
	;; [unrolled: 1-line block ×3, first 2 shown]
	v_mul_u32_u24_e32 v16, 0x10001, v12
	ds_load_b128 v[12:15], v120 offset:368
	s_wait_dscnt 0x2
	v_and_b32_e32 v17, 0xffff, v8
	v_lshrrev_b32_e32 v8, 16, v8
	v_pk_fma_f16 v4, v6, v21, v4
	v_pk_fma_f16 v22, v6, v16, v19
	;; [unrolled: 1-line block ×3, first 2 shown]
	v_mul_u32_u24_e32 v23, 0x10001, v17
	v_and_b32_e32 v24, 0xffff, v9
	ds_load_2addr_b64 v[16:19], v20 offset0:64 offset1:96
	v_pk_fma_f16 v5, v7, v21, v5
	v_lshrrev_b32_e32 v7, 16, v9
	v_mul_u32_u24_e32 v8, 0x10001, v8
	s_wait_dscnt 0x2
	v_pk_fma_f16 v9, v0, v23, v22
	v_mul_u32_u24_e32 v21, 0x10001, v24
	s_delay_alu instid0(VALU_DEP_3)
	v_pk_fma_f16 v0, v0, v8, v4
	v_pk_fma_f16 v4, v1, v23, v6
	v_mul_u32_u24_e32 v6, 0x10001, v7
	v_pk_fma_f16 v1, v1, v8, v5
	v_pk_fma_f16 v5, v2, v21, v9
	v_and_b32_e32 v7, 0xffff, v10
	v_lshrrev_b32_e32 v8, 16, v10
	v_pk_fma_f16 v9, v2, v6, v0
	v_pk_fma_f16 v4, v3, v21, v4
	;; [unrolled: 1-line block ×3, first 2 shown]
	ds_load_2addr_b64 v[0:3], v20 offset0:128 offset1:160
	v_mul_u32_u24_e32 v7, 0x10001, v7
	v_and_b32_e32 v10, 0xffff, v11
	v_lshrrev_b32_e32 v11, 16, v11
	v_mul_u32_u24_e32 v8, 0x10001, v8
	s_wait_dscnt 0x1
	v_pk_fma_f16 v5, v16, v7, v5
	v_pk_fma_f16 v4, v17, v7, v4
	v_mul_u32_u24_e32 v7, 0x10001, v10
	v_pk_fma_f16 v9, v16, v8, v9
	v_mul_u32_u24_e32 v10, 0x10001, v11
	v_pk_fma_f16 v8, v17, v8, v6
	v_and_b32_e32 v6, 0xffff, v12
	v_lshrrev_b32_e32 v11, 16, v12
	v_pk_fma_f16 v12, v18, v7, v5
	v_pk_fma_f16 v9, v18, v10, v9
	;; [unrolled: 1-line block ×3, first 2 shown]
	v_mul_u32_u24_e32 v17, 0x10001, v6
	ds_load_2addr_b64 v[4:7], v20 offset0:192 offset1:224
	v_pk_fma_f16 v19, v19, v10, v8
	v_and_b32_e32 v8, 0xffff, v13
	v_lshrrev_b32_e32 v10, 16, v13
	v_mul_u32_u24_e32 v18, 0x10001, v11
	s_wait_dscnt 0x1
	v_pk_fma_f16 v12, v0, v17, v12
	v_pk_fma_f16 v13, v1, v17, v16
	v_mul_u32_u24_e32 v16, 0x10001, v8
	v_mul_u32_u24_e32 v17, 0x10001, v10
	v_pk_fma_f16 v0, v0, v18, v9
	ds_load_b128 v[8:11], v120 offset:384
	v_and_b32_e32 v20, 0xffff, v14
	v_pk_fma_f16 v1, v1, v18, v19
	v_pk_fma_f16 v12, v2, v16, v12
	;; [unrolled: 1-line block ×3, first 2 shown]
	v_lshrrev_b32_e32 v0, 16, v14
	v_mul_u32_u24_e32 v14, 0x10001, v20
	v_add_nc_u32_e32 v20, 0x6000, v75
	v_pk_fma_f16 v13, v3, v16, v13
	v_pk_fma_f16 v16, v3, v17, v1
	s_wait_dscnt 0x1
	v_pk_fma_f16 v19, v4, v14, v12
	v_and_b32_e32 v12, 0xffff, v15
	v_lshrrev_b32_e32 v15, 16, v15
	v_mul_u32_u24_e32 v17, 0x10001, v0
	ds_load_2addr_b64 v[0:3], v20 offset1:32
	v_mul_u32_u24_e32 v21, 0x10001, v15
	v_pk_fma_f16 v4, v4, v17, v18
	v_pk_fma_f16 v18, v5, v14, v13
	;; [unrolled: 1-line block ×3, first 2 shown]
	v_mul_u32_u24_e32 v16, 0x10001, v12
	ds_load_b128 v[12:15], v120 offset:400
	s_wait_dscnt 0x2
	v_and_b32_e32 v17, 0xffff, v8
	v_lshrrev_b32_e32 v8, 16, v8
	v_pk_fma_f16 v4, v6, v21, v4
	v_pk_fma_f16 v22, v6, v16, v19
	;; [unrolled: 1-line block ×3, first 2 shown]
	v_mul_u32_u24_e32 v23, 0x10001, v17
	ds_load_2addr_b64 v[16:19], v20 offset0:64 offset1:96
	v_and_b32_e32 v24, 0xffff, v9
	v_pk_fma_f16 v5, v7, v21, v5
	v_lshrrev_b32_e32 v7, 16, v9
	v_mul_u32_u24_e32 v8, 0x10001, v8
	s_wait_dscnt 0x2
	v_pk_fma_f16 v9, v0, v23, v22
	v_mul_u32_u24_e32 v21, 0x10001, v24
	s_delay_alu instid0(VALU_DEP_3)
	v_pk_fma_f16 v0, v0, v8, v4
	v_pk_fma_f16 v4, v1, v23, v6
	v_mul_u32_u24_e32 v6, 0x10001, v7
	v_pk_fma_f16 v1, v1, v8, v5
	v_and_b32_e32 v7, 0xffff, v10
	v_lshrrev_b32_e32 v8, 16, v10
	v_pk_fma_f16 v5, v2, v21, v9
	v_pk_fma_f16 v9, v2, v6, v0
	v_pk_fma_f16 v4, v3, v21, v4
	v_pk_fma_f16 v6, v3, v6, v1
	v_mul_u32_u24_e32 v7, 0x10001, v7
	ds_load_2addr_b64 v[0:3], v20 offset0:128 offset1:160
	v_and_b32_e32 v10, 0xffff, v11
	v_lshrrev_b32_e32 v11, 16, v11
	v_mul_u32_u24_e32 v8, 0x10001, v8
	s_wait_dscnt 0x1
	v_pk_fma_f16 v5, v16, v7, v5
	v_pk_fma_f16 v4, v17, v7, v4
	v_mul_u32_u24_e32 v7, 0x10001, v10
	v_mul_u32_u24_e32 v10, 0x10001, v11
	v_pk_fma_f16 v9, v16, v8, v9
	v_pk_fma_f16 v8, v17, v8, v6
	v_and_b32_e32 v6, 0xffff, v12
	v_lshrrev_b32_e32 v11, 16, v12
	v_pk_fma_f16 v12, v18, v7, v5
	v_pk_fma_f16 v16, v19, v7, v4
	;; [unrolled: 1-line block ×3, first 2 shown]
	v_mul_u32_u24_e32 v17, 0x10001, v6
	ds_load_2addr_b64 v[4:7], v20 offset0:192 offset1:224
	v_pk_fma_f16 v19, v19, v10, v8
	v_and_b32_e32 v8, 0xffff, v13
	v_lshrrev_b32_e32 v10, 16, v13
	v_mul_u32_u24_e32 v18, 0x10001, v11
	s_wait_dscnt 0x1
	v_pk_fma_f16 v12, v0, v17, v12
	v_pk_fma_f16 v13, v1, v17, v16
	v_mul_u32_u24_e32 v16, 0x10001, v8
	v_mul_u32_u24_e32 v17, 0x10001, v10
	v_pk_fma_f16 v0, v0, v18, v9
	v_and_b32_e32 v20, 0xffff, v14
	ds_load_b128 v[8:11], v120 offset:416
	v_pk_fma_f16 v1, v1, v18, v19
	v_pk_fma_f16 v12, v2, v16, v12
	;; [unrolled: 1-line block ×3, first 2 shown]
	v_lshrrev_b32_e32 v0, 16, v14
	v_mul_u32_u24_e32 v14, 0x10001, v20
	v_add_nc_u32_e32 v20, 0x6800, v75
	v_pk_fma_f16 v13, v3, v16, v13
	v_pk_fma_f16 v16, v3, v17, v1
	s_wait_dscnt 0x1
	v_pk_fma_f16 v19, v4, v14, v12
	v_and_b32_e32 v12, 0xffff, v15
	v_lshrrev_b32_e32 v15, 16, v15
	v_mul_u32_u24_e32 v17, 0x10001, v0
	ds_load_2addr_b64 v[0:3], v20 offset1:32
	v_mul_u32_u24_e32 v21, 0x10001, v15
	v_pk_fma_f16 v4, v4, v17, v18
	v_pk_fma_f16 v18, v5, v14, v13
	;; [unrolled: 1-line block ×3, first 2 shown]
	v_mul_u32_u24_e32 v16, 0x10001, v12
	ds_load_b128 v[12:15], v120 offset:432
	s_wait_dscnt 0x2
	v_and_b32_e32 v17, 0xffff, v8
	v_lshrrev_b32_e32 v8, 16, v8
	v_pk_fma_f16 v4, v6, v21, v4
	v_pk_fma_f16 v22, v6, v16, v19
	;; [unrolled: 1-line block ×3, first 2 shown]
	v_mul_u32_u24_e32 v23, 0x10001, v17
	v_and_b32_e32 v24, 0xffff, v9
	ds_load_2addr_b64 v[16:19], v20 offset0:64 offset1:96
	v_pk_fma_f16 v5, v7, v21, v5
	v_lshrrev_b32_e32 v7, 16, v9
	v_mul_u32_u24_e32 v8, 0x10001, v8
	s_wait_dscnt 0x2
	v_pk_fma_f16 v9, v0, v23, v22
	v_mul_u32_u24_e32 v21, 0x10001, v24
	s_delay_alu instid0(VALU_DEP_3)
	v_pk_fma_f16 v0, v0, v8, v4
	v_pk_fma_f16 v4, v1, v23, v6
	v_mul_u32_u24_e32 v6, 0x10001, v7
	v_pk_fma_f16 v1, v1, v8, v5
	v_pk_fma_f16 v5, v2, v21, v9
	v_and_b32_e32 v7, 0xffff, v10
	v_lshrrev_b32_e32 v8, 16, v10
	v_pk_fma_f16 v9, v2, v6, v0
	v_pk_fma_f16 v4, v3, v21, v4
	;; [unrolled: 1-line block ×3, first 2 shown]
	ds_load_2addr_b64 v[0:3], v20 offset0:128 offset1:160
	v_mul_u32_u24_e32 v7, 0x10001, v7
	v_and_b32_e32 v10, 0xffff, v11
	v_lshrrev_b32_e32 v11, 16, v11
	v_mul_u32_u24_e32 v8, 0x10001, v8
	s_wait_dscnt 0x1
	v_pk_fma_f16 v5, v16, v7, v5
	v_pk_fma_f16 v4, v17, v7, v4
	v_mul_u32_u24_e32 v7, 0x10001, v10
	v_pk_fma_f16 v9, v16, v8, v9
	v_mul_u32_u24_e32 v10, 0x10001, v11
	v_pk_fma_f16 v8, v17, v8, v6
	v_and_b32_e32 v6, 0xffff, v12
	v_lshrrev_b32_e32 v11, 16, v12
	v_pk_fma_f16 v12, v18, v7, v5
	v_pk_fma_f16 v9, v18, v10, v9
	;; [unrolled: 1-line block ×3, first 2 shown]
	v_mul_u32_u24_e32 v17, 0x10001, v6
	ds_load_2addr_b64 v[4:7], v20 offset0:192 offset1:224
	v_pk_fma_f16 v19, v19, v10, v8
	v_and_b32_e32 v8, 0xffff, v13
	v_lshrrev_b32_e32 v10, 16, v13
	v_mul_u32_u24_e32 v18, 0x10001, v11
	s_wait_dscnt 0x1
	v_pk_fma_f16 v12, v0, v17, v12
	v_pk_fma_f16 v13, v1, v17, v16
	v_mul_u32_u24_e32 v16, 0x10001, v8
	v_mul_u32_u24_e32 v17, 0x10001, v10
	v_pk_fma_f16 v0, v0, v18, v9
	ds_load_b128 v[8:11], v120 offset:448
	v_and_b32_e32 v20, 0xffff, v14
	v_pk_fma_f16 v1, v1, v18, v19
	v_pk_fma_f16 v12, v2, v16, v12
	;; [unrolled: 1-line block ×3, first 2 shown]
	v_lshrrev_b32_e32 v0, 16, v14
	v_mul_u32_u24_e32 v14, 0x10001, v20
	v_add_nc_u32_e32 v20, 0x7000, v75
	v_pk_fma_f16 v13, v3, v16, v13
	v_pk_fma_f16 v16, v3, v17, v1
	s_wait_dscnt 0x1
	v_pk_fma_f16 v19, v4, v14, v12
	v_and_b32_e32 v12, 0xffff, v15
	v_lshrrev_b32_e32 v15, 16, v15
	v_mul_u32_u24_e32 v17, 0x10001, v0
	ds_load_2addr_b64 v[0:3], v20 offset1:32
	v_mul_u32_u24_e32 v21, 0x10001, v15
	v_pk_fma_f16 v4, v4, v17, v18
	v_pk_fma_f16 v18, v5, v14, v13
	;; [unrolled: 1-line block ×3, first 2 shown]
	v_mul_u32_u24_e32 v16, 0x10001, v12
	ds_load_b128 v[12:15], v120 offset:464
	s_wait_dscnt 0x2
	v_and_b32_e32 v17, 0xffff, v8
	v_lshrrev_b32_e32 v8, 16, v8
	v_pk_fma_f16 v4, v6, v21, v4
	v_pk_fma_f16 v22, v6, v16, v19
	v_pk_fma_f16 v6, v7, v16, v18
	v_mul_u32_u24_e32 v23, 0x10001, v17
	ds_load_2addr_b64 v[16:19], v20 offset0:64 offset1:96
	v_and_b32_e32 v24, 0xffff, v9
	v_pk_fma_f16 v5, v7, v21, v5
	v_lshrrev_b32_e32 v7, 16, v9
	v_mul_u32_u24_e32 v8, 0x10001, v8
	s_wait_dscnt 0x2
	v_pk_fma_f16 v9, v0, v23, v22
	v_mul_u32_u24_e32 v21, 0x10001, v24
	s_delay_alu instid0(VALU_DEP_3)
	v_pk_fma_f16 v0, v0, v8, v4
	v_pk_fma_f16 v4, v1, v23, v6
	v_mul_u32_u24_e32 v6, 0x10001, v7
	v_pk_fma_f16 v1, v1, v8, v5
	v_and_b32_e32 v7, 0xffff, v10
	v_lshrrev_b32_e32 v8, 16, v10
	v_pk_fma_f16 v5, v2, v21, v9
	v_pk_fma_f16 v9, v2, v6, v0
	;; [unrolled: 1-line block ×4, first 2 shown]
	v_mul_u32_u24_e32 v7, 0x10001, v7
	ds_load_2addr_b64 v[0:3], v20 offset0:128 offset1:160
	v_and_b32_e32 v10, 0xffff, v11
	v_lshrrev_b32_e32 v11, 16, v11
	v_mul_u32_u24_e32 v8, 0x10001, v8
	s_wait_dscnt 0x1
	v_pk_fma_f16 v5, v16, v7, v5
	v_pk_fma_f16 v4, v17, v7, v4
	v_mul_u32_u24_e32 v7, 0x10001, v10
	v_mul_u32_u24_e32 v10, 0x10001, v11
	v_pk_fma_f16 v9, v16, v8, v9
	v_pk_fma_f16 v8, v17, v8, v6
	v_and_b32_e32 v6, 0xffff, v12
	v_lshrrev_b32_e32 v11, 16, v12
	v_pk_fma_f16 v12, v18, v7, v5
	v_pk_fma_f16 v16, v19, v7, v4
	;; [unrolled: 1-line block ×3, first 2 shown]
	v_mul_u32_u24_e32 v17, 0x10001, v6
	ds_load_2addr_b64 v[4:7], v20 offset0:192 offset1:224
	v_pk_fma_f16 v19, v19, v10, v8
	v_and_b32_e32 v8, 0xffff, v13
	v_lshrrev_b32_e32 v10, 16, v13
	v_mul_u32_u24_e32 v18, 0x10001, v11
	s_wait_dscnt 0x1
	v_pk_fma_f16 v12, v0, v17, v12
	v_pk_fma_f16 v13, v1, v17, v16
	v_mul_u32_u24_e32 v16, 0x10001, v8
	v_mul_u32_u24_e32 v17, 0x10001, v10
	v_pk_fma_f16 v0, v0, v18, v9
	v_and_b32_e32 v20, 0xffff, v14
	ds_load_b128 v[8:11], v120 offset:480
	v_pk_fma_f16 v1, v1, v18, v19
	v_pk_fma_f16 v12, v2, v16, v12
	;; [unrolled: 1-line block ×3, first 2 shown]
	v_lshrrev_b32_e32 v0, 16, v14
	v_mul_u32_u24_e32 v14, 0x10001, v20
	v_add_nc_u32_e32 v20, 0x7800, v75
	v_pk_fma_f16 v13, v3, v16, v13
	v_pk_fma_f16 v16, v3, v17, v1
	s_wait_dscnt 0x1
	v_pk_fma_f16 v19, v4, v14, v12
	v_and_b32_e32 v12, 0xffff, v15
	v_lshrrev_b32_e32 v15, 16, v15
	v_mul_u32_u24_e32 v17, 0x10001, v0
	ds_load_2addr_b64 v[0:3], v20 offset1:32
	v_mul_u32_u24_e32 v21, 0x10001, v15
	v_pk_fma_f16 v4, v4, v17, v18
	v_pk_fma_f16 v18, v5, v14, v13
	;; [unrolled: 1-line block ×3, first 2 shown]
	v_mul_u32_u24_e32 v16, 0x10001, v12
	ds_load_b128 v[12:15], v120 offset:496
	s_wait_dscnt 0x2
	v_and_b32_e32 v17, 0xffff, v8
	v_lshrrev_b32_e32 v8, 16, v8
	v_pk_fma_f16 v4, v6, v21, v4
	v_pk_fma_f16 v22, v6, v16, v19
	;; [unrolled: 1-line block ×3, first 2 shown]
	v_mul_u32_u24_e32 v23, 0x10001, v17
	v_and_b32_e32 v24, 0xffff, v9
	ds_load_2addr_b64 v[16:19], v20 offset0:64 offset1:96
	v_pk_fma_f16 v5, v7, v21, v5
	v_lshrrev_b32_e32 v7, 16, v9
	v_mul_u32_u24_e32 v8, 0x10001, v8
	s_wait_dscnt 0x2
	v_pk_fma_f16 v9, v0, v23, v22
	v_pk_fma_f16 v6, v1, v23, v6
	v_mul_u32_u24_e32 v21, 0x10001, v7
	v_pk_fma_f16 v0, v0, v8, v4
	v_mul_u32_u24_e32 v4, 0x10001, v24
	v_pk_fma_f16 v1, v1, v8, v5
	v_and_b32_e32 v5, 0xffff, v10
	s_delay_alu instid0(VALU_DEP_4) | instskip(NEXT) | instid1(VALU_DEP_4)
	v_pk_fma_f16 v0, v2, v21, v0
	v_pk_fma_f16 v8, v2, v4, v9
	v_lshrrev_b32_e32 v9, 16, v10
	v_pk_fma_f16 v2, v3, v4, v6
	v_mul_u32_u24_e32 v10, 0x10001, v5
	ds_load_2addr_b64 v[4:7], v20 offset0:128 offset1:160
	v_pk_fma_f16 v1, v3, v21, v1
	v_and_b32_e32 v3, 0xffff, v11
	v_lshrrev_b32_e32 v11, 16, v11
	v_mul_u32_u24_e32 v9, 0x10001, v9
	s_wait_dscnt 0x1
	v_pk_fma_f16 v8, v16, v10, v8
	v_pk_fma_f16 v2, v17, v10, v2
	v_mul_u32_u24_e32 v3, 0x10001, v3
	v_mul_u32_u24_e32 v10, 0x10001, v11
	v_pk_fma_f16 v0, v16, v9, v0
	v_and_b32_e32 v11, 0xffff, v12
	v_lshrrev_b32_e32 v12, 16, v12
	v_pk_fma_f16 v1, v17, v9, v1
	v_pk_fma_f16 v16, v18, v3, v8
	;; [unrolled: 1-line block ×3, first 2 shown]
	v_mul_u32_u24_e32 v11, 0x10001, v11
	v_and_b32_e32 v18, 0xffff, v13
	v_lshrrev_b32_e32 v13, 16, v13
	v_mul_u32_u24_e32 v12, 0x10001, v12
	v_pk_fma_f16 v17, v19, v3, v2
	v_pk_fma_f16 v10, v19, v10, v1
	s_wait_dscnt 0x0
	v_pk_fma_f16 v16, v4, v11, v16
	v_pk_add_f32 v[8:9], v[114:115], v[116:117]
	v_pk_fma_f16 v4, v4, v12, v0
	ds_load_2addr_b64 v[0:3], v20 offset0:192 offset1:224
	s_wait_dscnt 0x0
	s_barrier_signal -1
	s_barrier_wait -1
	s_load_b32 s11, s[6:7], 0x4
	v_pk_fma_f16 v11, v5, v11, v17
	v_pk_fma_f16 v5, v5, v12, v10
	v_mul_u32_u24_e32 v10, 0x10001, v18
	v_mul_u32_u24_e32 v12, 0x10001, v13
	v_and_b32_e32 v13, 0xffff, v14
	v_lshrrev_b32_e32 v14, 16, v14
	v_pk_fma_f32 v[130:131], v[130:131], v[112:113], v[8:9]
	v_pk_fma_f16 v16, v6, v10, v16
	v_pk_fma_f16 v4, v6, v12, v4
	;; [unrolled: 1-line block ×3, first 2 shown]
	v_mul_u32_u24_e32 v10, 0x10001, v13
	v_mul_u32_u24_e32 v11, 0x10001, v14
	v_and_b32_e32 v13, 0xffff, v15
	v_lshrrev_b32_e32 v14, 16, v15
	v_pk_fma_f16 v5, v7, v12, v5
	v_pk_fma_f16 v7, v0, v10, v16
	;; [unrolled: 1-line block ×3, first 2 shown]
	v_mul_u32_u24_e32 v4, 0x10001, v13
	v_mul_u32_u24_e32 v12, 0x10001, v14
	v_pk_fma_f16 v6, v1, v10, v6
	v_pk_fma_f16 v1, v1, v11, v5
	s_wait_kmcnt 0x0
	s_lshl_b32 s11, s11, 7
	v_pk_fma_f16 v119, v2, v4, v7
	v_pk_fma_f16 v118, v2, v12, v0
	;; [unrolled: 1-line block ×4, first 2 shown]
	s_add_co_i32 s18, s11, s18
	s_delay_alu instid0(SALU_CYCLE_1)
	s_cmp_lt_i32 s18, s3
	s_cbranch_scc0 .LBB59_28
; %bb.26:                               ;   in Loop: Header=BB59_8 Depth=1
	v_dual_mov_b32 v35, v132 :: v_dual_mov_b32 v34, v133
	s_branch .LBB59_8
.LBB59_27:
	v_mov_b64_e32 v[132:133], 0xfefffffffeffffff
	v_dual_mov_b32 v119, 0 :: v_dual_mov_b32 v130, 0
	v_dual_mov_b32 v33, 0 :: v_dual_mov_b32 v118, 0
	v_mov_b32_e32 v32, 0
.LBB59_28:
	s_cmp_gt_i32 s2, s18
	s_cbranch_scc1 .LBB59_31
; %bb.29:
	v_mbcnt_lo_u32_b32 v0, -1, 0
	v_mov_b32_e32 v148, 32
	s_delay_alu instid0(VALU_DEP_2)
	v_xor_b32_e32 v143, 16, v0
	v_xor_b32_e32 v144, 8, v0
	;; [unrolled: 1-line block ×5, first 2 shown]
	s_cbranch_execz .LBB59_32
; %bb.30:
	v_mov_b32_e32 v141, v0
	s_branch .LBB59_71
.LBB59_31:
                                        ; implicit-def: $vgpr0
                                        ; implicit-def: $vgpr148
                                        ; implicit-def: $vgpr143
                                        ; implicit-def: $vgpr144
                                        ; implicit-def: $vgpr145
                                        ; implicit-def: $vgpr146
                                        ; implicit-def: $vgpr147
.LBB59_32:
	v_dual_add_nc_u32 v18, v122, v138 :: v_dual_lshlrev_b32 v1, 20, v141
	s_ashr_i32 s19, s18, 31
	s_ashr_i32 s9, s8, 31
	v_dual_mov_b32 v13, 0 :: v_dual_lshlrev_b32 v12, 2, v76
	s_delay_alu instid0(VALU_DEP_2)
	v_mul_lo_u32 v8, s8, v18
	s_mul_u64 s[6:7], s[18:19], s[8:9]
	v_mov_b32_e32 v0, 0
	s_lshl_b64 s[6:7], s[6:7], 2
	s_sub_co_i32 s20, s2, s18
	s_add_nc_u64 s[10:11], s[4:5], s[6:7]
	v_cmp_gt_i32_e64 s2, s20, v18
	s_mov_b32 s4, 0
	s_lshl_b32 s9, s8, 4
	s_mov_b32 s5, s4
	s_mov_b32 s6, s4
	v_ashrrev_i32_e32 v9, 31, v8
	v_add_nc_u64_e32 v[10:11], src_flat_scratch_base_lo, v[0:1]
	v_dual_mov_b32 v4, s4 :: v_dual_mov_b32 v5, s5
	v_mad_u32_u24 v7, 0x110, v18, v12
	s_delay_alu instid0(VALU_DEP_4)
	v_lshl_add_u64 v[2:3], v[8:9], 2, s[10:11]
	v_add_nc_u32_e32 v24, 0x50, v18
	v_add_nc_u32_e32 v25, 0x60, v18
	;; [unrolled: 1-line block ×3, first 2 shown]
	s_cmp_lg_u64 s[14:15], 0
	v_add_nc_u64_e32 v[0:1], v[2:3], v[12:13]
	v_mov_b32_e32 v6, s6
	v_cmp_gt_i32_e64 s7, s20, v24
	v_cmp_gt_i32_e64 s8, s20, v25
	v_dual_add_nc_u32 v20, 16, v18 :: v_dual_add_nc_u32 v21, 32, v18
	v_dual_add_nc_u32 v22, 48, v18 :: v_dual_cndmask_b32 v1, v11, v1, s2
	v_cndmask_b32_e64 v0, v10, v0, s2
	s_clause 0x1
	scratch_store_b32 off, v13, off
	scratch_store_b96 off, v[4:6], off offset:4
	v_cmp_gt_i32_e64 s3, s20, v20
	v_add_nc_u32_e32 v8, s9, v8
	v_cmp_gt_i32_e64 s4, s20, v21
	flat_load_b128 v[0:3], v[0:1]
	s_clause 0x1
	scratch_store_b32 off, v13, off
	scratch_store_b96 off, v[4:6], off offset:4
	v_cmp_gt_i32_e64 s5, s20, v22
	v_dual_ashrrev_i32 v9, 31, v8 :: v_dual_add_nc_u32 v23, 64, v18
	s_delay_alu instid0(VALU_DEP_1) | instskip(NEXT) | instid1(VALU_DEP_2)
	v_lshl_add_u64 v[14:15], v[8:9], 2, s[10:11]
	v_cmp_gt_i32_e64 s6, s20, v23
	s_delay_alu instid0(VALU_DEP_2) | instskip(NEXT) | instid1(VALU_DEP_1)
	v_add_nc_u64_e32 v[14:15], v[14:15], v[12:13]
	v_dual_cndmask_b32 v15, v11, v15, s3 :: v_dual_cndmask_b32 v14, v10, v14, s3
	v_add_nc_u32_e32 v8, s9, v8
	s_delay_alu instid0(VALU_DEP_1)
	v_ashrrev_i32_e32 v9, 31, v8
	s_wait_loadcnt_dscnt 0x0
	ds_store_b128 v7, v[0:3]
	flat_load_b128 v[0:3], v[14:15]
	s_wait_xcnt 0x0
	v_lshl_add_u64 v[14:15], v[8:9], 2, s[10:11]
	s_clause 0x1
	scratch_store_b32 off, v13, off
	scratch_store_b96 off, v[4:6], off offset:4
	v_add_nc_u32_e32 v8, s9, v8
	v_add_nc_u64_e32 v[14:15], v[14:15], v[12:13]
	s_delay_alu instid0(VALU_DEP_1) | instskip(NEXT) | instid1(VALU_DEP_2)
	v_dual_ashrrev_i32 v9, 31, v8 :: v_dual_cndmask_b32 v15, v11, v15, s4
	v_cndmask_b32_e64 v14, v10, v14, s4
	s_wait_loadcnt_dscnt 0x0
	ds_store_b128 v7, v[0:3] offset:4352
	flat_load_b128 v[0:3], v[14:15]
	s_wait_xcnt 0x0
	v_lshl_add_u64 v[14:15], v[8:9], 2, s[10:11]
	s_clause 0x1
	scratch_store_b32 off, v13, off
	scratch_store_b96 off, v[4:6], off offset:4
	v_add_nc_u32_e32 v8, s9, v8
	v_add_nc_u64_e32 v[14:15], v[14:15], v[12:13]
	s_delay_alu instid0(VALU_DEP_1) | instskip(NEXT) | instid1(VALU_DEP_2)
	v_dual_ashrrev_i32 v9, 31, v8 :: v_dual_cndmask_b32 v15, v11, v15, s5
	v_cndmask_b32_e64 v14, v10, v14, s5
	s_wait_loadcnt_dscnt 0x0
	ds_store_b128 v7, v[0:3] offset:8704
	;; [unrolled: 13-line block ×4, first 2 shown]
	flat_load_b128 v[0:3], v[14:15]
	s_wait_xcnt 0x0
	v_lshl_add_u64 v[14:15], v[8:9], 2, s[10:11]
	s_clause 0x1
	scratch_store_b32 off, v13, off
	scratch_store_b96 off, v[4:6], off offset:4
	v_add_nc_u32_e32 v8, s9, v8
	v_cmp_gt_i32_e64 s9, s20, v19
	v_add_nc_u64_e32 v[14:15], v[14:15], v[12:13]
	s_delay_alu instid0(VALU_DEP_1) | instskip(NEXT) | instid1(VALU_DEP_2)
	v_dual_ashrrev_i32 v9, 31, v8 :: v_dual_cndmask_b32 v15, v11, v15, s8
	v_cndmask_b32_e64 v14, v10, v14, s8
	s_delay_alu instid0(VALU_DEP_2) | instskip(SKIP_2) | instid1(VALU_DEP_2)
	v_lshl_add_u64 v[8:9], v[8:9], 2, s[10:11]
	s_cselect_b32 s11, -1, 0
	v_cmp_gt_i32_e64 s10, s20, v128
	v_add_nc_u64_e32 v[8:9], v[8:9], v[12:13]
	s_delay_alu instid0(VALU_DEP_1)
	v_dual_cndmask_b32 v9, v11, v9, s9 :: v_dual_cndmask_b32 v8, v10, v8, s9
	s_wait_loadcnt_dscnt 0x0
	ds_store_b128 v7, v[0:3] offset:21760
	flat_load_b128 v[0:3], v[14:15]
	s_clause 0x1
	scratch_store_b32 off, v13, off
	scratch_store_b96 off, v[4:6], off offset:4
	s_wait_xcnt 0x0
	v_dual_mov_b32 v4, v13 :: v_dual_mov_b32 v5, v13
	v_mov_b32_e32 v6, v13
	s_wait_loadcnt_dscnt 0x0
	ds_store_b128 v7, v[0:3] offset:26112
	flat_load_b128 v[0:3], v[8:9]
	s_wait_loadcnt_dscnt 0x0
	ds_store_b128 v7, v[0:3] offset:30464
	s_wait_storecnt_dscnt 0x0
	s_barrier_signal -1
	s_barrier_wait -1
	s_wait_xcnt 0x0
	ds_load_b128 v[8:11], v121
	ds_load_b128 v[14:17], v142 offset:38912
	ds_load_b128 v[26:29], v142 offset:39168
	;; [unrolled: 1-line block ×3, first 2 shown]
	v_mov_b32_e32 v0, v13
	ds_load_b128 v[38:41], v121 offset:17408
	ds_load_b128 v[42:45], v121 offset:26112
	v_dual_mov_b32 v1, v13 :: v_dual_mov_b32 v2, v13
	v_dual_mov_b32 v3, v13 :: v_dual_mov_b32 v7, v13
	s_wait_dscnt 0x4
	;;#ASMSTART
	v_dot2_f32_f16 v0, v8, v14, v0
	;;#ASMEND
	;;#ASMSTART
	v_dot2_f32_f16 v0, v9, v15, v0
	;;#ASMEND
	;;#ASMSTART
	v_dot2_f32_f16 v0, v10, v16, v0
	;;#ASMEND
	;;#ASMSTART
	v_dot2_f32_f16 v0, v11, v17, v0
	;;#ASMEND
	s_wait_dscnt 0x3
	;;#ASMSTART
	v_dot2_f32_f16 v1, v8, v26, v1
	;;#ASMEND
	;;#ASMSTART
	v_dot2_f32_f16 v1, v9, v27, v1
	;;#ASMEND
	;;#ASMSTART
	v_dot2_f32_f16 v1, v10, v28, v1
	;;#ASMEND
	;;#ASMSTART
	v_dot2_f32_f16 v1, v11, v29, v1
	;;#ASMEND
	;; [unrolled: 13-line block ×3, first 2 shown]
	;;#ASMSTART
	v_dot2_f32_f16 v3, v34, v26, v3
	;;#ASMEND
	;;#ASMSTART
	v_dot2_f32_f16 v3, v35, v27, v3
	;;#ASMEND
	;; [unrolled: 3-line block ×4, first 2 shown]
	s_wait_dscnt 0x1
	;;#ASMSTART
	v_dot2_f32_f16 v4, v38, v14, v4
	;;#ASMEND
	;;#ASMSTART
	v_dot2_f32_f16 v4, v39, v15, v4
	;;#ASMEND
	;; [unrolled: 3-line block ×8, first 2 shown]
	s_wait_dscnt 0x0
	;;#ASMSTART
	v_dot2_f32_f16 v6, v42, v14, v6
	;;#ASMEND
	;;#ASMSTART
	v_dot2_f32_f16 v6, v43, v15, v6
	;;#ASMEND
	;; [unrolled: 3-line block ×8, first 2 shown]
	ds_load_b128 v[8:11], v121 offset:16
	ds_load_b128 v[14:17], v142 offset:38928
	;; [unrolled: 1-line block ×6, first 2 shown]
	s_wait_dscnt 0x4
	;;#ASMSTART
	v_dot2_f32_f16 v0, v8, v14, v0
	;;#ASMEND
	;;#ASMSTART
	v_dot2_f32_f16 v0, v9, v15, v0
	;;#ASMEND
	;;#ASMSTART
	v_dot2_f32_f16 v0, v10, v16, v0
	;;#ASMEND
	;;#ASMSTART
	v_dot2_f32_f16 v0, v11, v17, v0
	;;#ASMEND
	s_wait_dscnt 0x3
	;;#ASMSTART
	v_dot2_f32_f16 v1, v8, v26, v1
	;;#ASMEND
	;;#ASMSTART
	v_dot2_f32_f16 v1, v9, v27, v1
	;;#ASMEND
	;;#ASMSTART
	v_dot2_f32_f16 v1, v10, v28, v1
	;;#ASMEND
	;;#ASMSTART
	v_dot2_f32_f16 v1, v11, v29, v1
	;;#ASMEND
	s_wait_dscnt 0x2
	;;#ASMSTART
	v_dot2_f32_f16 v2, v34, v14, v2
	;;#ASMEND
	;;#ASMSTART
	v_dot2_f32_f16 v2, v35, v15, v2
	;;#ASMEND
	;;#ASMSTART
	v_dot2_f32_f16 v2, v36, v16, v2
	;;#ASMEND
	;;#ASMSTART
	v_dot2_f32_f16 v2, v37, v17, v2
	;;#ASMEND
	;;#ASMSTART
	v_dot2_f32_f16 v3, v34, v26, v3
	;;#ASMEND
	;;#ASMSTART
	v_dot2_f32_f16 v3, v35, v27, v3
	;;#ASMEND
	;; [unrolled: 3-line block ×4, first 2 shown]
	s_wait_dscnt 0x1
	;;#ASMSTART
	v_dot2_f32_f16 v4, v38, v14, v4
	;;#ASMEND
	;;#ASMSTART
	v_dot2_f32_f16 v4, v39, v15, v4
	;;#ASMEND
	;; [unrolled: 3-line block ×8, first 2 shown]
	s_wait_dscnt 0x0
	;;#ASMSTART
	v_dot2_f32_f16 v6, v42, v14, v6
	;;#ASMEND
	;;#ASMSTART
	v_dot2_f32_f16 v6, v43, v15, v6
	;;#ASMEND
	;; [unrolled: 3-line block ×8, first 2 shown]
	ds_load_b128 v[8:11], v121 offset:32
	ds_load_b128 v[14:17], v142 offset:38944
	;; [unrolled: 1-line block ×6, first 2 shown]
	s_wait_dscnt 0x4
	;;#ASMSTART
	v_dot2_f32_f16 v0, v8, v14, v0
	;;#ASMEND
	;;#ASMSTART
	v_dot2_f32_f16 v0, v9, v15, v0
	;;#ASMEND
	;;#ASMSTART
	v_dot2_f32_f16 v0, v10, v16, v0
	;;#ASMEND
	;;#ASMSTART
	v_dot2_f32_f16 v0, v11, v17, v0
	;;#ASMEND
	s_wait_dscnt 0x3
	;;#ASMSTART
	v_dot2_f32_f16 v1, v8, v26, v1
	;;#ASMEND
	;;#ASMSTART
	v_dot2_f32_f16 v1, v9, v27, v1
	;;#ASMEND
	;;#ASMSTART
	v_dot2_f32_f16 v1, v10, v28, v1
	;;#ASMEND
	;;#ASMSTART
	v_dot2_f32_f16 v1, v11, v29, v1
	;;#ASMEND
	;; [unrolled: 13-line block ×3, first 2 shown]
	;;#ASMSTART
	v_dot2_f32_f16 v3, v34, v26, v3
	;;#ASMEND
	;;#ASMSTART
	v_dot2_f32_f16 v3, v35, v27, v3
	;;#ASMEND
	;; [unrolled: 3-line block ×4, first 2 shown]
	s_wait_dscnt 0x1
	;;#ASMSTART
	v_dot2_f32_f16 v4, v38, v14, v4
	;;#ASMEND
	;;#ASMSTART
	v_dot2_f32_f16 v4, v39, v15, v4
	;;#ASMEND
	;; [unrolled: 3-line block ×8, first 2 shown]
	s_wait_dscnt 0x0
	;;#ASMSTART
	v_dot2_f32_f16 v6, v42, v14, v6
	;;#ASMEND
	;;#ASMSTART
	v_dot2_f32_f16 v6, v43, v15, v6
	;;#ASMEND
	;; [unrolled: 3-line block ×8, first 2 shown]
	ds_load_b128 v[8:11], v121 offset:48
	ds_load_b128 v[14:17], v142 offset:38960
	;; [unrolled: 1-line block ×6, first 2 shown]
	s_wait_dscnt 0x4
	;;#ASMSTART
	v_dot2_f32_f16 v0, v8, v14, v0
	;;#ASMEND
	;;#ASMSTART
	v_dot2_f32_f16 v0, v9, v15, v0
	;;#ASMEND
	;;#ASMSTART
	v_dot2_f32_f16 v0, v10, v16, v0
	;;#ASMEND
	;;#ASMSTART
	v_dot2_f32_f16 v0, v11, v17, v0
	;;#ASMEND
	s_wait_dscnt 0x3
	;;#ASMSTART
	v_dot2_f32_f16 v1, v8, v26, v1
	;;#ASMEND
	;;#ASMSTART
	v_dot2_f32_f16 v1, v9, v27, v1
	;;#ASMEND
	;;#ASMSTART
	v_dot2_f32_f16 v1, v10, v28, v1
	;;#ASMEND
	;;#ASMSTART
	v_dot2_f32_f16 v1, v11, v29, v1
	;;#ASMEND
	;; [unrolled: 13-line block ×3, first 2 shown]
	;;#ASMSTART
	v_dot2_f32_f16 v3, v34, v26, v3
	;;#ASMEND
	;;#ASMSTART
	v_dot2_f32_f16 v3, v35, v27, v3
	;;#ASMEND
	;; [unrolled: 3-line block ×4, first 2 shown]
	s_wait_dscnt 0x1
	;;#ASMSTART
	v_dot2_f32_f16 v4, v38, v14, v4
	;;#ASMEND
	;;#ASMSTART
	v_dot2_f32_f16 v4, v39, v15, v4
	;;#ASMEND
	;; [unrolled: 3-line block ×8, first 2 shown]
	s_wait_dscnt 0x0
	;;#ASMSTART
	v_dot2_f32_f16 v6, v42, v14, v6
	;;#ASMEND
	;;#ASMSTART
	v_dot2_f32_f16 v6, v43, v15, v6
	;;#ASMEND
	;; [unrolled: 3-line block ×8, first 2 shown]
	ds_load_b128 v[8:11], v121 offset:64
	ds_load_b128 v[14:17], v142 offset:38976
	;; [unrolled: 1-line block ×6, first 2 shown]
	s_wait_dscnt 0x4
	;;#ASMSTART
	v_dot2_f32_f16 v0, v8, v14, v0
	;;#ASMEND
	;;#ASMSTART
	v_dot2_f32_f16 v0, v9, v15, v0
	;;#ASMEND
	;;#ASMSTART
	v_dot2_f32_f16 v0, v10, v16, v0
	;;#ASMEND
	;;#ASMSTART
	v_dot2_f32_f16 v0, v11, v17, v0
	;;#ASMEND
	s_wait_dscnt 0x3
	;;#ASMSTART
	v_dot2_f32_f16 v1, v8, v26, v1
	;;#ASMEND
	;;#ASMSTART
	v_dot2_f32_f16 v1, v9, v27, v1
	;;#ASMEND
	;;#ASMSTART
	v_dot2_f32_f16 v1, v10, v28, v1
	;;#ASMEND
	;;#ASMSTART
	v_dot2_f32_f16 v1, v11, v29, v1
	;;#ASMEND
	;; [unrolled: 13-line block ×3, first 2 shown]
	;;#ASMSTART
	v_dot2_f32_f16 v3, v34, v26, v3
	;;#ASMEND
	;;#ASMSTART
	v_dot2_f32_f16 v3, v35, v27, v3
	;;#ASMEND
	;; [unrolled: 3-line block ×4, first 2 shown]
	s_wait_dscnt 0x1
	;;#ASMSTART
	v_dot2_f32_f16 v4, v38, v14, v4
	;;#ASMEND
	;;#ASMSTART
	v_dot2_f32_f16 v4, v39, v15, v4
	;;#ASMEND
	;; [unrolled: 3-line block ×8, first 2 shown]
	s_wait_dscnt 0x0
	;;#ASMSTART
	v_dot2_f32_f16 v6, v42, v14, v6
	;;#ASMEND
	;;#ASMSTART
	v_dot2_f32_f16 v6, v43, v15, v6
	;;#ASMEND
	;; [unrolled: 3-line block ×8, first 2 shown]
	ds_load_b128 v[8:11], v121 offset:80
	ds_load_b128 v[14:17], v142 offset:38992
	;; [unrolled: 1-line block ×6, first 2 shown]
	s_wait_dscnt 0x4
	;;#ASMSTART
	v_dot2_f32_f16 v0, v8, v14, v0
	;;#ASMEND
	;;#ASMSTART
	v_dot2_f32_f16 v0, v9, v15, v0
	;;#ASMEND
	;;#ASMSTART
	v_dot2_f32_f16 v0, v10, v16, v0
	;;#ASMEND
	;;#ASMSTART
	v_dot2_f32_f16 v0, v11, v17, v0
	;;#ASMEND
	s_wait_dscnt 0x3
	;;#ASMSTART
	v_dot2_f32_f16 v1, v8, v26, v1
	;;#ASMEND
	;;#ASMSTART
	v_dot2_f32_f16 v1, v9, v27, v1
	;;#ASMEND
	;;#ASMSTART
	v_dot2_f32_f16 v1, v10, v28, v1
	;;#ASMEND
	;;#ASMSTART
	v_dot2_f32_f16 v1, v11, v29, v1
	;;#ASMEND
	;; [unrolled: 13-line block ×3, first 2 shown]
	;;#ASMSTART
	v_dot2_f32_f16 v3, v34, v26, v3
	;;#ASMEND
	;;#ASMSTART
	v_dot2_f32_f16 v3, v35, v27, v3
	;;#ASMEND
	;; [unrolled: 3-line block ×4, first 2 shown]
	s_wait_dscnt 0x1
	;;#ASMSTART
	v_dot2_f32_f16 v4, v38, v14, v4
	;;#ASMEND
	;;#ASMSTART
	v_dot2_f32_f16 v4, v39, v15, v4
	;;#ASMEND
	;;#ASMSTART
	v_dot2_f32_f16 v4, v40, v16, v4
	;;#ASMEND
	;;#ASMSTART
	v_dot2_f32_f16 v4, v41, v17, v4
	;;#ASMEND
	;;#ASMSTART
	v_dot2_f32_f16 v5, v38, v26, v5
	;;#ASMEND
	;;#ASMSTART
	v_dot2_f32_f16 v5, v39, v27, v5
	;;#ASMEND
	;;#ASMSTART
	v_dot2_f32_f16 v5, v40, v28, v5
	;;#ASMEND
	;;#ASMSTART
	v_dot2_f32_f16 v5, v41, v29, v5
	;;#ASMEND
	s_wait_dscnt 0x0
	;;#ASMSTART
	v_dot2_f32_f16 v6, v42, v14, v6
	;;#ASMEND
	;;#ASMSTART
	v_dot2_f32_f16 v6, v43, v15, v6
	;;#ASMEND
	;; [unrolled: 3-line block ×8, first 2 shown]
	ds_load_b128 v[8:11], v121 offset:96
	ds_load_b128 v[14:17], v142 offset:39008
	;; [unrolled: 1-line block ×6, first 2 shown]
	s_wait_dscnt 0x4
	;;#ASMSTART
	v_dot2_f32_f16 v0, v8, v14, v0
	;;#ASMEND
	;;#ASMSTART
	v_dot2_f32_f16 v0, v9, v15, v0
	;;#ASMEND
	;;#ASMSTART
	v_dot2_f32_f16 v0, v10, v16, v0
	;;#ASMEND
	;;#ASMSTART
	v_dot2_f32_f16 v0, v11, v17, v0
	;;#ASMEND
	s_wait_dscnt 0x3
	;;#ASMSTART
	v_dot2_f32_f16 v1, v8, v26, v1
	;;#ASMEND
	;;#ASMSTART
	v_dot2_f32_f16 v1, v9, v27, v1
	;;#ASMEND
	;;#ASMSTART
	v_dot2_f32_f16 v1, v10, v28, v1
	;;#ASMEND
	;;#ASMSTART
	v_dot2_f32_f16 v1, v11, v29, v1
	;;#ASMEND
	;; [unrolled: 13-line block ×3, first 2 shown]
	;;#ASMSTART
	v_dot2_f32_f16 v3, v34, v26, v3
	;;#ASMEND
	;;#ASMSTART
	v_dot2_f32_f16 v3, v35, v27, v3
	;;#ASMEND
	;; [unrolled: 3-line block ×4, first 2 shown]
	s_wait_dscnt 0x1
	;;#ASMSTART
	v_dot2_f32_f16 v4, v38, v14, v4
	;;#ASMEND
	;;#ASMSTART
	v_dot2_f32_f16 v4, v39, v15, v4
	;;#ASMEND
	;; [unrolled: 3-line block ×8, first 2 shown]
	s_wait_dscnt 0x0
	;;#ASMSTART
	v_dot2_f32_f16 v6, v42, v14, v6
	;;#ASMEND
	;;#ASMSTART
	v_dot2_f32_f16 v6, v43, v15, v6
	;;#ASMEND
	;; [unrolled: 3-line block ×8, first 2 shown]
	ds_load_b128 v[8:11], v121 offset:112
	ds_load_b128 v[14:17], v142 offset:39024
	;; [unrolled: 1-line block ×6, first 2 shown]
	s_wait_dscnt 0x4
	;;#ASMSTART
	v_dot2_f32_f16 v0, v8, v14, v0
	;;#ASMEND
	;;#ASMSTART
	v_dot2_f32_f16 v0, v9, v15, v0
	;;#ASMEND
	;;#ASMSTART
	v_dot2_f32_f16 v0, v10, v16, v0
	;;#ASMEND
	;;#ASMSTART
	v_dot2_f32_f16 v0, v11, v17, v0
	;;#ASMEND
	s_wait_dscnt 0x3
	;;#ASMSTART
	v_dot2_f32_f16 v1, v8, v26, v1
	;;#ASMEND
	;;#ASMSTART
	v_dot2_f32_f16 v1, v9, v27, v1
	;;#ASMEND
	;;#ASMSTART
	v_dot2_f32_f16 v1, v10, v28, v1
	;;#ASMEND
	;;#ASMSTART
	v_dot2_f32_f16 v1, v11, v29, v1
	;;#ASMEND
	s_wait_dscnt 0x2
	;;#ASMSTART
	v_dot2_f32_f16 v2, v34, v14, v2
	;;#ASMEND
	;;#ASMSTART
	v_dot2_f32_f16 v2, v35, v15, v2
	;;#ASMEND
	;;#ASMSTART
	v_dot2_f32_f16 v2, v36, v16, v2
	;;#ASMEND
	;;#ASMSTART
	v_dot2_f32_f16 v2, v37, v17, v2
	;;#ASMEND
	;;#ASMSTART
	v_dot2_f32_f16 v3, v34, v26, v3
	;;#ASMEND
	;;#ASMSTART
	v_dot2_f32_f16 v3, v35, v27, v3
	;;#ASMEND
	;; [unrolled: 3-line block ×4, first 2 shown]
	s_wait_dscnt 0x1
	;;#ASMSTART
	v_dot2_f32_f16 v4, v38, v14, v4
	;;#ASMEND
	;;#ASMSTART
	v_dot2_f32_f16 v4, v39, v15, v4
	;;#ASMEND
	;; [unrolled: 3-line block ×8, first 2 shown]
	s_wait_dscnt 0x0
	;;#ASMSTART
	v_dot2_f32_f16 v6, v42, v14, v6
	;;#ASMEND
	;;#ASMSTART
	v_dot2_f32_f16 v6, v43, v15, v6
	;;#ASMEND
	;; [unrolled: 3-line block ×8, first 2 shown]
	ds_load_b128 v[8:11], v121 offset:128
	ds_load_b128 v[14:17], v142 offset:39040
	;; [unrolled: 1-line block ×6, first 2 shown]
	s_wait_dscnt 0x4
	;;#ASMSTART
	v_dot2_f32_f16 v0, v8, v14, v0
	;;#ASMEND
	;;#ASMSTART
	v_dot2_f32_f16 v0, v9, v15, v0
	;;#ASMEND
	;;#ASMSTART
	v_dot2_f32_f16 v0, v10, v16, v0
	;;#ASMEND
	;;#ASMSTART
	v_dot2_f32_f16 v0, v11, v17, v0
	;;#ASMEND
	s_wait_dscnt 0x3
	;;#ASMSTART
	v_dot2_f32_f16 v1, v8, v26, v1
	;;#ASMEND
	;;#ASMSTART
	v_dot2_f32_f16 v1, v9, v27, v1
	;;#ASMEND
	;;#ASMSTART
	v_dot2_f32_f16 v1, v10, v28, v1
	;;#ASMEND
	;;#ASMSTART
	v_dot2_f32_f16 v1, v11, v29, v1
	;;#ASMEND
	;; [unrolled: 13-line block ×3, first 2 shown]
	;;#ASMSTART
	v_dot2_f32_f16 v3, v34, v26, v3
	;;#ASMEND
	;;#ASMSTART
	v_dot2_f32_f16 v3, v35, v27, v3
	;;#ASMEND
	;; [unrolled: 3-line block ×4, first 2 shown]
	s_wait_dscnt 0x1
	;;#ASMSTART
	v_dot2_f32_f16 v4, v38, v14, v4
	;;#ASMEND
	;;#ASMSTART
	v_dot2_f32_f16 v4, v39, v15, v4
	;;#ASMEND
	;; [unrolled: 3-line block ×8, first 2 shown]
	s_wait_dscnt 0x0
	;;#ASMSTART
	v_dot2_f32_f16 v6, v42, v14, v6
	;;#ASMEND
	;;#ASMSTART
	v_dot2_f32_f16 v6, v43, v15, v6
	;;#ASMEND
	;; [unrolled: 3-line block ×8, first 2 shown]
	ds_load_b128 v[8:11], v121 offset:144
	ds_load_b128 v[14:17], v142 offset:39056
	;; [unrolled: 1-line block ×6, first 2 shown]
	s_wait_dscnt 0x4
	;;#ASMSTART
	v_dot2_f32_f16 v0, v8, v14, v0
	;;#ASMEND
	;;#ASMSTART
	v_dot2_f32_f16 v0, v9, v15, v0
	;;#ASMEND
	;;#ASMSTART
	v_dot2_f32_f16 v0, v10, v16, v0
	;;#ASMEND
	;;#ASMSTART
	v_dot2_f32_f16 v0, v11, v17, v0
	;;#ASMEND
	s_wait_dscnt 0x3
	;;#ASMSTART
	v_dot2_f32_f16 v1, v8, v26, v1
	;;#ASMEND
	;;#ASMSTART
	v_dot2_f32_f16 v1, v9, v27, v1
	;;#ASMEND
	;;#ASMSTART
	v_dot2_f32_f16 v1, v10, v28, v1
	;;#ASMEND
	;;#ASMSTART
	v_dot2_f32_f16 v1, v11, v29, v1
	;;#ASMEND
	;; [unrolled: 13-line block ×3, first 2 shown]
	;;#ASMSTART
	v_dot2_f32_f16 v3, v34, v26, v3
	;;#ASMEND
	;;#ASMSTART
	v_dot2_f32_f16 v3, v35, v27, v3
	;;#ASMEND
	;;#ASMSTART
	v_dot2_f32_f16 v3, v36, v28, v3
	;;#ASMEND
	;;#ASMSTART
	v_dot2_f32_f16 v3, v37, v29, v3
	;;#ASMEND
	s_wait_dscnt 0x1
	;;#ASMSTART
	v_dot2_f32_f16 v4, v38, v14, v4
	;;#ASMEND
	;;#ASMSTART
	v_dot2_f32_f16 v4, v39, v15, v4
	;;#ASMEND
	;; [unrolled: 3-line block ×8, first 2 shown]
	s_wait_dscnt 0x0
	;;#ASMSTART
	v_dot2_f32_f16 v6, v42, v14, v6
	;;#ASMEND
	;;#ASMSTART
	v_dot2_f32_f16 v6, v43, v15, v6
	;;#ASMEND
	;; [unrolled: 3-line block ×8, first 2 shown]
	ds_load_b128 v[8:11], v121 offset:160
	ds_load_b128 v[14:17], v142 offset:39072
	;; [unrolled: 1-line block ×6, first 2 shown]
	s_wait_dscnt 0x4
	;;#ASMSTART
	v_dot2_f32_f16 v0, v8, v14, v0
	;;#ASMEND
	;;#ASMSTART
	v_dot2_f32_f16 v0, v9, v15, v0
	;;#ASMEND
	;;#ASMSTART
	v_dot2_f32_f16 v0, v10, v16, v0
	;;#ASMEND
	;;#ASMSTART
	v_dot2_f32_f16 v0, v11, v17, v0
	;;#ASMEND
	s_wait_dscnt 0x3
	;;#ASMSTART
	v_dot2_f32_f16 v1, v8, v26, v1
	;;#ASMEND
	;;#ASMSTART
	v_dot2_f32_f16 v1, v9, v27, v1
	;;#ASMEND
	;;#ASMSTART
	v_dot2_f32_f16 v1, v10, v28, v1
	;;#ASMEND
	;;#ASMSTART
	v_dot2_f32_f16 v1, v11, v29, v1
	;;#ASMEND
	;; [unrolled: 13-line block ×3, first 2 shown]
	;;#ASMSTART
	v_dot2_f32_f16 v3, v34, v26, v3
	;;#ASMEND
	;;#ASMSTART
	v_dot2_f32_f16 v3, v35, v27, v3
	;;#ASMEND
	;; [unrolled: 3-line block ×4, first 2 shown]
	s_wait_dscnt 0x1
	;;#ASMSTART
	v_dot2_f32_f16 v4, v38, v14, v4
	;;#ASMEND
	;;#ASMSTART
	v_dot2_f32_f16 v4, v39, v15, v4
	;;#ASMEND
	;; [unrolled: 3-line block ×8, first 2 shown]
	s_wait_dscnt 0x0
	;;#ASMSTART
	v_dot2_f32_f16 v6, v42, v14, v6
	;;#ASMEND
	;;#ASMSTART
	v_dot2_f32_f16 v6, v43, v15, v6
	;;#ASMEND
	;; [unrolled: 3-line block ×8, first 2 shown]
	ds_load_b128 v[8:11], v121 offset:176
	ds_load_b128 v[14:17], v142 offset:39088
	;; [unrolled: 1-line block ×6, first 2 shown]
	s_wait_dscnt 0x4
	;;#ASMSTART
	v_dot2_f32_f16 v0, v8, v14, v0
	;;#ASMEND
	;;#ASMSTART
	v_dot2_f32_f16 v0, v9, v15, v0
	;;#ASMEND
	;;#ASMSTART
	v_dot2_f32_f16 v0, v10, v16, v0
	;;#ASMEND
	;;#ASMSTART
	v_dot2_f32_f16 v0, v11, v17, v0
	;;#ASMEND
	s_wait_dscnt 0x3
	;;#ASMSTART
	v_dot2_f32_f16 v1, v8, v26, v1
	;;#ASMEND
	;;#ASMSTART
	v_dot2_f32_f16 v1, v9, v27, v1
	;;#ASMEND
	;;#ASMSTART
	v_dot2_f32_f16 v1, v10, v28, v1
	;;#ASMEND
	;;#ASMSTART
	v_dot2_f32_f16 v1, v11, v29, v1
	;;#ASMEND
	;; [unrolled: 13-line block ×3, first 2 shown]
	;;#ASMSTART
	v_dot2_f32_f16 v3, v34, v26, v3
	;;#ASMEND
	;;#ASMSTART
	v_dot2_f32_f16 v3, v35, v27, v3
	;;#ASMEND
	;; [unrolled: 3-line block ×4, first 2 shown]
	s_wait_dscnt 0x1
	;;#ASMSTART
	v_dot2_f32_f16 v4, v38, v14, v4
	;;#ASMEND
	;;#ASMSTART
	v_dot2_f32_f16 v4, v39, v15, v4
	;;#ASMEND
	;; [unrolled: 3-line block ×8, first 2 shown]
	s_wait_dscnt 0x0
	;;#ASMSTART
	v_dot2_f32_f16 v6, v42, v14, v6
	;;#ASMEND
	;;#ASMSTART
	v_dot2_f32_f16 v6, v43, v15, v6
	;;#ASMEND
	;; [unrolled: 3-line block ×8, first 2 shown]
	ds_load_b128 v[8:11], v121 offset:192
	ds_load_b128 v[14:17], v142 offset:39104
	;; [unrolled: 1-line block ×6, first 2 shown]
	s_wait_dscnt 0x4
	;;#ASMSTART
	v_dot2_f32_f16 v0, v8, v14, v0
	;;#ASMEND
	;;#ASMSTART
	v_dot2_f32_f16 v0, v9, v15, v0
	;;#ASMEND
	;;#ASMSTART
	v_dot2_f32_f16 v0, v10, v16, v0
	;;#ASMEND
	;;#ASMSTART
	v_dot2_f32_f16 v0, v11, v17, v0
	;;#ASMEND
	s_wait_dscnt 0x3
	;;#ASMSTART
	v_dot2_f32_f16 v1, v8, v26, v1
	;;#ASMEND
	;;#ASMSTART
	v_dot2_f32_f16 v1, v9, v27, v1
	;;#ASMEND
	;;#ASMSTART
	v_dot2_f32_f16 v1, v10, v28, v1
	;;#ASMEND
	;;#ASMSTART
	v_dot2_f32_f16 v1, v11, v29, v1
	;;#ASMEND
	;; [unrolled: 13-line block ×3, first 2 shown]
	;;#ASMSTART
	v_dot2_f32_f16 v3, v34, v26, v3
	;;#ASMEND
	;;#ASMSTART
	v_dot2_f32_f16 v3, v35, v27, v3
	;;#ASMEND
	;; [unrolled: 3-line block ×4, first 2 shown]
	s_wait_dscnt 0x1
	;;#ASMSTART
	v_dot2_f32_f16 v4, v38, v14, v4
	;;#ASMEND
	;;#ASMSTART
	v_dot2_f32_f16 v4, v39, v15, v4
	;;#ASMEND
	;; [unrolled: 3-line block ×8, first 2 shown]
	s_wait_dscnt 0x0
	;;#ASMSTART
	v_dot2_f32_f16 v6, v42, v14, v6
	;;#ASMEND
	;;#ASMSTART
	v_dot2_f32_f16 v6, v43, v15, v6
	;;#ASMEND
	;; [unrolled: 3-line block ×8, first 2 shown]
	ds_load_b128 v[8:11], v121 offset:208
	ds_load_b128 v[14:17], v142 offset:39120
	;; [unrolled: 1-line block ×6, first 2 shown]
	s_wait_dscnt 0x4
	;;#ASMSTART
	v_dot2_f32_f16 v0, v8, v14, v0
	;;#ASMEND
	;;#ASMSTART
	v_dot2_f32_f16 v0, v9, v15, v0
	;;#ASMEND
	;;#ASMSTART
	v_dot2_f32_f16 v0, v10, v16, v0
	;;#ASMEND
	;;#ASMSTART
	v_dot2_f32_f16 v0, v11, v17, v0
	;;#ASMEND
	s_wait_dscnt 0x3
	;;#ASMSTART
	v_dot2_f32_f16 v1, v8, v26, v1
	;;#ASMEND
	;;#ASMSTART
	v_dot2_f32_f16 v1, v9, v27, v1
	;;#ASMEND
	;;#ASMSTART
	v_dot2_f32_f16 v1, v10, v28, v1
	;;#ASMEND
	;;#ASMSTART
	v_dot2_f32_f16 v1, v11, v29, v1
	;;#ASMEND
	s_wait_dscnt 0x2
	;;#ASMSTART
	v_dot2_f32_f16 v2, v34, v14, v2
	;;#ASMEND
	;;#ASMSTART
	v_dot2_f32_f16 v2, v35, v15, v2
	;;#ASMEND
	;;#ASMSTART
	v_dot2_f32_f16 v2, v36, v16, v2
	;;#ASMEND
	;;#ASMSTART
	v_dot2_f32_f16 v2, v37, v17, v2
	;;#ASMEND
	;;#ASMSTART
	v_dot2_f32_f16 v3, v34, v26, v3
	;;#ASMEND
	;;#ASMSTART
	v_dot2_f32_f16 v3, v35, v27, v3
	;;#ASMEND
	;; [unrolled: 3-line block ×4, first 2 shown]
	s_wait_dscnt 0x1
	;;#ASMSTART
	v_dot2_f32_f16 v4, v38, v14, v4
	;;#ASMEND
	;;#ASMSTART
	v_dot2_f32_f16 v4, v39, v15, v4
	;;#ASMEND
	;; [unrolled: 3-line block ×8, first 2 shown]
	s_wait_dscnt 0x0
	;;#ASMSTART
	v_dot2_f32_f16 v6, v42, v14, v6
	;;#ASMEND
	;;#ASMSTART
	v_dot2_f32_f16 v6, v43, v15, v6
	;;#ASMEND
	;; [unrolled: 3-line block ×8, first 2 shown]
	ds_load_b128 v[8:11], v121 offset:224
	ds_load_b128 v[14:17], v142 offset:39136
	;; [unrolled: 1-line block ×6, first 2 shown]
	s_wait_dscnt 0x4
	;;#ASMSTART
	v_dot2_f32_f16 v0, v8, v14, v0
	;;#ASMEND
	;;#ASMSTART
	v_dot2_f32_f16 v0, v9, v15, v0
	;;#ASMEND
	;;#ASMSTART
	v_dot2_f32_f16 v0, v10, v16, v0
	;;#ASMEND
	;;#ASMSTART
	v_dot2_f32_f16 v0, v11, v17, v0
	;;#ASMEND
	s_wait_dscnt 0x3
	;;#ASMSTART
	v_dot2_f32_f16 v1, v8, v26, v1
	;;#ASMEND
	;;#ASMSTART
	v_dot2_f32_f16 v1, v9, v27, v1
	;;#ASMEND
	;;#ASMSTART
	v_dot2_f32_f16 v1, v10, v28, v1
	;;#ASMEND
	;;#ASMSTART
	v_dot2_f32_f16 v1, v11, v29, v1
	;;#ASMEND
	;; [unrolled: 13-line block ×3, first 2 shown]
	;;#ASMSTART
	v_dot2_f32_f16 v3, v34, v26, v3
	;;#ASMEND
	;;#ASMSTART
	v_dot2_f32_f16 v3, v35, v27, v3
	;;#ASMEND
	;;#ASMSTART
	v_dot2_f32_f16 v3, v36, v28, v3
	;;#ASMEND
	;;#ASMSTART
	v_dot2_f32_f16 v3, v37, v29, v3
	;;#ASMEND
	s_wait_dscnt 0x1
	;;#ASMSTART
	v_dot2_f32_f16 v4, v38, v14, v4
	;;#ASMEND
	;;#ASMSTART
	v_dot2_f32_f16 v4, v39, v15, v4
	;;#ASMEND
	;; [unrolled: 3-line block ×8, first 2 shown]
	s_wait_dscnt 0x0
	;;#ASMSTART
	v_dot2_f32_f16 v6, v42, v14, v6
	;;#ASMEND
	;;#ASMSTART
	v_dot2_f32_f16 v6, v43, v15, v6
	;;#ASMEND
	;; [unrolled: 3-line block ×8, first 2 shown]
	ds_load_b128 v[26:29], v121 offset:240
	ds_load_b128 v[34:37], v142 offset:39152
	;; [unrolled: 1-line block ×6, first 2 shown]
	s_wait_dscnt 0x4
	;;#ASMSTART
	v_dot2_f32_f16 v0, v26, v34, v0
	;;#ASMEND
	;;#ASMSTART
	v_dot2_f32_f16 v0, v27, v35, v0
	;;#ASMEND
	;;#ASMSTART
	v_dot2_f32_f16 v0, v28, v36, v0
	;;#ASMEND
	;;#ASMSTART
	v_dot2_f32_f16 v0, v29, v37, v0
	;;#ASMEND
	s_wait_dscnt 0x3
	;;#ASMSTART
	v_dot2_f32_f16 v1, v26, v38, v1
	;;#ASMEND
	;;#ASMSTART
	v_dot2_f32_f16 v1, v27, v39, v1
	;;#ASMEND
	;;#ASMSTART
	v_dot2_f32_f16 v1, v28, v40, v1
	;;#ASMEND
	;;#ASMSTART
	v_dot2_f32_f16 v1, v29, v41, v1
	;;#ASMEND
	;; [unrolled: 13-line block ×3, first 2 shown]
	;;#ASMSTART
	v_dot2_f32_f16 v3, v42, v38, v3
	;;#ASMEND
	;;#ASMSTART
	v_dot2_f32_f16 v3, v43, v39, v3
	;;#ASMEND
	;;#ASMSTART
	v_dot2_f32_f16 v3, v44, v40, v3
	;;#ASMEND
	;;#ASMSTART
	v_dot2_f32_f16 v3, v45, v41, v3
	;;#ASMEND
	s_wait_dscnt 0x1
	;;#ASMSTART
	v_dot2_f32_f16 v4, v46, v34, v4
	;;#ASMEND
	v_mad_u32 v10, v74, s36, s18
	;;#ASMSTART
	v_dot2_f32_f16 v4, v47, v35, v4
	;;#ASMEND
	;;#ASMSTART
	v_dot2_f32_f16 v4, v48, v36, v4
	;;#ASMEND
	;; [unrolled: 3-line block ×5, first 2 shown]
	v_mov_b64_e32 v[8:9], v[132:133]
	;;#ASMSTART
	v_dot2_f32_f16 v5, v48, v40, v5
	;;#ASMEND
	;;#ASMSTART
	v_dot2_f32_f16 v5, v49, v41, v5
	;;#ASMEND
	s_wait_dscnt 0x0
	;;#ASMSTART
	v_dot2_f32_f16 v6, v50, v34, v6
	;;#ASMEND
	v_cndmask_b32_e64 v16, 0, 1, s11
	;;#ASMSTART
	v_dot2_f32_f16 v6, v51, v35, v6
	;;#ASMEND
	;;#ASMSTART
	v_dot2_f32_f16 v6, v52, v36, v6
	;;#ASMEND
	;; [unrolled: 3-line block ×7, first 2 shown]
	s_and_saveexec_b32 s12, s10
	s_cbranch_execz .LBB59_36
; %bb.33:
	s_and_not1_b32 vcc_lo, exec_lo, s11
	s_cbranch_vccnz .LBB59_35
; %bb.34:
	v_add_nc_u32_e32 v8, v10, v128
	global_load_u16 v8, v8, s[14:15] scale_offset
	s_wait_loadcnt 0x0
	v_cvt_f32_f16_e32 v8, v8
	s_delay_alu instid0(VALU_DEP_1)
	v_mul_f32_e32 v13, v77, v8
.LBB59_35:
	s_delay_alu instid0(VALU_DEP_1) | instskip(SKIP_1) | instid1(VALU_DEP_2)
	v_add_f32_e32 v0, v0, v13
	v_max_num_f32_e32 v8, v132, v132
	v_add_f32_e32 v9, 0x40051340, v0
	s_delay_alu instid0(VALU_DEP_1)
	v_dual_max_num_f32 v8, v8, v9 :: v_dual_mov_b32 v9, v133
.LBB59_36:
	s_or_b32 exec_lo, exec_lo, s12
	v_add_nc_u32_e32 v26, 32, v128
	s_delay_alu instid0(VALU_DEP_1)
	v_cmp_gt_i32_e64 s11, s20, v26
	s_and_saveexec_b32 s12, s11
	s_cbranch_execz .LBB59_41
; %bb.37:
	v_cmp_ne_u32_e32 vcc_lo, 1, v16
	s_cbranch_vccnz .LBB59_39
; %bb.38:
	v_dual_ashrrev_i32 v11, 31, v10 :: v_dual_mov_b32 v129, 0
	s_delay_alu instid0(VALU_DEP_1) | instskip(NEXT) | instid1(VALU_DEP_1)
	v_add_nc_u64_e32 v[14:15], v[10:11], v[128:129]
	v_lshl_add_u64 v[14:15], v[14:15], 1, s[14:15]
	global_load_u16 v11, v[14:15], off offset:64
	s_wait_loadcnt 0x0
	v_cvt_f32_f16_e32 v11, v11
	s_delay_alu instid0(VALU_DEP_1)
	v_mul_f32_e32 v11, v77, v11
	s_branch .LBB59_40
.LBB59_39:
	v_mov_b32_e32 v11, 0
.LBB59_40:
	s_delay_alu instid0(VALU_DEP_1) | instskip(NEXT) | instid1(VALU_DEP_1)
	v_dual_add_f32 v2, v2, v11 :: v_dual_max_num_f32 v8, v8, v8
	v_add_f32_e32 v11, 0x40051340, v2
	s_delay_alu instid0(VALU_DEP_1)
	v_max_num_f32_e32 v8, v8, v11
.LBB59_41:
	s_or_b32 exec_lo, exec_lo, s12
	v_add_nc_u32_e32 v27, 64, v128
	s_delay_alu instid0(VALU_DEP_1)
	v_cmp_gt_i32_e64 s12, s20, v27
	s_and_saveexec_b32 s13, s12
	s_cbranch_execz .LBB59_46
; %bb.42:
	v_cmp_ne_u32_e32 vcc_lo, 1, v16
	s_cbranch_vccnz .LBB59_44
; %bb.43:
	v_dual_ashrrev_i32 v11, 31, v10 :: v_dual_mov_b32 v129, 0
	s_delay_alu instid0(VALU_DEP_1) | instskip(NEXT) | instid1(VALU_DEP_1)
	v_add_nc_u64_e32 v[14:15], v[10:11], v[128:129]
	v_lshl_add_u64 v[14:15], v[14:15], 1, s[14:15]
	global_load_u16 v11, v[14:15], off offset:128
	s_wait_loadcnt 0x0
	v_cvt_f32_f16_e32 v11, v11
	s_delay_alu instid0(VALU_DEP_1)
	v_mul_f32_e32 v11, v77, v11
	s_branch .LBB59_45
.LBB59_44:
	v_mov_b32_e32 v11, 0
.LBB59_45:
	s_delay_alu instid0(VALU_DEP_1) | instskip(SKIP_1) | instid1(VALU_DEP_2)
	v_add_f32_e32 v4, v4, v11
	v_max_num_f32_e32 v8, v8, v8
	v_add_f32_e32 v11, 0x40051340, v4
	s_delay_alu instid0(VALU_DEP_1)
	v_max_num_f32_e32 v8, v8, v11
.LBB59_46:
	s_or_b32 exec_lo, exec_lo, s13
	v_add_nc_u32_e32 v28, 0x60, v128
	s_delay_alu instid0(VALU_DEP_1)
	v_cmp_gt_i32_e64 s13, s20, v28
	s_and_saveexec_b32 s21, s13
	s_cbranch_execz .LBB59_51
; %bb.47:
	v_cmp_ne_u32_e32 vcc_lo, 1, v16
	s_cbranch_vccnz .LBB59_49
; %bb.48:
	v_dual_ashrrev_i32 v11, 31, v10 :: v_dual_mov_b32 v129, 0
	s_delay_alu instid0(VALU_DEP_1) | instskip(NEXT) | instid1(VALU_DEP_1)
	v_add_nc_u64_e32 v[10:11], v[10:11], v[128:129]
	v_lshl_add_u64 v[10:11], v[10:11], 1, s[14:15]
	global_load_u16 v10, v[10:11], off offset:192
	s_wait_loadcnt 0x0
	v_cvt_f32_f16_e32 v10, v10
	s_delay_alu instid0(VALU_DEP_1)
	v_mul_f32_e32 v10, v77, v10
	s_branch .LBB59_50
.LBB59_49:
	v_mov_b32_e32 v10, 0
.LBB59_50:
	s_delay_alu instid0(VALU_DEP_1) | instskip(NEXT) | instid1(VALU_DEP_1)
	v_dual_add_f32 v6, v6, v10 :: v_dual_max_num_f32 v8, v8, v8
	v_add_f32_e32 v10, 0x40051340, v6
	s_delay_alu instid0(VALU_DEP_1)
	v_max_num_f32_e32 v8, v8, v10
.LBB59_51:
	s_or_b32 exec_lo, exec_lo, s21
	v_xor_b32_e32 v143, 16, v141
	v_dual_mov_b32 v73, 0 :: v_dual_bitop2_b32 v146, 2, v141 bitop3:0x14
	v_xor_b32_e32 v144, 8, v141
	v_xor_b32_e32 v145, 4, v141
	s_delay_alu instid0(VALU_DEP_4) | instskip(SKIP_3) | instid1(VALU_DEP_2)
	v_cmp_gt_i32_e32 vcc_lo, 32, v143
	v_dual_mov_b32 v148, 32 :: v_dual_bitop2_b32 v147, 1, v141 bitop3:0x14
	v_cndmask_b32_e32 v10, v141, v143, vcc_lo
	v_cmp_gt_i32_e32 vcc_lo, 32, v144
	v_lshlrev_b32_e32 v13, 2, v10
	ds_bpermute_b32 v10, v13, v8
	v_cndmask_b32_e32 v11, v141, v144, vcc_lo
	v_cmp_gt_i32_e32 vcc_lo, 32, v145
	s_wait_dscnt 0x0
	v_dual_max_num_f32 v10, v10, v10 :: v_dual_max_num_f32 v8, v8, v8
	s_delay_alu instid0(VALU_DEP_1)
	v_dual_max_num_f32 v10, v8, v10 :: v_dual_lshlrev_b32 v29, 2, v11
	ds_bpermute_b32 v8, v29, v10
	v_cndmask_b32_e32 v11, v141, v145, vcc_lo
	v_cmp_gt_i32_e32 vcc_lo, 32, v146
	v_cndmask_b32_e32 v15, v141, v146, vcc_lo
	v_cmp_gt_i32_e32 vcc_lo, 32, v147
	s_delay_alu instid0(VALU_DEP_2) | instskip(SKIP_2) | instid1(VALU_DEP_1)
	v_lshlrev_b32_e32 v17, 2, v15
	s_wait_dscnt 0x0
	v_dual_cndmask_b32 v15, v141, v147 :: v_dual_max_num_f32 v14, v8, v8
	v_dual_lshlrev_b32 v8, 2, v11 :: v_dual_max_num_f32 v14, v10, v14
	ds_bpermute_b32 v10, v8, v14
	s_wait_dscnt 0x0
	v_max_num_f32_e32 v30, v10, v10
	v_mul_u64_e32 v[10:11], s[16:17], v[72:73]
	s_delay_alu instid0(VALU_DEP_2) | instskip(SKIP_3) | instid1(VALU_DEP_1)
	v_max_num_f32_e32 v10, v14, v30
	ds_bpermute_b32 v14, v17, v10
	s_wait_dscnt 0x0
	v_dual_max_num_f32 v14, v14, v14 :: v_dual_add_nc_u32 v11, v72, v11
	v_dual_max_num_f32 v14, v10, v14 :: v_dual_lshlrev_b32 v15, 2, v15
	s_delay_alu instid0(VALU_DEP_2) | instskip(SKIP_4) | instid1(VALU_DEP_1)
	v_lshrrev_b32_e32 v10, s37, v11
	ds_bpermute_b32 v11, v15, v14
	s_wait_dscnt 0x0
	v_max_num_f32_e32 v11, v11, v11
	v_mul_lo_u32 v10, v10, s38
	v_dual_max_num_f32 v14, v14, v11 :: v_dual_sub_nc_u32 v10, v72, v10
	s_delay_alu instid0(VALU_DEP_1)
	v_mad_u32 v10, v10, s36, s18
	s_and_saveexec_b32 s16, s10
	s_cbranch_execnz .LBB59_55
; %bb.52:
	s_or_b32 exec_lo, exec_lo, s16
	s_and_saveexec_b32 s10, s11
	s_cbranch_execnz .LBB59_58
.LBB59_53:
	s_or_b32 exec_lo, exec_lo, s10
	s_and_saveexec_b32 s10, s12
	s_cbranch_execnz .LBB59_62
.LBB59_54:
	s_or_b32 exec_lo, exec_lo, s10
	s_and_saveexec_b32 s10, s13
	s_cbranch_execnz .LBB59_66
	s_branch .LBB59_70
.LBB59_55:
	v_cmp_ne_u32_e32 vcc_lo, 1, v16
	s_cbranch_vccnz .LBB59_57
; %bb.56:
	s_delay_alu instid0(VALU_DEP_2) | instskip(SKIP_3) | instid1(VALU_DEP_1)
	v_add_nc_u32_e32 v11, v10, v128
	global_load_u16 v11, v11, s[14:15] scale_offset
	s_wait_loadcnt 0x0
	v_cvt_f32_f16_e32 v11, v11
	v_mul_f32_e32 v73, v77, v11
.LBB59_57:
	s_delay_alu instid0(VALU_DEP_1) | instskip(SKIP_1) | instid1(VALU_DEP_2)
	v_add_f32_e32 v1, v1, v73
	v_max_num_f32_e32 v9, v9, v9
	v_add_f32_e32 v11, 0x40051340, v1
	s_delay_alu instid0(VALU_DEP_1)
	v_max_num_f32_e32 v9, v9, v11
	s_or_b32 exec_lo, exec_lo, s16
	s_and_saveexec_b32 s10, s11
	s_cbranch_execz .LBB59_53
.LBB59_58:
	v_cmp_ne_u32_e32 vcc_lo, 1, v16
	s_cbranch_vccnz .LBB59_60
; %bb.59:
	s_delay_alu instid0(VALU_DEP_2) | instskip(NEXT) | instid1(VALU_DEP_1)
	v_dual_ashrrev_i32 v11, 31, v10 :: v_dual_mov_b32 v129, 0
	v_add_nc_u64_e32 v[30:31], v[10:11], v[128:129]
	s_delay_alu instid0(VALU_DEP_1) | instskip(SKIP_3) | instid1(VALU_DEP_1)
	v_lshl_add_u64 v[30:31], v[30:31], 1, s[14:15]
	global_load_u16 v11, v[30:31], off offset:64
	s_wait_loadcnt 0x0
	v_cvt_f32_f16_e32 v11, v11
	v_mul_f32_e32 v11, v77, v11
	s_branch .LBB59_61
.LBB59_60:
	v_mov_b32_e32 v11, 0
.LBB59_61:
	s_delay_alu instid0(VALU_DEP_1) | instskip(NEXT) | instid1(VALU_DEP_1)
	v_dual_add_f32 v3, v3, v11 :: v_dual_max_num_f32 v9, v9, v9
	v_add_f32_e32 v11, 0x40051340, v3
	s_delay_alu instid0(VALU_DEP_1)
	v_max_num_f32_e32 v9, v9, v11
	s_or_b32 exec_lo, exec_lo, s10
	s_and_saveexec_b32 s10, s12
	s_cbranch_execz .LBB59_54
.LBB59_62:
	v_cmp_ne_u32_e32 vcc_lo, 1, v16
	s_cbranch_vccnz .LBB59_64
; %bb.63:
	v_dual_ashrrev_i32 v11, 31, v10 :: v_dual_mov_b32 v129, 0
	s_delay_alu instid0(VALU_DEP_1) | instskip(NEXT) | instid1(VALU_DEP_1)
	v_add_nc_u64_e32 v[30:31], v[10:11], v[128:129]
	v_lshl_add_u64 v[30:31], v[30:31], 1, s[14:15]
	global_load_u16 v11, v[30:31], off offset:128
	s_wait_loadcnt 0x0
	v_cvt_f32_f16_e32 v11, v11
	s_delay_alu instid0(VALU_DEP_1)
	v_mul_f32_e32 v11, v77, v11
	s_branch .LBB59_65
.LBB59_64:
	v_mov_b32_e32 v11, 0
.LBB59_65:
	s_delay_alu instid0(VALU_DEP_1) | instskip(SKIP_1) | instid1(VALU_DEP_2)
	v_add_f32_e32 v5, v5, v11
	v_max_num_f32_e32 v9, v9, v9
	v_add_f32_e32 v11, 0x40051340, v5
	s_delay_alu instid0(VALU_DEP_1)
	v_max_num_f32_e32 v9, v9, v11
	s_or_b32 exec_lo, exec_lo, s10
	s_and_saveexec_b32 s10, s13
	s_cbranch_execz .LBB59_70
.LBB59_66:
	v_cmp_ne_u32_e32 vcc_lo, 1, v16
	s_cbranch_vccnz .LBB59_68
; %bb.67:
	v_dual_ashrrev_i32 v11, 31, v10 :: v_dual_mov_b32 v129, 0
	s_delay_alu instid0(VALU_DEP_1) | instskip(NEXT) | instid1(VALU_DEP_1)
	v_add_nc_u64_e32 v[10:11], v[10:11], v[128:129]
	v_lshl_add_u64 v[10:11], v[10:11], 1, s[14:15]
	global_load_u16 v10, v[10:11], off offset:192
	s_wait_loadcnt 0x0
	v_cvt_f32_f16_e32 v10, v10
	s_delay_alu instid0(VALU_DEP_1)
	v_mul_f32_e32 v10, v77, v10
	s_branch .LBB59_69
.LBB59_68:
	v_mov_b32_e32 v10, 0
.LBB59_69:
	s_delay_alu instid0(VALU_DEP_1) | instskip(NEXT) | instid1(VALU_DEP_1)
	v_dual_add_f32 v7, v7, v10 :: v_dual_max_num_f32 v9, v9, v9
	v_add_f32_e32 v10, 0x40051340, v7
	s_delay_alu instid0(VALU_DEP_1)
	v_max_num_f32_e32 v9, v9, v10
.LBB59_70:
	s_or_b32 exec_lo, exec_lo, s10
	ds_bpermute_b32 v10, v13, v9
	v_max_num_f32_e32 v9, v9, v9
	s_mov_b32 s16, 0
	s_ashr_i32 s23, s22, 31
	v_dual_sub_f32 v4, v4, v14 :: v_dual_sub_f32 v6, v6, v14
	v_lshl_add_u32 v36, v26, 2, v120
	v_cmp_gt_u32_e64 s10, s20, v26
	s_mul_u64 s[14:15], s[18:19], s[22:23]
	s_mov_b32 s17, s16
	s_mov_b32 s18, s16
	v_dual_sub_f32 v0, v0, v14 :: v_dual_sub_f32 v2, v2, v14
	v_mul_lo_u32 v16, s22, v18
	v_lshl_add_u32 v37, v27, 2, v120
	v_cmp_gt_u32_e64 s11, s20, v27
	s_delay_alu instid0(VALU_DEP_4)
	v_mul_f32_e32 v27, 0x3fb8aa3b, v0
	v_lshl_add_u32 v38, v28, 2, v120
	v_cmp_gt_u32_e64 s12, s20, v28
	v_mul_f32_e32 v28, 0x3fb8aa3b, v2
	s_wait_dscnt 0x0
	v_max_num_f32_e32 v10, v10, v10
	v_fma_f32 v39, 0x3fb8aa3b, v0, -v27
	v_rndne_f32_e32 v40, v27
	v_mbcnt_lo_u32_b32 v31, -1, 0
	v_fma_f32 v41, 0x3fb8aa3b, v2, -v28
	v_max_num_f32_e32 v9, v9, v10
	v_cmp_ngt_f32_e64 s13, 0xc2ce8ed0, v0
	s_lshl_b64 s[36:37], s[14:15], 2
	v_cmp_ngt_f32_e64 s14, 0xc2ce8ed0, v2
	v_rndne_f32_e32 v42, v28
	ds_bpermute_b32 v10, v29, v9
	v_cmp_gt_u32_e32 vcc_lo, s20, v128
	v_cmp_ngt_f32_e64 s15, 0xc2ce8ed0, v4
	v_cmp_nlt_f32_e64 s19, 0x42b17218, v4
	v_cmp_nlt_f32_e64 s20, 0x42b17218, v6
	s_add_nc_u64 s[26:27], s[26:27], s[36:37]
	v_dual_mov_b32 v30, 0 :: v_dual_mov_b32 v13, 0
	s_wait_dscnt 0x0
	s_barrier_signal -1
	s_barrier_wait -1
	v_add_nc_u32_e32 v108, 0x3000, v75
	v_add_nc_u32_e32 v156, 0x4000, v75
	v_add_nc_u32_e32 v154, 0x5000, v75
	v_add_nc_u32_e32 v152, 0x5800, v75
	v_add_nc_u32_e32 v150, 0x7000, v75
	v_add_nc_u32_e32 v149, 0x7800, v75
	v_add_nc_u32_e32 v29, v120, v139
	v_dual_max_num_f32 v10, v10, v10 :: v_dual_lshlrev_b32 v31, 20, v31
	v_fmac_f32_e32 v41, 0x32a5705f, v2
	v_add_nc_u32_e32 v109, 0x3800, v75
	s_delay_alu instid0(VALU_DEP_3) | instskip(NEXT) | instid1(VALU_DEP_4)
	v_add_nc_u64_e32 v[30:31], src_flat_scratch_base_lo, v[30:31]
	v_max_num_f32_e32 v11, v9, v10
	ds_bpermute_b32 v8, v8, v11
	s_wait_dscnt 0x0
	v_dual_max_num_f32 v26, v8, v8 :: v_dual_mov_b32 v8, s16
	v_dual_mul_f32 v34, 0x3fb8aa3b, v4 :: v_dual_mov_b32 v9, s17
	s_delay_alu instid0(VALU_DEP_2) | instskip(SKIP_2) | instid1(VALU_DEP_4)
	v_dual_mov_b32 v10, s18 :: v_dual_max_num_f32 v11, v11, v26
	v_mul_f32_e32 v26, 0x3fb8aa3b, v6
	v_cmp_nlt_f32_e64 s17, 0x42b17218, v0
	v_fma_f32 v43, 0x3fb8aa3b, v4, -v34
	v_cmp_nlt_f32_e64 s18, 0x42b17218, v2
	ds_bpermute_b32 v35, v17, v11
	v_ashrrev_i32_e32 v17, 31, v16
	v_rndne_f32_e32 v44, v34
	v_fma_f32 v45, 0x3fb8aa3b, v6, -v26
	v_rndne_f32_e32 v46, v26
	v_cmp_ngt_f32_e64 s16, 0xc2ce8ed0, v6
	s_clause 0x1
	scratch_store_b32 off, v13, off
	scratch_store_b96 off, v[8:10], off offset:4
	s_wait_dscnt 0x0
	v_max_num_f32_e32 v35, v35, v35
	v_fmac_f32_e32 v39, 0x32a5705f, v0
	v_sub_f32_e32 v0, v27, v40
	v_cvt_i32_f32_e32 v40, v40
	s_delay_alu instid0(VALU_DEP_4) | instskip(NEXT) | instid1(VALU_DEP_3)
	v_dual_max_num_f32 v2, v11, v35 :: v_dual_fmac_f32 v43, 0x32a5705f, v4
	v_add_f32_e32 v0, v0, v39
	v_dual_sub_f32 v11, v28, v42 :: v_dual_sub_f32 v4, v34, v44
	v_fmac_f32_e32 v45, 0x32a5705f, v6
	ds_bpermute_b32 v6, v15, v2
	v_exp_f32_e32 v0, v0
	v_dual_sub_f32 v15, v26, v46 :: v_dual_add_f32 v11, v11, v41
	v_add_f32_e32 v4, v4, v43
	v_cvt_i32_f32_e32 v28, v42
	v_lshl_add_u64 v[26:27], v[16:17], 2, s[26:27]
	v_cvt_i32_f32_e32 v17, v44
	s_delay_alu instid0(TRANS32_DEP_1)
	v_ldexp_f32 v0, v0, v40
	v_add_f32_e32 v15, v15, v45
	v_exp_f32_e32 v11, v11
	v_exp_f32_e32 v4, v4
	v_cvt_i32_f32_e32 v39, v46
	v_cndmask_b32_e64 v0, 0, v0, s13
	v_exp_f32_e32 v15, v15
	v_add_nc_u64_e32 v[34:35], v[26:27], v[12:13]
	s_delay_alu instid0(TRANS32_DEP_3) | instskip(NEXT) | instid1(TRANS32_DEP_2)
	v_ldexp_f32 v11, v11, v28
	v_ldexp_f32 v4, v4, v17
	v_cndmask_b32_e64 v0, 0x7f800000, v0, s17
	s_wait_dscnt 0x0
	v_max_num_f32_e32 v6, v6, v6
	v_ldexp_f32 v15, v15, v39
	v_dual_cndmask_b32 v11, 0, v11, s14 :: v_dual_cndmask_b32 v4, 0, v4, s15
	s_delay_alu instid0(VALU_DEP_2) | instskip(NEXT) | instid1(VALU_DEP_4)
	v_dual_cndmask_b32 v27, 0, v0, vcc_lo :: v_dual_cndmask_b32 v17, 0, v15, s16
	v_max_num_f32_e32 v15, v2, v6
	s_delay_alu instid0(VALU_DEP_3) | instskip(NEXT) | instid1(VALU_DEP_4)
	v_cndmask_b32_e64 v2, 0x7f800000, v11, s18
	v_cndmask_b32_e64 v4, 0x7f800000, v4, s19
	s_delay_alu instid0(VALU_DEP_4) | instskip(NEXT) | instid1(VALU_DEP_4)
	v_cndmask_b32_e64 v6, 0x7f800000, v17, s20
	v_dual_sub_f32 v0, v1, v15 :: v_dual_sub_f32 v1, v3, v15
	v_dual_sub_f32 v3, v5, v15 :: v_dual_sub_f32 v5, v7, v15
	v_cndmask_b32_e64 v28, 0, v2, s10
	s_delay_alu instid0(VALU_DEP_3) | instskip(SKIP_3) | instid1(VALU_DEP_4)
	v_dual_mul_f32 v2, 0x3fb8aa3b, v0 :: v_dual_mul_f32 v7, 0x3fb8aa3b, v1
	v_cmp_ngt_f32_e64 s13, 0xc2ce8ed0, v0
	v_cmp_ngt_f32_e64 s14, 0xc2ce8ed0, v1
	v_cmp_nlt_f32_e64 s17, 0x42b17218, v0
	v_fma_f32 v26, 0x3fb8aa3b, v0, -v2
	v_rndne_f32_e32 v39, v2
	v_fma_f32 v40, 0x3fb8aa3b, v1, -v7
	v_rndne_f32_e32 v41, v7
	v_cmp_nlt_f32_e64 s18, 0x42b17218, v1
	v_fmac_f32_e32 v26, 0x32a5705f, v0
	v_sub_f32_e32 v0, v2, v39
	v_fmac_f32_e32 v40, 0x32a5705f, v1
	v_sub_f32_e32 v1, v7, v41
	v_mul_f32_e32 v11, 0x3fb8aa3b, v3
	v_cmp_ngt_f32_e64 s15, 0xc2ce8ed0, v3
	v_add_f32_e32 v0, v0, v26
	v_cmp_ngt_f32_e64 s16, 0xc2ce8ed0, v5
	v_cmp_nlt_f32_e64 s19, 0x42b17218, v3
	v_rndne_f32_e32 v43, v11
	v_mul_f32_e32 v17, 0x3fb8aa3b, v5
	v_fma_f32 v42, 0x3fb8aa3b, v3, -v11
	v_exp_f32_e32 v0, v0
	v_cmp_nlt_f32_e64 s20, 0x42b17218, v5
	v_sub_f32_e32 v2, v11, v43
	v_fma_f32 v44, 0x3fb8aa3b, v5, -v17
	v_rndne_f32_e32 v45, v17
	v_fmac_f32_e32 v42, 0x32a5705f, v3
	v_cvt_i32_f32_e32 v11, v39
	v_cvt_i32_f32_e32 v26, v43
	v_fmac_f32_e32 v44, 0x32a5705f, v5
	v_sub_f32_e32 v7, v17, v45
	v_cvt_i32_f32_e32 v17, v41
	v_ldexp_f32 v0, v0, v11
	v_add_f32_e32 v2, v2, v42
	v_cvt_i32_f32_e32 v39, v45
	v_add_f32_e32 v7, v7, v44
	v_add_f32_e32 v1, v1, v40
	v_cndmask_b32_e64 v0, 0, v0, s13
	v_exp_f32_e32 v2, v2
	v_add_nc_u32_e32 v155, 0x4800, v75
	v_exp_f32_e32 v7, v7
	v_exp_f32_e32 v1, v1
	v_cndmask_b32_e64 v0, 0x7f800000, v0, s17
	s_delay_alu instid0(TRANS32_DEP_3) | instskip(SKIP_1) | instid1(TRANS32_DEP_2)
	v_ldexp_f32 v2, v2, v26
	v_cndmask_b32_e64 v26, 0, v4, s11
	v_ldexp_f32 v3, v7, v39
	s_delay_alu instid0(TRANS32_DEP_1) | instskip(SKIP_1) | instid1(VALU_DEP_3)
	v_ldexp_f32 v1, v1, v17
	v_dual_cndmask_b32 v7, 0, v6, s12 :: v_dual_cndmask_b32 v11, 0, v0, vcc_lo
	v_dual_cndmask_b32 v2, 0, v2, s15 :: v_dual_cndmask_b32 v3, 0, v3, s16
	s_delay_alu instid0(VALU_DEP_3) | instskip(NEXT) | instid1(VALU_DEP_2)
	v_dual_cndmask_b32 v1, 0, v1, s14 :: v_dual_cndmask_b32 v0, v30, v34, s2
	v_cndmask_b32_e64 v2, 0x7f800000, v2, s19
	s_delay_alu instid0(VALU_DEP_3) | instskip(NEXT) | instid1(VALU_DEP_3)
	v_cndmask_b32_e64 v3, 0x7f800000, v3, s20
	v_cndmask_b32_e64 v1, 0x7f800000, v1, s18
	s_delay_alu instid0(VALU_DEP_2) | instskip(NEXT) | instid1(VALU_DEP_2)
	v_dual_cndmask_b32 v5, 0, v2, s11 :: v_dual_cndmask_b32 v4, 0, v3, s12
	v_cndmask_b32_e64 v17, 0, v1, s10
	v_cvt_pk_f16_f32 v2, v27, v11
	v_cndmask_b32_e64 v1, v31, v35, s2
	s_delay_alu instid0(VALU_DEP_4)
	v_cvt_pk_f16_f32 v6, v26, v5
	v_cvt_pk_f16_f32 v35, v7, v4
	;; [unrolled: 1-line block ×3, first 2 shown]
	s_lshl_b32 s2, s22, 4
	ds_store_b32 v29, v2
	ds_store_b32 v36, v3
	;; [unrolled: 1-line block ×4, first 2 shown]
	v_add_nc_u32_e32 v34, s2, v16
	flat_load_b128 v[0:3], v[0:1]
	v_lshl_or_b32 v6, v18, 8, v12
	s_clause 0x1
	scratch_store_b32 off, v13, off
	scratch_store_b96 off, v[8:10], off offset:4
	v_dual_add_f32 v11, v11, v17 :: v_dual_ashrrev_i32 v35, 31, v34
	v_add_nc_u32_e32 v38, 0x2000, v75
	s_delay_alu instid0(VALU_DEP_2) | instskip(NEXT) | instid1(VALU_DEP_3)
	v_add_f32_e32 v5, v5, v11
	v_lshl_add_u64 v[36:37], v[34:35], 2, s[26:27]
	s_delay_alu instid0(VALU_DEP_2) | instskip(NEXT) | instid1(VALU_DEP_2)
	v_dual_add_f32 v135, v4, v5 :: v_dual_add_nc_u32 v34, s2, v34
	v_add_nc_u64_e32 v[36:37], v[36:37], v[12:13]
	s_delay_alu instid0(VALU_DEP_1) | instskip(NEXT) | instid1(VALU_DEP_2)
	v_dual_ashrrev_i32 v35, 31, v34 :: v_dual_cndmask_b32 v37, v31, v37, s3
	v_cndmask_b32_e64 v36, v30, v36, s3
	s_wait_loadcnt_dscnt 0x0
	ds_store_b128 v6, v[0:3]
	flat_load_b128 v[0:3], v[36:37]
	s_wait_xcnt 0x0
	v_lshl_add_u64 v[36:37], v[34:35], 2, s[26:27]
	v_lshl_or_b32 v6, v20, 8, v12
	s_clause 0x1
	scratch_store_b32 off, v13, off
	scratch_store_b96 off, v[8:10], off offset:4
	v_add_nc_u32_e32 v34, s2, v34
	v_add_nc_u64_e32 v[36:37], v[36:37], v[12:13]
	s_delay_alu instid0(VALU_DEP_1) | instskip(NEXT) | instid1(VALU_DEP_2)
	v_dual_ashrrev_i32 v35, 31, v34 :: v_dual_cndmask_b32 v37, v31, v37, s4
	v_cndmask_b32_e64 v36, v30, v36, s4
	s_wait_loadcnt_dscnt 0x0
	ds_store_b128 v6, v[0:3]
	flat_load_b128 v[0:3], v[36:37]
	s_wait_xcnt 0x0
	v_lshl_add_u64 v[36:37], v[34:35], 2, s[26:27]
	v_lshl_or_b32 v6, v21, 8, v12
	s_clause 0x1
	scratch_store_b32 off, v13, off
	scratch_store_b96 off, v[8:10], off offset:4
	v_add_nc_u64_e32 v[36:37], v[36:37], v[12:13]
	s_delay_alu instid0(VALU_DEP_1)
	v_dual_cndmask_b32 v21, v31, v37, s5 :: v_dual_cndmask_b32 v20, v30, v36, s5
	v_add_nc_u32_e32 v37, 0x1800, v75
	v_add_nc_u32_e32 v36, 0x2800, v75
	s_wait_loadcnt_dscnt 0x0
	ds_store_b128 v6, v[0:3]
	flat_load_b128 v[0:3], v[20:21]
	s_wait_xcnt 0x0
	v_add_nc_u32_e32 v20, s2, v34
	v_lshl_or_b32 v6, v22, 8, v12
	s_clause 0x1
	scratch_store_b32 off, v13, off
	scratch_store_b96 off, v[8:10], off offset:4
	v_ashrrev_i32_e32 v21, 31, v20
	s_delay_alu instid0(VALU_DEP_1) | instskip(NEXT) | instid1(VALU_DEP_1)
	v_lshl_add_u64 v[34:35], v[20:21], 2, s[26:27]
	v_add_nc_u64_e32 v[34:35], v[34:35], v[12:13]
	s_delay_alu instid0(VALU_DEP_1) | instskip(SKIP_1) | instid1(VALU_DEP_1)
	v_dual_cndmask_b32 v35, v31, v35, s6 :: v_dual_cndmask_b32 v34, v30, v34, s6
	v_add_nc_u32_e32 v20, s2, v20
	v_ashrrev_i32_e32 v21, 31, v20
	s_wait_loadcnt_dscnt 0x0
	ds_store_b128 v6, v[0:3]
	flat_load_b128 v[0:3], v[34:35]
	s_wait_xcnt 0x0
	v_lshl_add_u64 v[34:35], v[20:21], 2, s[26:27]
	v_lshl_or_b32 v6, v23, 8, v12
	s_clause 0x1
	scratch_store_b32 off, v13, off
	scratch_store_b96 off, v[8:10], off offset:4
	v_add_nc_u32_e32 v20, s2, v20
	v_add_nc_u64_e32 v[34:35], v[34:35], v[12:13]
	s_delay_alu instid0(VALU_DEP_1) | instskip(NEXT) | instid1(VALU_DEP_2)
	v_dual_ashrrev_i32 v21, 31, v20 :: v_dual_cndmask_b32 v23, v31, v35, s7
	v_cndmask_b32_e64 v22, v30, v34, s7
	s_wait_loadcnt_dscnt 0x0
	ds_store_b128 v6, v[0:3]
	flat_load_b128 v[0:3], v[22:23]
	s_wait_xcnt 0x0
	v_lshl_add_u64 v[22:23], v[20:21], 2, s[26:27]
	v_lshl_or_b32 v6, v24, 8, v12
	s_clause 0x1
	scratch_store_b32 off, v13, off
	scratch_store_b96 off, v[8:10], off offset:4
	v_add_nc_u32_e32 v20, s2, v20
	v_add_nc_u64_e32 v[22:23], v[22:23], v[12:13]
	s_delay_alu instid0(VALU_DEP_1) | instskip(NEXT) | instid1(VALU_DEP_2)
	v_dual_ashrrev_i32 v21, 31, v20 :: v_dual_cndmask_b32 v23, v31, v23, s8
	v_cndmask_b32_e64 v22, v30, v22, s8
	s_delay_alu instid0(VALU_DEP_2) | instskip(NEXT) | instid1(VALU_DEP_1)
	v_lshl_add_u64 v[20:21], v[20:21], 2, s[26:27]
	v_add_nc_u64_e32 v[20:21], v[20:21], v[12:13]
	s_delay_alu instid0(VALU_DEP_1)
	v_dual_cndmask_b32 v21, v31, v21, s9 :: v_dual_cndmask_b32 v20, v30, v20, s9
	s_wait_loadcnt_dscnt 0x0
	ds_store_b128 v6, v[0:3]
	flat_load_b128 v[0:3], v[22:23]
	v_lshl_or_b32 v6, v25, 8, v12
	s_clause 0x1
	scratch_store_b32 off, v13, off
	scratch_store_b96 off, v[8:10], off offset:4
	s_wait_xcnt 0x0
	v_dual_sub_f32 v10, v132, v14 :: v_dual_sub_f32 v9, v133, v15
	v_mov_b64_e32 v[132:133], v[14:15]
	s_delay_alu instid0(VALU_DEP_2) | instskip(SKIP_1) | instid1(VALU_DEP_4)
	v_cmp_ngt_f32_e32 vcc_lo, 0xc2ce8ed0, v10
	v_cmp_nlt_f32_e64 s2, 0x42b17218, v10
	v_cmp_ngt_f32_e64 s3, 0xc2ce8ed0, v9
	s_wait_loadcnt_dscnt 0x0
	ds_store_b128 v6, v[0:3]
	flat_load_b128 v[0:3], v[20:21]
	v_mul_f32_e32 v6, 0x3fb8aa3b, v10
	s_delay_alu instid0(VALU_DEP_1) | instskip(SKIP_2) | instid1(VALU_DEP_3)
	v_rndne_f32_e32 v18, v6
	v_mul_f32_e32 v13, 0x3fb8aa3b, v9
	v_fma_f32 v8, 0x3fb8aa3b, v10, -v6
	v_sub_f32_e32 v16, v6, v18
	s_wait_xcnt 0x0
	s_delay_alu instid0(VALU_DEP_3)
	v_fma_f32 v20, 0x3fb8aa3b, v9, -v13
	v_rndne_f32_e32 v21, v13
	v_fmac_f32_e32 v8, 0x32a5705f, v10
	v_lshl_or_b32 v6, v19, 8, v12
	v_cvt_i32_f32_e32 v18, v18
	v_fmac_f32_e32 v20, 0x32a5705f, v9
	s_delay_alu instid0(VALU_DEP_4) | instskip(SKIP_2) | instid1(VALU_DEP_3)
	v_dual_sub_f32 v12, v13, v21 :: v_dual_add_f32 v13, v16, v8
	v_cvt_i32_f32_e32 v19, v21
	v_add_nc_u32_e32 v8, 0x800, v75
	v_add_f32_e32 v12, v12, v20
	s_delay_alu instid0(VALU_DEP_4) | instskip(NEXT) | instid1(VALU_DEP_1)
	v_exp_f32_e32 v13, v13
	v_exp_f32_e32 v12, v12
	s_delay_alu instid0(TRANS32_DEP_2) | instskip(NEXT) | instid1(TRANS32_DEP_1)
	v_ldexp_f32 v13, v13, v18
	v_ldexp_f32 v10, v12, v19
	s_delay_alu instid0(VALU_DEP_2) | instskip(SKIP_1) | instid1(VALU_DEP_3)
	v_cndmask_b32_e32 v12, 0, v13, vcc_lo
	v_cmp_nlt_f32_e32 vcc_lo, 0x42b17218, v9
	v_cndmask_b32_e64 v9, 0, v10, s3
	s_delay_alu instid0(VALU_DEP_3) | instskip(NEXT) | instid1(VALU_DEP_2)
	v_cndmask_b32_e64 v10, 0x7f800000, v12, s2
	v_dual_add_f32 v12, v27, v28 :: v_dual_cndmask_b32 v129, 0x7f800000, v9
	s_delay_alu instid0(VALU_DEP_2) | instskip(NEXT) | instid1(VALU_DEP_2)
	v_cvt_f16_f32_e32 v9, v10
	v_dual_add_f32 v12, v26, v12 :: v_dual_add_nc_u32 v153, 0x6000, v75
	s_delay_alu instid0(VALU_DEP_3) | instskip(SKIP_1) | instid1(VALU_DEP_4)
	v_dual_fmac_f32 v135, v131, v129 :: v_dual_add_nc_u32 v16, 0x1000, v75
	v_cvt_f16_f32_e64 v13, v129
	v_and_b32_e32 v9, 0xffff, v9
	s_delay_alu instid0(VALU_DEP_4) | instskip(NEXT) | instid1(VALU_DEP_3)
	v_dual_add_f32 v134, v7, v12 :: v_dual_add_nc_u32 v151, 0x6800, v75
	v_and_b32_e32 v13, 0xffff, v13
	s_delay_alu instid0(VALU_DEP_3) | instskip(NEXT) | instid1(VALU_DEP_3)
	v_mul_u32_u24_e32 v39, 0x10001, v9
	v_fmac_f32_e32 v134, v130, v10
	s_delay_alu instid0(VALU_DEP_3) | instskip(NEXT) | instid1(VALU_DEP_3)
	v_mul_u32_u24_e32 v157, 0x10001, v13
	v_pk_mul_f16 v170, v33, v39
	s_delay_alu instid0(VALU_DEP_2)
	v_pk_mul_f16 v130, v32, v157
	s_wait_loadcnt_dscnt 0x0
	ds_store_b128 v6, v[0:3]
	s_wait_storecnt_dscnt 0x0
	s_barrier_signal -1
	s_barrier_wait -1
	ds_load_2addr_b64 v[48:51], v75 offset1:32
	ds_load_2addr_b64 v[110:113], v75 offset0:64 offset1:96
	ds_load_2addr_b64 v[114:117], v75 offset0:128 offset1:160
	ds_load_b128 v[80:83], v142 offset:34816
	ds_load_b128 v[96:99], v142 offset:34832
	ds_load_2addr_b64 v[120:123], v75 offset0:192 offset1:224
	ds_load_2addr_b64 v[76:79], v8 offset1:32
	ds_load_2addr_b64 v[64:67], v8 offset0:64 offset1:96
	ds_load_2addr_b64 v[32:35], v8 offset0:128 offset1:160
	ds_load_b128 v[72:75], v142 offset:34848
	ds_load_b128 v[104:107], v142 offset:34864
	ds_load_2addr_b64 v[28:31], v8 offset0:192 offset1:224
	ds_load_2addr_b64 v[12:15], v16 offset1:32
	ds_load_2addr_b64 v[8:11], v16 offset0:64 offset1:96
	ds_load_2addr_b64 v[4:7], v16 offset0:128 offset1:160
	ds_load_b128 v[124:127], v142 offset:34880
	ds_load_b128 v[158:161], v142 offset:34896
	ds_load_2addr_b64 v[0:3], v16 offset0:192 offset1:224
	ds_load_2addr_b64 v[24:27], v37 offset1:32
	ds_load_2addr_b64 v[20:23], v37 offset0:64 offset1:96
	ds_load_2addr_b64 v[16:19], v37 offset0:128 offset1:160
	ds_load_b128 v[162:165], v142 offset:34912
	ds_load_b128 v[166:169], v142 offset:34928
	ds_load_2addr_b64 v[92:95], v37 offset0:192 offset1:224
	ds_load_2addr_b64 v[88:91], v38 offset1:32
	ds_load_2addr_b64 v[40:43], v38 offset0:64 offset1:96
	ds_load_2addr_b64 v[44:47], v38 offset0:128 offset1:160
	ds_load_b128 v[100:103], v142 offset:34944
	ds_load_b128 v[68:71], v142 offset:34960
	ds_load_2addr_b64 v[60:63], v38 offset0:192 offset1:224
	ds_load_2addr_b64 v[84:87], v36 offset1:32
	ds_load_2addr_b64 v[52:55], v36 offset0:64 offset1:96
	ds_load_2addr_b64 v[56:59], v36 offset0:128 offset1:160
	s_wait_dscnt 0x1d
	v_lshrrev_b32_e32 v37, 16, v80
	v_and_b32_e32 v38, 0xffff, v80
	v_dual_lshrrev_b32 v80, 16, v81 :: v_dual_lshrrev_b32 v171, 16, v82
	v_and_b32_e32 v81, 0xffff, v81
	s_delay_alu instid0(VALU_DEP_4) | instskip(NEXT) | instid1(VALU_DEP_4)
	v_mul_u32_u24_e32 v37, 0x10001, v37
	v_mul_u32_u24_e32 v38, 0x10001, v38
	s_wait_dscnt 0x17
	v_dual_lshrrev_b32 v180, 16, v99 :: v_dual_lshrrev_b32 v182, 16, v72
	v_and_b32_e32 v183, 0xffff, v72
	v_and_b32_e32 v82, 0xffff, v82
	v_pk_mul_f16 v72, v48, v38
	v_pk_mul_f16 v48, v48, v37
	v_dual_lshrrev_b32 v184, 16, v73 :: v_dual_lshrrev_b32 v186, 16, v74
	v_and_b32_e32 v185, 0xffff, v73
	v_pk_fma_f16 v38, v49, v38, v170
	v_mul_u32_u24_e32 v73, 0x10001, v81
	v_pk_fma_f16 v39, v119, v39, v72
	v_pk_fma_f16 v48, v118, v157, v48
	v_mul_u32_u24_e32 v72, 0x10001, v80
	v_pk_fma_f16 v37, v49, v37, v130
	v_dual_lshrrev_b32 v172, 16, v83 :: v_dual_lshrrev_b32 v174, 16, v96
	v_and_b32_e32 v173, 0xffff, v83
	v_pk_fma_f16 v38, v51, v73, v38
	v_pk_fma_f16 v39, v50, v73, v39
	;; [unrolled: 1-line block ×4, first 2 shown]
	v_mul_u32_u24_e32 v49, 0x10001, v82
	ds_load_2addr_b64 v[80:83], v36 offset0:192 offset1:224
	v_mul_u32_u24_e32 v36, 0x10001, v171
	v_and_b32_e32 v175, 0xffff, v96
	v_mul_u32_u24_e32 v50, 0x10001, v172
	v_pk_fma_f16 v38, v111, v49, v38
	v_pk_fma_f16 v39, v110, v49, v39
	v_mul_u32_u24_e32 v49, 0x10001, v173
	v_pk_fma_f16 v37, v111, v36, v37
	v_pk_fma_f16 v36, v110, v36, v48
	v_dual_lshrrev_b32 v176, 16, v97 :: v_dual_lshrrev_b32 v178, 16, v98
	v_and_b32_e32 v177, 0xffff, v97
	v_pk_fma_f16 v38, v113, v49, v38
	v_pk_fma_f16 v39, v112, v49, v39
	;; [unrolled: 1-line block ×4, first 2 shown]
	v_mul_u32_u24_e32 v48, 0x10001, v175
	v_mul_u32_u24_e32 v49, 0x10001, v174
	v_and_b32_e32 v179, 0xffff, v98
	v_mul_u32_u24_e32 v50, 0x10001, v176
	v_and_b32_e32 v181, 0xffff, v99
	v_pk_fma_f16 v38, v115, v48, v38
	v_pk_fma_f16 v39, v114, v48, v39
	v_mul_u32_u24_e32 v48, 0x10001, v177
	v_pk_fma_f16 v37, v115, v49, v37
	v_pk_fma_f16 v36, v114, v49, v36
	v_mul_u32_u24_e32 v112, 0x10001, v179
	v_mul_u32_u24_e32 v113, 0x10001, v178
	v_pk_fma_f16 v38, v117, v48, v38
	v_pk_fma_f16 v39, v116, v48, v39
	;; [unrolled: 1-line block ×4, first 2 shown]
	v_mul_u32_u24_e32 v114, 0x10001, v180
	v_pk_fma_f16 v38, v121, v112, v38
	v_pk_fma_f16 v39, v120, v112, v39
	v_mul_u32_u24_e32 v112, 0x10001, v181
	v_pk_fma_f16 v37, v121, v113, v37
	v_pk_fma_f16 v36, v120, v113, v36
	v_mul_u32_u24_e32 v116, 0x10001, v183
	v_mul_u32_u24_e32 v117, 0x10001, v182
	v_pk_fma_f16 v113, v123, v112, v38
	v_pk_fma_f16 v112, v122, v112, v39
	;; [unrolled: 1-line block ×4, first 2 shown]
	v_and_b32_e32 v187, 0xffff, v74
	v_pk_fma_f16 v113, v77, v116, v113
	v_pk_fma_f16 v112, v76, v116, v112
	v_mul_u32_u24_e32 v116, 0x10001, v185
	v_mul_u32_u24_e32 v120, 0x10001, v184
	v_pk_fma_f16 v77, v77, v117, v115
	v_pk_fma_f16 v76, v76, v117, v114
	s_wait_dscnt 0x17
	v_dual_lshrrev_b32 v188, 16, v75 :: v_dual_lshrrev_b32 v190, 16, v104
	v_and_b32_e32 v189, 0xffff, v75
	s_wait_dscnt 0x6
	v_dual_lshrrev_b32 v183, 16, v169 :: v_dual_lshrrev_b32 v214, 16, v100
	v_and_b32_e32 v185, 0xffff, v100
	v_pk_fma_f16 v100, v79, v116, v113
	v_pk_fma_f16 v112, v78, v116, v112
	;; [unrolled: 1-line block ×4, first 2 shown]
	v_mul_u32_u24_e32 v78, 0x10001, v187
	v_mul_u32_u24_e32 v79, 0x10001, v186
	v_and_b32_e32 v191, 0xffff, v104
	v_and_b32_e32 v213, 0xffff, v169
	v_dual_lshrrev_b32 v172, 16, v101 :: v_dual_lshrrev_b32 v169, 16, v102
	v_and_b32_e32 v173, 0xffff, v101
	v_and_b32_e32 v171, 0xffff, v102
	v_pk_fma_f16 v100, v65, v78, v100
	v_pk_fma_f16 v78, v64, v78, v112
	v_mul_u32_u24_e32 v101, 0x10001, v189
	v_mul_u32_u24_e32 v102, 0x10001, v188
	v_pk_fma_f16 v65, v65, v79, v77
	v_pk_fma_f16 v64, v64, v79, v76
	v_dual_lshrrev_b32 v192, 16, v105 :: v_dual_lshrrev_b32 v194, 16, v106
	v_and_b32_e32 v193, 0xffff, v105
	v_dual_lshrrev_b32 v111, 16, v159 :: v_dual_lshrrev_b32 v205, 16, v160
	v_and_b32_e32 v204, 0xffff, v159
	;; [unrolled: 2-line block ×4, first 2 shown]
	s_wait_dscnt 0x5
	v_dual_lshrrev_b32 v163, 16, v103 :: v_dual_lshrrev_b32 v159, 16, v68
	v_and_b32_e32 v165, 0xffff, v68
	v_pk_fma_f16 v68, v67, v101, v100
	v_pk_fma_f16 v76, v66, v101, v78
	;; [unrolled: 1-line block ×4, first 2 shown]
	v_mul_u32_u24_e32 v66, 0x10001, v191
	v_mul_u32_u24_e32 v67, 0x10001, v190
	v_and_b32_e32 v195, 0xffff, v106
	v_dual_lshrrev_b32 v201, 16, v127 :: v_dual_lshrrev_b32 v203, 16, v158
	v_and_b32_e32 v110, 0xffff, v158
	v_dual_lshrrev_b32 v175, 16, v161 :: v_dual_lshrrev_b32 v174, 16, v162
	v_and_b32_e32 v207, 0xffff, v161
	v_and_b32_e32 v176, 0xffff, v162
	v_dual_lshrrev_b32 v161, 16, v69 :: v_dual_lshrrev_b32 v158, 16, v70
	v_and_b32_e32 v162, 0xffff, v69
	v_and_b32_e32 v157, 0xffff, v70
	v_mul_u32_u24_e32 v69, 0x10001, v193
	v_pk_fma_f16 v68, v33, v66, v68
	v_pk_fma_f16 v66, v32, v66, v76
	v_mul_u32_u24_e32 v70, 0x10001, v192
	v_pk_fma_f16 v33, v33, v67, v65
	v_pk_fma_f16 v32, v32, v67, v64
	v_dual_lshrrev_b32 v196, 16, v107 :: v_dual_lshrrev_b32 v118, 16, v124
	v_and_b32_e32 v197, 0xffff, v107
	v_pk_fma_f16 v64, v35, v69, v68
	v_pk_fma_f16 v65, v34, v69, v66
	v_mul_u32_u24_e32 v66, 0x10001, v195
	v_pk_fma_f16 v33, v35, v70, v33
	v_pk_fma_f16 v32, v34, v70, v32
	v_mul_u32_u24_e32 v34, 0x10001, v194
	v_and_b32_e32 v119, 0xffff, v124
	v_mul_u32_u24_e32 v35, 0x10001, v197
	v_pk_fma_f16 v64, v29, v66, v64
	v_pk_fma_f16 v65, v28, v66, v65
	v_mul_u32_u24_e32 v100, 0x10001, v196
	v_pk_fma_f16 v29, v29, v34, v33
	v_pk_fma_f16 v28, v28, v34, v32
	v_dual_lshrrev_b32 v170, 16, v125 :: v_dual_lshrrev_b32 v199, 16, v126
	v_and_b32_e32 v198, 0xffff, v125
	v_and_b32_e32 v210, 0xffff, v164
	;; [unrolled: 1-line block ×3, first 2 shown]
	v_pk_fma_f16 v101, v31, v35, v64
	v_pk_fma_f16 v102, v30, v35, v65
	v_mul_u32_u24_e32 v103, 0x10001, v119
	v_pk_fma_f16 v29, v31, v100, v29
	v_pk_fma_f16 v28, v30, v100, v28
	v_mul_u32_u24_e32 v30, 0x10001, v118
	v_and_b32_e32 v200, 0xffff, v126
	v_mul_u32_u24_e32 v31, 0x10001, v198
	v_pk_fma_f16 v100, v13, v103, v101
	v_pk_fma_f16 v101, v12, v103, v102
	v_mul_u32_u24_e32 v102, 0x10001, v170
	v_pk_fma_f16 v13, v13, v30, v29
	v_pk_fma_f16 v12, v12, v30, v28
	v_and_b32_e32 v202, 0xffff, v127
	v_pk_fma_f16 v28, v15, v31, v100
	v_pk_fma_f16 v29, v14, v31, v101
	v_mul_u32_u24_e32 v30, 0x10001, v200
	v_mul_u32_u24_e32 v31, 0x10001, v199
	v_pk_fma_f16 v13, v15, v102, v13
	v_pk_fma_f16 v12, v14, v102, v12
	v_mul_u32_u24_e32 v14, 0x10001, v202
	v_mul_u32_u24_e32 v15, 0x10001, v201
	v_pk_fma_f16 v100, v9, v30, v28
	v_pk_fma_f16 v9, v9, v31, v13
	;; [unrolled: 1-line block ×4, first 2 shown]
	v_mul_u32_u24_e32 v101, 0x10001, v110
	v_mul_u32_u24_e32 v102, 0x10001, v203
	v_pk_fma_f16 v100, v11, v14, v100
	v_pk_fma_f16 v9, v11, v15, v9
	;; [unrolled: 1-line block ×4, first 2 shown]
	v_and_b32_e32 v206, 0xffff, v160
	ds_load_2addr_b64 v[72:75], v108 offset1:32
	ds_load_2addr_b64 v[48:51], v108 offset0:64 offset1:96
	ds_load_2addr_b64 v[36:39], v108 offset0:128 offset1:160
	;; [unrolled: 1-line block ×3, first 2 shown]
	v_mul_u32_u24_e32 v103, 0x10001, v204
	v_mul_u32_u24_e32 v108, 0x10001, v111
	v_pk_fma_f16 v100, v5, v101, v100
	v_pk_fma_f16 v5, v5, v102, v9
	;; [unrolled: 1-line block ×4, first 2 shown]
	ds_load_b128 v[104:107], v142 offset:34976
	ds_load_b128 v[96:99], v142 offset:34992
	v_lshrrev_b32_e32 v130, 16, v71
	v_and_b32_e32 v160, 0xffff, v71
	ds_load_2addr_b64 v[68:71], v109 offset1:32
	ds_load_2addr_b64 v[64:67], v109 offset0:64 offset1:96
	ds_load_2addr_b64 v[32:35], v109 offset0:128 offset1:160
	;; [unrolled: 1-line block ×3, first 2 shown]
	v_mul_u32_u24_e32 v102, 0x10001, v206
	v_mul_u32_u24_e32 v109, 0x10001, v205
	v_pk_fma_f16 v100, v7, v103, v100
	v_pk_fma_f16 v110, v7, v108, v5
	;; [unrolled: 1-line block ×4, first 2 shown]
	v_mul_u32_u24_e32 v170, 0x10001, v207
	v_mul_u32_u24_e32 v175, 0x10001, v175
	v_pk_fma_f16 v100, v1, v102, v100
	v_pk_fma_f16 v1, v1, v109, v110
	;; [unrolled: 1-line block ×4, first 2 shown]
	v_mul_u32_u24_e32 v176, 0x10001, v176
	v_pk_fma_f16 v181, v3, v170, v100
	v_pk_fma_f16 v182, v3, v175, v1
	;; [unrolled: 1-line block ×4, first 2 shown]
	v_mul_u32_u24_e32 v174, 0x10001, v174
	ds_load_2addr_b64 v[12:15], v156 offset1:32
	ds_load_2addr_b64 v[8:11], v156 offset0:64 offset1:96
	ds_load_2addr_b64 v[4:7], v156 offset0:128 offset1:160
	v_pk_fma_f16 v175, v25, v176, v181
	v_pk_fma_f16 v176, v24, v176, v1
	ds_load_2addr_b64 v[0:3], v156 offset0:192 offset1:224
	v_mul_u32_u24_e32 v156, 0x10001, v208
	v_mul_u32_u24_e32 v177, 0x10001, v177
	v_pk_fma_f16 v25, v25, v174, v182
	v_pk_fma_f16 v24, v24, v174, v170
	ds_load_b128 v[124:127], v142 offset:35008
	ds_load_b128 v[120:123], v142 offset:35024
	v_pk_fma_f16 v170, v27, v156, v175
	v_pk_fma_f16 v156, v26, v156, v176
	;; [unrolled: 1-line block ×4, first 2 shown]
	v_mul_u32_u24_e32 v24, 0x10001, v210
	v_mul_u32_u24_e32 v176, 0x10001, v209
	v_and_b32_e32 v166, 0xffff, v166
	v_mul_u32_u24_e32 v177, 0x10001, v211
	v_mul_u32_u24_e32 v179, 0x10001, v179
	v_pk_fma_f16 v170, v21, v24, v170
	v_pk_fma_f16 v156, v20, v24, v156
	;; [unrolled: 1-line block ×4, first 2 shown]
	v_dual_lshrrev_b32 v180, 16, v167 :: v_dual_lshrrev_b32 v212, 16, v168
	v_and_b32_e32 v167, 0xffff, v167
	s_wait_dscnt 0xa
	v_dual_lshrrev_b32 v201, 16, v107 :: v_dual_lshrrev_b32 v202, 16, v96
	v_pk_fma_f16 v170, v23, v177, v170
	v_pk_fma_f16 v156, v22, v177, v156
	v_and_b32_e32 v203, 0xffff, v96
	v_pk_fma_f16 v96, v23, v179, v21
	v_pk_fma_f16 v174, v22, v179, v20
	v_dual_lshrrev_b32 v204, 16, v97 :: v_dual_lshrrev_b32 v206, 16, v98
	v_and_b32_e32 v205, 0xffff, v97
	v_mul_u32_u24_e32 v20, 0x10001, v166
	v_mul_u32_u24_e32 v97, 0x10001, v178
	v_and_b32_e32 v168, 0xffff, v168
	v_and_b32_e32 v207, 0xffff, v98
	v_lshrrev_b32_e32 v208, 16, v99
	v_and_b32_e32 v209, 0xffff, v99
	v_pk_fma_f16 v98, v17, v20, v170
	v_pk_fma_f16 v99, v16, v20, v156
	v_mul_u32_u24_e32 v156, 0x10001, v167
	v_mul_u32_u24_e32 v166, 0x10001, v180
	v_pk_fma_f16 v17, v17, v97, v96
	v_pk_fma_f16 v16, v16, v97, v174
	ds_load_b128 v[116:119], v142 offset:35040
	ds_load_b128 v[112:115], v142 offset:35056
	s_wait_dscnt 0x3
	v_lshrrev_b32_e32 v96, 16, v124
	v_pk_fma_f16 v167, v19, v156, v98
	v_pk_fma_f16 v99, v18, v156, v99
	v_and_b32_e32 v210, 0xffff, v124
	v_pk_fma_f16 v124, v19, v166, v17
	v_pk_fma_f16 v156, v18, v166, v16
	v_dual_lshrrev_b32 v97, 16, v125 :: v_dual_lshrrev_b32 v181, 16, v126
	v_and_b32_e32 v197, 0xffff, v125
	v_mul_u32_u24_e32 v16, 0x10001, v168
	v_mul_u32_u24_e32 v125, 0x10001, v212
	v_and_b32_e32 v98, 0xffff, v126
	s_wait_dscnt 0x2
	v_dual_lshrrev_b32 v182, 16, v127 :: v_dual_lshrrev_b32 v178, 16, v120
	v_and_b32_e32 v184, 0xffff, v127
	v_pk_fma_f16 v126, v93, v16, v167
	v_pk_fma_f16 v99, v92, v16, v99
	v_mul_u32_u24_e32 v127, 0x10001, v213
	v_mul_u32_u24_e32 v166, 0x10001, v183
	v_pk_fma_f16 v93, v93, v125, v124
	v_pk_fma_f16 v92, v92, v125, v156
	v_and_b32_e32 v183, 0xffff, v120
	v_pk_fma_f16 v124, v95, v127, v126
	v_pk_fma_f16 v99, v94, v127, v99
	;; [unrolled: 1-line block ×4, first 2 shown]
	v_dual_lshrrev_b32 v179, 16, v121 :: v_dual_lshrrev_b32 v166, 16, v122
	v_and_b32_e32 v180, 0xffff, v121
	v_mul_u32_u24_e32 v92, 0x10001, v185
	v_mul_u32_u24_e32 v121, 0x10001, v214
	v_and_b32_e32 v170, 0xffff, v122
	s_wait_dscnt 0x1
	v_dual_lshrrev_b32 v167, 16, v123 :: v_dual_lshrrev_b32 v189, 16, v116
	v_and_b32_e32 v168, 0xffff, v123
	v_pk_fma_f16 v122, v89, v92, v124
	v_pk_fma_f16 v99, v88, v92, v99
	v_mul_u32_u24_e32 v123, 0x10001, v173
	v_mul_u32_u24_e32 v124, 0x10001, v172
	v_pk_fma_f16 v89, v89, v121, v120
	v_pk_fma_f16 v88, v88, v121, v125
	ds_load_b128 v[108:111], v142 offset:35072
	ds_load_b128 v[100:103], v142 offset:35088
	v_pk_fma_f16 v120, v91, v123, v122
	v_pk_fma_f16 v99, v90, v123, v99
	v_and_b32_e32 v192, 0xffff, v116
	v_pk_fma_f16 v116, v91, v124, v89
	v_pk_fma_f16 v121, v90, v124, v88
	v_dual_lshrrev_b32 v190, 16, v117 :: v_dual_lshrrev_b32 v187, 16, v118
	v_and_b32_e32 v191, 0xffff, v117
	v_mul_u32_u24_e32 v88, 0x10001, v171
	v_mul_u32_u24_e32 v117, 0x10001, v169
	v_and_b32_e32 v188, 0xffff, v118
	s_wait_dscnt 0x2
	v_dual_lshrrev_b32 v185, 16, v119 :: v_dual_lshrrev_b32 v193, 16, v112
	v_and_b32_e32 v186, 0xffff, v119
	v_pk_fma_f16 v118, v41, v88, v120
	v_pk_fma_f16 v99, v40, v88, v99
	v_mul_u32_u24_e32 v119, 0x10001, v164
	v_mul_u32_u24_e32 v120, 0x10001, v163
	v_pk_fma_f16 v41, v41, v117, v116
	v_pk_fma_f16 v40, v40, v117, v121
	v_and_b32_e32 v196, 0xffff, v112
	v_pk_fma_f16 v116, v43, v119, v118
	v_pk_fma_f16 v99, v42, v119, v99
	;; [unrolled: 1-line block ×4, first 2 shown]
	v_dual_lshrrev_b32 v194, 16, v113 :: v_dual_lshrrev_b32 v175, 16, v114
	v_and_b32_e32 v195, 0xffff, v113
	v_and_b32_e32 v169, 0xffff, v114
	v_mul_u32_u24_e32 v113, 0x10001, v165
	v_mul_u32_u24_e32 v114, 0x10001, v159
	s_wait_dscnt 0x1
	v_dual_lshrrev_b32 v171, 16, v115 :: v_dual_lshrrev_b32 v172, 16, v108
	v_and_b32_e32 v177, 0xffff, v115
	v_pk_fma_f16 v115, v45, v113, v116
	v_pk_fma_f16 v99, v44, v113, v99
	v_mul_u32_u24_e32 v113, 0x10001, v162
	v_mul_u32_u24_e32 v116, 0x10001, v161
	v_pk_fma_f16 v45, v45, v114, v112
	v_pk_fma_f16 v44, v44, v114, v117
	ds_load_b128 v[92:95], v142 offset:35104
	ds_load_b128 v[88:91], v142 offset:35120
	v_and_b32_e32 v176, 0xffff, v108
	v_pk_fma_f16 v108, v47, v113, v115
	v_pk_fma_f16 v99, v46, v113, v99
	v_dual_lshrrev_b32 v173, 16, v109 :: v_dual_lshrrev_b32 v164, 16, v110
	v_pk_fma_f16 v112, v47, v116, v45
	v_pk_fma_f16 v113, v46, v116, v44
	v_and_b32_e32 v174, 0xffff, v109
	v_and_b32_e32 v165, 0xffff, v110
	v_mul_u32_u24_e32 v109, 0x10001, v157
	v_mul_u32_u24_e32 v110, 0x10001, v158
	v_lshrrev_b32_e32 v198, 16, v104
	v_and_b32_e32 v104, 0xffff, v104
	s_wait_dscnt 0x2
	v_dual_lshrrev_b32 v157, 16, v111 :: v_dual_lshrrev_b32 v162, 16, v100
	v_and_b32_e32 v159, 0xffff, v111
	v_pk_fma_f16 v108, v61, v109, v108
	v_pk_fma_f16 v99, v60, v109, v99
	v_mul_u32_u24_e32 v109, 0x10001, v160
	v_mul_u32_u24_e32 v111, 0x10001, v130
	v_pk_fma_f16 v61, v61, v110, v112
	v_pk_fma_f16 v60, v60, v110, v113
	v_dual_lshrrev_b32 v199, 16, v105 :: v_dual_lshrrev_b32 v200, 16, v106
	v_and_b32_e32 v105, 0xffff, v105
	ds_load_2addr_b64 v[24:27], v155 offset1:32
	ds_load_2addr_b64 v[20:23], v155 offset0:64 offset1:96
	ds_load_2addr_b64 v[16:19], v155 offset0:128 offset1:160
	;; [unrolled: 1-line block ×3, first 2 shown]
	v_and_b32_e32 v163, 0xffff, v100
	v_pk_fma_f16 v100, v63, v109, v108
	v_pk_fma_f16 v99, v62, v109, v99
	v_dual_lshrrev_b32 v156, 16, v101 :: v_dual_lshrrev_b32 v130, 16, v102
	v_pk_fma_f16 v108, v63, v111, v61
	v_pk_fma_f16 v109, v62, v111, v60
	v_and_b32_e32 v158, 0xffff, v101
	v_and_b32_e32 v155, 0xffff, v102
	v_mul_u32_u24_e32 v101, 0x10001, v104
	v_mul_u32_u24_e32 v102, 0x10001, v198
	v_and_b32_e32 v106, 0xffff, v106
	s_wait_dscnt 0x5
	v_dual_lshrrev_b32 v122, 16, v103 :: v_dual_lshrrev_b32 v160, 16, v92
	v_and_b32_e32 v123, 0xffff, v103
	v_pk_fma_f16 v100, v85, v101, v100
	v_pk_fma_f16 v99, v84, v101, v99
	v_mul_u32_u24_e32 v101, 0x10001, v105
	v_mul_u32_u24_e32 v103, 0x10001, v199
	v_pk_fma_f16 v85, v85, v102, v108
	v_pk_fma_f16 v84, v84, v102, v109
	v_and_b32_e32 v107, 0xffff, v107
	v_and_b32_e32 v161, 0xffff, v92
	v_pk_fma_f16 v92, v87, v101, v100
	v_pk_fma_f16 v99, v86, v101, v99
	v_dual_lshrrev_b32 v125, 16, v93 :: v_dual_lshrrev_b32 v120, 16, v94
	v_pk_fma_f16 v100, v87, v103, v85
	v_pk_fma_f16 v101, v86, v103, v84
	v_and_b32_e32 v127, 0xffff, v93
	v_and_b32_e32 v124, 0xffff, v94
	v_mul_u32_u24_e32 v93, 0x10001, v106
	ds_load_b128 v[84:87], v142 offset:35136
	v_mul_u32_u24_e32 v94, 0x10001, v200
	s_wait_dscnt 0x5
	v_dual_lshrrev_b32 v119, 16, v95 :: v_dual_lshrrev_b32 v116, 16, v88
	v_and_b32_e32 v121, 0xffff, v95
	v_pk_fma_f16 v92, v53, v93, v92
	v_pk_fma_f16 v93, v52, v93, v99
	v_mul_u32_u24_e32 v95, 0x10001, v107
	v_mul_u32_u24_e32 v99, 0x10001, v201
	v_pk_fma_f16 v53, v53, v94, v100
	v_pk_fma_f16 v52, v52, v94, v101
	v_and_b32_e32 v126, 0xffff, v88
	v_pk_fma_f16 v88, v55, v95, v92
	v_pk_fma_f16 v92, v54, v95, v93
	v_dual_lshrrev_b32 v117, 16, v89 :: v_dual_lshrrev_b32 v112, 16, v90
	v_pk_fma_f16 v93, v55, v99, v53
	v_pk_fma_f16 v94, v54, v99, v52
	v_and_b32_e32 v118, 0xffff, v89
	v_and_b32_e32 v115, 0xffff, v90
	v_mul_u32_u24_e32 v89, 0x10001, v203
	ds_load_b128 v[52:55], v142 offset:35152
	v_mul_u32_u24_e32 v90, 0x10001, v202
	s_wait_dscnt 0x1
	v_dual_lshrrev_b32 v111, 16, v91 :: v_dual_lshrrev_b32 v108, 16, v84
	v_and_b32_e32 v113, 0xffff, v91
	v_pk_fma_f16 v88, v57, v89, v88
	v_pk_fma_f16 v89, v56, v89, v92
	v_mul_u32_u24_e32 v91, 0x10001, v205
	v_mul_u32_u24_e32 v92, 0x10001, v204
	v_pk_fma_f16 v57, v57, v90, v93
	v_pk_fma_f16 v56, v56, v90, v94
	v_and_b32_e32 v114, 0xffff, v84
	v_pk_fma_f16 v84, v59, v91, v88
	v_pk_fma_f16 v88, v58, v91, v89
	v_dual_lshrrev_b32 v109, 16, v85 :: v_dual_lshrrev_b32 v103, 16, v86
	v_pk_fma_f16 v89, v59, v92, v57
	v_pk_fma_f16 v90, v58, v92, v56
	v_and_b32_e32 v110, 0xffff, v85
	v_and_b32_e32 v105, 0xffff, v86
	v_mul_u32_u24_e32 v85, 0x10001, v207
	ds_load_b128 v[56:59], v142 offset:35168
	ds_load_b128 v[198:201], v142 offset:35200
	v_mul_u32_u24_e32 v86, 0x10001, v206
	s_wait_dscnt 0x2
	v_dual_lshrrev_b32 v99, 16, v87 :: v_dual_lshrrev_b32 v106, 16, v52
	v_and_b32_e32 v101, 0xffff, v87
	v_pk_fma_f16 v84, v81, v85, v84
	v_pk_fma_f16 v85, v80, v85, v88
	v_mul_u32_u24_e32 v87, 0x10001, v209
	v_mul_u32_u24_e32 v88, 0x10001, v208
	v_pk_fma_f16 v81, v81, v86, v89
	v_pk_fma_f16 v80, v80, v86, v90
	v_and_b32_e32 v107, 0xffff, v52
	v_pk_fma_f16 v52, v83, v87, v84
	v_pk_fma_f16 v91, v82, v87, v85
	v_lshrrev_b32_e32 v102, 16, v53
	v_pk_fma_f16 v81, v83, v88, v81
	v_pk_fma_f16 v80, v82, v88, v80
	v_and_b32_e32 v104, 0xffff, v53
	v_lshrrev_b32_e32 v88, 16, v54
	v_and_b32_e32 v100, 0xffff, v54
	v_mul_u32_u24_e32 v53, 0x10001, v210
	v_mul_u32_u24_e32 v54, 0x10001, v96
	v_lshrrev_b32_e32 v89, 16, v55
	v_and_b32_e32 v90, 0xffff, v55
	v_mul_u32_u24_e32 v55, 0x10001, v197
	v_pk_fma_f16 v52, v73, v53, v52
	v_pk_fma_f16 v53, v72, v53, v91
	v_mul_u32_u24_e32 v82, 0x10001, v97
	v_pk_fma_f16 v73, v73, v54, v81
	v_pk_fma_f16 v54, v72, v54, v80
	s_wait_dscnt 0x1
	v_lshrrev_b32_e32 v91, 16, v56
	v_and_b32_e32 v92, 0xffff, v56
	v_pk_fma_f16 v56, v75, v55, v52
	v_pk_fma_f16 v72, v74, v55, v53
	v_dual_lshrrev_b32 v93, 16, v57 :: v_dual_lshrrev_b32 v94, 16, v58
	v_pk_fma_f16 v73, v75, v82, v73
	v_pk_fma_f16 v74, v74, v82, v54
	v_and_b32_e32 v96, 0xffff, v57
	v_and_b32_e32 v97, 0xffff, v58
	v_mul_u32_u24_e32 v57, 0x10001, v98
	v_mul_u32_u24_e32 v58, 0x10001, v181
	v_lshrrev_b32_e32 v95, 16, v59
	v_and_b32_e32 v98, 0xffff, v59
	v_mul_u32_u24_e32 v59, 0x10001, v184
	v_pk_fma_f16 v56, v49, v57, v56
	v_pk_fma_f16 v57, v48, v57, v72
	v_mul_u32_u24_e32 v72, 0x10001, v182
	v_pk_fma_f16 v49, v49, v58, v73
	v_pk_fma_f16 v48, v48, v58, v74
	;; [unrolled: 1-line block ×4, first 2 shown]
	v_mul_u32_u24_e32 v75, 0x10001, v183
	v_pk_fma_f16 v80, v51, v72, v49
	v_pk_fma_f16 v72, v50, v72, v48
	v_mul_u32_u24_e32 v81, 0x10001, v178
	v_mul_u32_u24_e32 v82, 0x10001, v180
	v_pk_fma_f16 v73, v37, v75, v73
	v_pk_fma_f16 v74, v36, v75, v74
	v_mul_u32_u24_e32 v75, 0x10001, v179
	v_pk_fma_f16 v37, v37, v81, v80
	v_pk_fma_f16 v36, v36, v81, v72
	;; [unrolled: 1-line block ×4, first 2 shown]
	v_mul_u32_u24_e32 v74, 0x10001, v170
	v_pk_fma_f16 v37, v39, v75, v37
	v_pk_fma_f16 v36, v38, v75, v36
	v_mul_u32_u24_e32 v38, 0x10001, v166
	v_mul_u32_u24_e32 v39, 0x10001, v168
	v_pk_fma_f16 v72, v77, v74, v72
	v_pk_fma_f16 v73, v76, v74, v73
	v_mul_u32_u24_e32 v74, 0x10001, v167
	v_pk_fma_f16 v37, v77, v38, v37
	v_pk_fma_f16 v36, v76, v38, v36
	;; [unrolled: 1-line block ×4, first 2 shown]
	v_mul_u32_u24_e32 v72, 0x10001, v192
	v_mul_u32_u24_e32 v73, 0x10001, v189
	v_pk_fma_f16 v37, v79, v74, v37
	v_pk_fma_f16 v36, v78, v74, v36
	v_mul_u32_u24_e32 v74, 0x10001, v191
	v_mul_u32_u24_e32 v75, 0x10001, v190
	v_pk_fma_f16 v38, v69, v72, v38
	v_pk_fma_f16 v37, v69, v73, v37
	;; [unrolled: 1-line block ×4, first 2 shown]
	v_mul_u32_u24_e32 v68, 0x10001, v188
	v_mul_u32_u24_e32 v69, 0x10001, v187
	v_pk_fma_f16 v38, v71, v74, v38
	v_pk_fma_f16 v37, v71, v75, v37
	v_pk_fma_f16 v39, v70, v74, v39
	v_pk_fma_f16 v36, v70, v75, v36
	ds_load_2addr_b64 v[44:47], v154 offset1:32
	ds_load_2addr_b64 v[60:63], v154 offset0:64 offset1:96
	ds_load_2addr_b64 v[84:87], v154 offset0:128 offset1:160
	;; [unrolled: 1-line block ×3, first 2 shown]
	ds_load_2addr_b64 v[56:59], v152 offset1:32
	ds_load_2addr_b64 v[48:51], v152 offset0:64 offset1:96
	ds_load_b128 v[178:181], v142 offset:35184
	ds_load_b128 v[202:205], v142 offset:35216
	ds_load_2addr_b64 v[80:83], v152 offset0:128 offset1:160
	ds_load_2addr_b64 v[76:79], v152 offset0:192 offset1:224
	v_mul_u32_u24_e32 v152, 0x10001, v186
	v_mul_u32_u24_e32 v154, 0x10001, v185
	v_pk_fma_f16 v38, v65, v68, v38
	v_pk_fma_f16 v37, v65, v69, v37
	;; [unrolled: 1-line block ×4, first 2 shown]
	v_mul_u32_u24_e32 v166, 0x10001, v196
	v_pk_fma_f16 v38, v67, v152, v38
	v_pk_fma_f16 v167, v67, v154, v37
	;; [unrolled: 1-line block ×4, first 2 shown]
	v_mul_u32_u24_e32 v154, 0x10001, v193
	ds_load_2addr_b64 v[72:75], v153 offset1:32
	ds_load_2addr_b64 v[68:71], v153 offset0:64 offset1:96
	ds_load_2addr_b64 v[64:67], v153 offset0:128 offset1:160
	v_pk_fma_f16 v168, v33, v166, v38
	v_pk_fma_f16 v166, v32, v166, v37
	ds_load_2addr_b64 v[36:39], v153 offset0:192 offset1:224
	v_mul_u32_u24_e32 v153, 0x10001, v195
	v_mul_u32_u24_e32 v170, 0x10001, v194
	v_pk_fma_f16 v32, v32, v154, v152
	v_pk_fma_f16 v33, v33, v154, v167
	v_mul_u32_u24_e32 v175, 0x10001, v175
	v_pk_fma_f16 v182, v35, v153, v168
	v_pk_fma_f16 v183, v34, v153, v166
	;; [unrolled: 1-line block ×3, first 2 shown]
	v_mul_u32_u24_e32 v32, 0x10001, v169
	s_wait_dscnt 0x7
	v_lshrrev_b32_e32 v152, 16, v178
	v_and_b32_e32 v153, 0xffff, v178
	v_pk_fma_f16 v178, v35, v170, v33
	v_dual_lshrrev_b32 v154, 16, v179 :: v_dual_lshrrev_b32 v166, 16, v180
	v_and_b32_e32 v167, 0xffff, v179
	v_and_b32_e32 v169, 0xffff, v180
	v_lshrrev_b32_e32 v168, 16, v181
	v_and_b32_e32 v170, 0xffff, v181
	v_pk_fma_f16 v179, v29, v32, v182
	v_pk_fma_f16 v180, v28, v32, v183
	v_mul_u32_u24_e32 v177, 0x10001, v177
	v_mul_u32_u24_e32 v181, 0x10001, v171
	v_pk_fma_f16 v28, v28, v175, v184
	v_pk_fma_f16 v29, v29, v175, v178
	v_mul_u32_u24_e32 v172, 0x10001, v172
	v_pk_fma_f16 v182, v31, v177, v179
	v_pk_fma_f16 v183, v30, v177, v180
	;; [unrolled: 1-line block ×3, first 2 shown]
	v_mul_u32_u24_e32 v28, 0x10001, v176
	v_pk_fma_f16 v184, v31, v181, v29
	v_mul_u32_u24_e32 v174, 0x10001, v174
	v_mul_u32_u24_e32 v173, 0x10001, v173
	;; [unrolled: 1-line block ×3, first 2 shown]
	v_pk_fma_f16 v182, v13, v28, v182
	v_pk_fma_f16 v183, v12, v28, v183
	ds_load_b128 v[28:31], v142 offset:35232
	v_pk_fma_f16 v12, v12, v172, v185
	v_pk_fma_f16 v13, v13, v172, v184
	;; [unrolled: 1-line block ×4, first 2 shown]
	v_mul_u32_u24_e32 v159, 0x10001, v159
	v_pk_fma_f16 v189, v14, v173, v12
	v_mul_u32_u24_e32 v12, 0x10001, v165
	v_pk_fma_f16 v188, v15, v173, v13
	v_mul_u32_u24_e32 v157, 0x10001, v157
	v_mul_u32_u24_e32 v158, 0x10001, v158
	;; [unrolled: 1-line block ×3, first 2 shown]
	v_pk_fma_f16 v186, v9, v12, v186
	v_pk_fma_f16 v190, v8, v12, v187
	ds_load_b128 v[12:15], v142 offset:35248
	v_pk_fma_f16 v8, v8, v164, v189
	v_pk_fma_f16 v9, v9, v164, v188
	;; [unrolled: 1-line block ×4, first 2 shown]
	s_wait_dscnt 0x1
	v_dual_lshrrev_b32 v165, 16, v205 :: v_dual_lshrrev_b32 v187, 16, v28
	v_pk_fma_f16 v192, v10, v157, v8
	v_mul_u32_u24_e32 v8, 0x10001, v163
	v_and_b32_e32 v189, 0xffff, v28
	v_pk_fma_f16 v28, v11, v157, v9
	v_dual_lshrrev_b32 v186, 16, v29 :: v_dual_lshrrev_b32 v164, 16, v30
	v_and_b32_e32 v188, 0xffff, v29
	v_and_b32_e32 v163, 0xffff, v30
	v_lshrrev_b32_e32 v157, 16, v31
	v_and_b32_e32 v159, 0xffff, v31
	v_mul_u32_u24_e32 v29, 0x10001, v162
	v_pk_fma_f16 v30, v5, v8, v191
	v_pk_fma_f16 v31, v4, v8, v190
	ds_load_b128 v[8:11], v142 offset:35264
	s_wait_dscnt 0x1
	v_lshrrev_b32_e32 v191, 16, v12
	v_pk_fma_f16 v5, v5, v29, v28
	v_pk_fma_f16 v4, v4, v29, v192
	;; [unrolled: 1-line block ×4, first 2 shown]
	v_and_b32_e32 v193, 0xffff, v12
	v_pk_fma_f16 v12, v7, v156, v5
	v_pk_fma_f16 v30, v6, v156, v4
	v_dual_lshrrev_b32 v190, 16, v13 :: v_dual_lshrrev_b32 v158, 16, v14
	v_and_b32_e32 v192, 0xffff, v13
	v_mul_u32_u24_e32 v4, 0x10001, v155
	v_mul_u32_u24_e32 v13, 0x10001, v130
	v_and_b32_e32 v162, 0xffff, v14
	v_lshrrev_b32_e32 v155, 16, v15
	v_and_b32_e32 v156, 0xffff, v15
	v_pk_fma_f16 v14, v1, v4, v28
	v_pk_fma_f16 v15, v0, v4, v29
	v_mul_u32_u24_e32 v28, 0x10001, v123
	v_mul_u32_u24_e32 v29, 0x10001, v122
	v_pk_fma_f16 v1, v1, v13, v12
	v_pk_fma_f16 v0, v0, v13, v30
	ds_load_b128 v[4:7], v142 offset:35280
	s_wait_dscnt 0x1
	v_lshrrev_b32_e32 v195, 16, v8
	v_pk_fma_f16 v12, v3, v28, v14
	v_pk_fma_f16 v13, v2, v28, v15
	v_and_b32_e32 v197, 0xffff, v8
	v_pk_fma_f16 v8, v3, v29, v1
	v_pk_fma_f16 v14, v2, v29, v0
	v_dual_lshrrev_b32 v194, 16, v9 :: v_dual_lshrrev_b32 v130, 16, v10
	v_and_b32_e32 v196, 0xffff, v9
	v_mul_u32_u24_e32 v0, 0x10001, v161
	v_mul_u32_u24_e32 v9, 0x10001, v160
	v_and_b32_e32 v161, 0xffff, v10
	v_lshrrev_b32_e32 v122, 16, v11
	v_and_b32_e32 v123, 0xffff, v11
	v_pk_fma_f16 v10, v25, v0, v12
	v_pk_fma_f16 v11, v24, v0, v13
	v_mul_u32_u24_e32 v12, 0x10001, v127
	v_mul_u32_u24_e32 v13, 0x10001, v125
	v_pk_fma_f16 v8, v25, v9, v8
	v_pk_fma_f16 v9, v24, v9, v14
	v_mul_u32_u24_e32 v14, 0x10001, v119
	v_pk_fma_f16 v10, v27, v12, v10
	v_pk_fma_f16 v11, v26, v12, v11
	;; [unrolled: 1-line block ×4, first 2 shown]
	v_mul_u32_u24_e32 v12, 0x10001, v124
	v_mul_u32_u24_e32 v13, 0x10001, v120
	;; [unrolled: 1-line block ×5, first 2 shown]
	v_pk_fma_f16 v10, v21, v12, v10
	v_pk_fma_f16 v11, v20, v12, v11
	v_mul_u32_u24_e32 v12, 0x10001, v121
	v_pk_fma_f16 v8, v21, v13, v8
	v_pk_fma_f16 v9, v20, v13, v9
	v_mul_u32_u24_e32 v13, 0x10001, v116
	v_mul_u32_u24_e32 v21, 0x10001, v108
	v_pk_fma_f16 v10, v23, v12, v10
	v_pk_fma_f16 v11, v22, v12, v11
	;; [unrolled: 1-line block ×4, first 2 shown]
	v_mul_u32_u24_e32 v12, 0x10001, v126
	v_mul_u32_u24_e32 v14, 0x10001, v117
	;; [unrolled: 1-line block ×3, first 2 shown]
	v_pk_fma_f16 v8, v17, v13, v8
	v_pk_fma_f16 v9, v16, v13, v9
	v_pk_fma_f16 v10, v17, v12, v10
	v_pk_fma_f16 v11, v16, v12, v11
	v_mul_u32_u24_e32 v12, 0x10001, v118
	v_pk_fma_f16 v8, v19, v14, v8
	v_pk_fma_f16 v9, v18, v14, v9
	v_mul_u32_u24_e32 v13, 0x10001, v112
	v_mul_u32_u24_e32 v14, 0x10001, v113
	v_pk_fma_f16 v10, v19, v12, v10
	v_pk_fma_f16 v11, v18, v12, v11
	v_mul_u32_u24_e32 v12, 0x10001, v115
	v_pk_fma_f16 v15, v41, v13, v8
	v_pk_fma_f16 v13, v40, v13, v9
	v_mul_u32_u24_e32 v18, 0x10001, v114
	v_mul_u32_u24_e32 v23, 0x10001, v109
	v_pk_fma_f16 v10, v41, v12, v10
	v_pk_fma_f16 v11, v40, v12, v11
	v_mul_u32_u24_e32 v12, 0x10001, v111
	v_mul_u32_u24_e32 v31, 0x10001, v99
	;; [unrolled: 1-line block ×3, first 2 shown]
	v_pk_fma_f16 v16, v43, v14, v10
	v_pk_fma_f16 v17, v42, v14, v11
	v_pk_fma_f16 v19, v43, v12, v15
	v_pk_fma_f16 v20, v42, v12, v13
	v_mul_u32_u24_e32 v43, 0x10001, v107
	v_pk_fma_f16 v16, v45, v18, v16
	v_pk_fma_f16 v17, v44, v18, v17
	v_pk_fma_f16 v24, v45, v21, v19
	v_pk_fma_f16 v20, v44, v21, v20
	v_mul_u32_u24_e32 v44, 0x10001, v106
	;; [unrolled: 5-line block ×8, first 2 shown]
	v_mul_u32_u24_e32 v91, 0x10001, v91
	v_pk_fma_f16 v86, v55, v90, v86
	v_pk_fma_f16 v53, v55, v89, v53
	v_pk_fma_f16 v55, v54, v90, v87
	v_pk_fma_f16 v52, v54, v89, v52
	v_mul_u32_u24_e32 v96, 0x10001, v96
	v_mul_u32_u24_e32 v93, 0x10001, v93
	v_pk_fma_f16 v86, v57, v92, v86
	v_pk_fma_f16 v53, v57, v91, v53
	v_pk_fma_f16 v55, v56, v92, v55
	v_pk_fma_f16 v52, v56, v91, v52
	v_mul_u32_u24_e32 v97, 0x10001, v97
	;; [unrolled: 6-line block ×6, first 2 shown]
	v_mul_u32_u24_e32 v104, 0x10001, v166
	v_pk_fma_f16 v53, v83, v101, v53
	v_pk_fma_f16 v49, v83, v102, v49
	v_pk_fma_f16 v51, v82, v101, v51
	v_pk_fma_f16 v48, v82, v102, v48
	v_lshrrev_b32_e32 v171, 16, v198
	v_and_b32_e32 v175, 0xffff, v198
	v_mul_u32_u24_e32 v105, 0x10001, v170
	v_mul_u32_u24_e32 v106, 0x10001, v168
	v_pk_fma_f16 v53, v77, v103, v53
	v_pk_fma_f16 v49, v77, v104, v49
	;; [unrolled: 1-line block ×4, first 2 shown]
	v_dual_lshrrev_b32 v177, 16, v199 :: v_dual_lshrrev_b32 v178, 16, v200
	v_and_b32_e32 v179, 0xffff, v199
	v_mul_u32_u24_e32 v107, 0x10001, v175
	v_mul_u32_u24_e32 v108, 0x10001, v171
	v_pk_fma_f16 v53, v79, v105, v53
	v_pk_fma_f16 v49, v79, v106, v49
	;; [unrolled: 1-line block ×4, first 2 shown]
	v_and_b32_e32 v180, 0xffff, v200
	v_dual_lshrrev_b32 v176, 16, v201 :: v_dual_lshrrev_b32 v172, 16, v202
	v_and_b32_e32 v181, 0xffff, v201
	v_dual_lshrrev_b32 v182, 16, v203 :: v_dual_lshrrev_b32 v173, 16, v204
	v_and_b32_e32 v185, 0xffff, v203
	ds_load_b128 v[0:3], v142 offset:35296
	s_wait_dscnt 0x1
	v_lshrrev_b32_e32 v199, 16, v4
	v_and_b32_e32 v203, 0xffff, v4
	v_dual_lshrrev_b32 v198, 16, v5 :: v_dual_lshrrev_b32 v127, 16, v6
	v_and_b32_e32 v201, 0xffff, v5
	v_and_b32_e32 v160, 0xffff, v6
	v_lshrrev_b32_e32 v124, 16, v7
	v_and_b32_e32 v125, 0xffff, v7
	ds_load_b128 v[4:7], v142 offset:35312
	v_mul_u32_u24_e32 v109, 0x10001, v179
	v_mul_u32_u24_e32 v110, 0x10001, v177
	v_pk_fma_f16 v53, v73, v107, v53
	v_pk_fma_f16 v49, v73, v108, v49
	;; [unrolled: 1-line block ×4, first 2 shown]
	v_mul_u32_u24_e32 v111, 0x10001, v180
	v_mul_u32_u24_e32 v112, 0x10001, v178
	v_pk_fma_f16 v53, v75, v109, v53
	v_pk_fma_f16 v49, v75, v110, v49
	;; [unrolled: 1-line block ×4, first 2 shown]
	v_and_b32_e32 v184, 0xffff, v202
	v_mul_u32_u24_e32 v113, 0x10001, v181
	v_mul_u32_u24_e32 v114, 0x10001, v176
	v_pk_fma_f16 v53, v69, v111, v53
	v_pk_fma_f16 v49, v69, v112, v49
	v_pk_fma_f16 v51, v68, v111, v51
	v_pk_fma_f16 v48, v68, v112, v48
	ds_load_2addr_b64 v[12:15], v150 offset1:32
	ds_load_2addr_b64 v[16:19], v150 offset0:64 offset1:96
	ds_load_2addr_b64 v[20:23], v150 offset0:128 offset1:160
	;; [unrolled: 1-line block ×3, first 2 shown]
	ds_load_2addr_b64 v[28:31], v149 offset1:32
	ds_load_2addr_b64 v[40:43], v149 offset0:64 offset1:96
	ds_load_2addr_b64 v[44:47], v149 offset0:128 offset1:160
	;; [unrolled: 1-line block ×3, first 2 shown]
	v_mul_u32_u24_e32 v149, 0x10001, v184
	v_mul_u32_u24_e32 v150, 0x10001, v172
	v_pk_fma_f16 v53, v71, v113, v53
	v_pk_fma_f16 v49, v71, v114, v49
	;; [unrolled: 1-line block ×4, first 2 shown]
	ds_load_2addr_b64 v[32:35], v151 offset1:32
	v_and_b32_e32 v183, 0xffff, v204
	v_and_b32_e32 v174, 0xffff, v205
	s_wait_dscnt 0xa
	v_lshrrev_b32_e32 v202, 16, v0
	v_and_b32_e32 v205, 0xffff, v0
	v_dual_lshrrev_b32 v142, 16, v1 :: v_dual_lshrrev_b32 v121, 16, v2
	v_and_b32_e32 v204, 0xffff, v1
	v_and_b32_e32 v200, 0xffff, v2
	s_wait_dscnt 0x9
	v_dual_lshrrev_b32 v119, 16, v3 :: v_dual_lshrrev_b32 v126, 16, v4
	v_and_b32_e32 v120, 0xffff, v3
	ds_load_2addr_b64 v[0:3], v151 offset0:64 offset1:96
	v_and_b32_e32 v117, 0xffff, v4
	v_dual_lshrrev_b32 v118, 16, v5 :: v_dual_lshrrev_b32 v207, 16, v6
	v_and_b32_e32 v206, 0xffff, v5
	v_and_b32_e32 v208, 0xffff, v6
	v_lshrrev_b32_e32 v116, 16, v7
	v_and_b32_e32 v115, 0xffff, v7
	ds_load_2addr_b64 v[4:7], v151 offset0:128 offset1:160
	ds_load_2addr_b64 v[8:11], v151 offset0:192 offset1:224
	v_mul_u32_u24_e32 v151, 0x10001, v185
	v_mul_u32_u24_e32 v152, 0x10001, v182
	v_pk_fma_f16 v53, v65, v149, v53
	v_pk_fma_f16 v49, v65, v150, v49
	v_pk_fma_f16 v51, v64, v149, v51
	v_pk_fma_f16 v48, v64, v150, v48
	v_mul_u32_u24_e32 v153, 0x10001, v183
	v_mul_u32_u24_e32 v154, 0x10001, v173
	v_pk_fma_f16 v53, v67, v151, v53
	v_pk_fma_f16 v49, v67, v152, v49
	v_pk_fma_f16 v51, v66, v151, v51
	v_pk_fma_f16 v48, v66, v152, v48
	;; [unrolled: 6-line block ×4, first 2 shown]
	v_mul_u32_u24_e32 v169, 0x10001, v188
	v_mul_u32_u24_e32 v170, 0x10001, v186
	s_wait_dscnt 0x3
	v_pk_fma_f16 v49, v33, v167, v51
	v_pk_fma_f16 v33, v33, v168, v37
	v_pk_fma_f16 v37, v32, v167, v39
	v_pk_fma_f16 v32, v32, v168, v36
	v_mul_u32_u24_e32 v163, 0x10001, v163
	v_mul_u32_u24_e32 v164, 0x10001, v164
	v_pk_fma_f16 v39, v35, v169, v49
	v_pk_fma_f16 v33, v35, v170, v33
	v_pk_fma_f16 v35, v34, v169, v37
	v_pk_fma_f16 v32, v34, v170, v32
	v_mul_u32_u24_e32 v159, 0x10001, v159
	v_mul_u32_u24_e32 v84, 0x10001, v157
	s_wait_dscnt 0x2
	v_pk_fma_f16 v37, v1, v163, v39
	v_pk_fma_f16 v1, v1, v164, v33
	v_pk_fma_f16 v33, v0, v163, v35
	v_pk_fma_f16 v0, v0, v164, v32
	v_mul_u32_u24_e32 v85, 0x10001, v193
	v_mul_u32_u24_e32 v54, 0x10001, v191
	v_pk_fma_f16 v35, v3, v159, v37
	v_pk_fma_f16 v1, v3, v84, v1
	v_pk_fma_f16 v3, v2, v159, v33
	v_pk_fma_f16 v0, v2, v84, v0
	;; [unrolled: 13-line block ×4, first 2 shown]
	v_mul_u32_u24_e32 v72, 0x10001, v196
	v_mul_u32_u24_e32 v73, 0x10001, v194
	v_pk_fma_f16 v5, v13, v59, v5
	v_pk_fma_f16 v1, v13, v76, v1
	v_pk_fma_f16 v3, v12, v59, v3
	v_pk_fma_f16 v0, v12, v76, v0
	v_mul_u32_u24_e32 v68, 0x10001, v161
	v_mul_u32_u24_e32 v69, 0x10001, v130
	v_pk_fma_f16 v5, v15, v72, v5
	v_pk_fma_f16 v1, v15, v73, v1
	v_pk_fma_f16 v3, v14, v72, v3
	v_pk_fma_f16 v0, v14, v73, v0
	;; [unrolled: 6-line block ×15, first 2 shown]
	v_mov_b64_e32 v[130:131], v[134:135]
	v_pk_fma_f16 v33, v63, v3, v4
	v_pk_fma_f16 v32, v63, v5, v1
	;; [unrolled: 1-line block ×4, first 2 shown]
	s_barrier_signal -1
	s_barrier_wait -1
.LBB59_71:
	v_cmp_lt_i32_e32 vcc_lo, v143, v148
	s_cmp_eq_u64 s[24:25], 0
	s_cselect_b32 s2, -1, 0
	s_cmp_lg_u32 s35, 0
	v_cndmask_b32_e32 v0, v141, v143, vcc_lo
	v_cmp_lt_i32_e32 vcc_lo, v144, v148
	s_cselect_b32 s3, -1, 0
	s_delay_alu instid0(SALU_CYCLE_1) | instskip(SKIP_3) | instid1(VALU_DEP_3)
	s_or_b32 s2, s3, s2
	v_cndmask_b32_e32 v2, v141, v144, vcc_lo
	v_lshlrev_b32_e32 v1, 2, v0
	v_cmp_lt_i32_e32 vcc_lo, v145, v148
	v_lshlrev_b32_e32 v3, 2, v2
	ds_bpermute_b32 v0, v1, v130
	ds_bpermute_b32 v1, v1, v131
	v_cndmask_b32_e32 v4, v141, v145, vcc_lo
	v_cmp_lt_i32_e32 vcc_lo, v146, v148
	s_delay_alu instid0(VALU_DEP_2)
	v_lshlrev_b32_e32 v4, 2, v4
	s_wait_dscnt 0x0
	v_pk_add_f32 v[0:1], v[130:131], v[0:1]
	ds_bpermute_b32 v2, v3, v0
	ds_bpermute_b32 v3, v3, v1
	s_wait_dscnt 0x0
	v_pk_add_f32 v[0:1], v[0:1], v[2:3]
	ds_bpermute_b32 v2, v4, v0
	ds_bpermute_b32 v3, v4, v1
	v_cndmask_b32_e32 v4, v141, v146, vcc_lo
	v_cmp_lt_i32_e32 vcc_lo, v147, v148
	s_delay_alu instid0(VALU_DEP_2)
	v_lshlrev_b32_e32 v4, 2, v4
	s_wait_dscnt 0x0
	v_pk_add_f32 v[0:1], v[0:1], v[2:3]
	ds_bpermute_b32 v2, v4, v0
	ds_bpermute_b32 v3, v4, v1
	v_cndmask_b32_e32 v4, v141, v147, vcc_lo
	s_and_b32 vcc_lo, exec_lo, s2
	s_delay_alu instid0(VALU_DEP_1)
	v_lshlrev_b32_e32 v4, 2, v4
	s_wait_dscnt 0x0
	v_pk_add_f32 v[0:1], v[0:1], v[2:3]
	ds_bpermute_b32 v2, v4, v0
	ds_bpermute_b32 v3, v4, v1
	s_wait_dscnt 0x0
	v_pk_add_f32 v[0:1], v[0:1], v[2:3]
	s_cbranch_vccnz .LBB59_73
; %bb.72:
	v_dual_mov_b32 v2, s33 :: v_dual_max_num_f32 v5, v133, v133
	global_load_b32 v4, v2, s[24:25] scale_offset
	s_wait_xcnt 0x0
	v_max_num_f32_e32 v2, v132, v132
	s_wait_loadcnt 0x0
	v_max_num_f32_e32 v3, v4, v4
	s_delay_alu instid0(VALU_DEP_1) | instskip(NEXT) | instid1(VALU_DEP_1)
	v_dual_max_num_f32 v2, v2, v3 :: v_dual_max_num_f32 v3, v5, v3
	v_dual_sub_f32 v5, v132, v2 :: v_dual_sub_f32 v7, v133, v3
	v_dual_sub_f32 v6, v4, v2 :: v_dual_sub_f32 v8, v4, v3
	v_mov_b64_e32 v[132:133], v[2:3]
	s_delay_alu instid0(VALU_DEP_3) | instskip(NEXT) | instid1(VALU_DEP_3)
	v_mul_f32_e32 v4, 0x3fb8aa3b, v5
	v_dual_mul_f32 v10, 0x3fb8aa3b, v7 :: v_dual_mul_f32 v9, 0x3fb8aa3b, v6
	s_delay_alu instid0(VALU_DEP_4) | instskip(SKIP_1) | instid1(VALU_DEP_4)
	v_mul_f32_e32 v11, 0x3fb8aa3b, v8
	v_cmp_ngt_f32_e32 vcc_lo, 0xc2ce8ed0, v5
	v_fma_f32 v12, 0x3fb8aa3b, v5, -v4
	v_rndne_f32_e32 v13, v4
	v_fma_f32 v14, 0x3fb8aa3b, v6, -v9
	v_rndne_f32_e32 v15, v9
	;; [unrolled: 2-line block ×3, first 2 shown]
	v_fmac_f32_e32 v12, 0x32a5705f, v5
	v_rndne_f32_e32 v19, v11
	v_dual_fmac_f32 v14, 0x32a5705f, v6 :: v_dual_sub_f32 v9, v9, v15
	v_fma_f32 v18, 0x3fb8aa3b, v8, -v11
	s_delay_alu instid0(VALU_DEP_3) | instskip(NEXT) | instid1(VALU_DEP_3)
	v_dual_sub_f32 v10, v10, v17 :: v_dual_sub_f32 v11, v11, v19
	v_dual_fmac_f32 v16, 0x32a5705f, v7 :: v_dual_add_f32 v9, v9, v14
	v_sub_f32_e32 v4, v4, v13
	v_cvt_i32_f32_e32 v13, v13
	v_cvt_i32_f32_e32 v14, v17
	s_delay_alu instid0(VALU_DEP_4)
	v_add_f32_e32 v10, v10, v16
	v_exp_f32_e32 v9, v9
	v_add_f32_e32 v4, v4, v12
	v_cvt_i32_f32_e32 v12, v15
	v_cvt_i32_f32_e32 v15, v19
	v_exp_f32_e32 v10, v10
	s_delay_alu instid0(VALU_DEP_3)
	v_exp_f32_e32 v4, v4
	s_delay_alu instid0(TRANS32_DEP_3) | instid1(VALU_DEP_2)
	v_ldexp_f32 v9, v9, v12
	s_delay_alu instid0(TRANS32_DEP_2) | instskip(NEXT) | instid1(TRANS32_DEP_1)
	v_ldexp_f32 v10, v10, v14
	v_ldexp_f32 v4, v4, v13
	s_delay_alu instid0(VALU_DEP_1) | instskip(SKIP_1) | instid1(VALU_DEP_4)
	v_cndmask_b32_e32 v4, 0, v4, vcc_lo
	v_cmp_ngt_f32_e32 vcc_lo, 0xc2ce8ed0, v7
	v_cndmask_b32_e32 v10, 0, v10, vcc_lo
	v_cmp_nlt_f32_e32 vcc_lo, 0x42b17218, v5
	s_delay_alu instid0(VALU_DEP_4) | instskip(SKIP_1) | instid1(VALU_DEP_4)
	v_cndmask_b32_e32 v4, 0x7f800000, v4, vcc_lo
	v_cmp_nlt_f32_e32 vcc_lo, 0x42b17218, v7
	v_cndmask_b32_e32 v5, 0x7f800000, v10, vcc_lo
	v_cmp_ngt_f32_e32 vcc_lo, 0xc2ce8ed0, v6
	v_fmac_f32_e32 v18, 0x32a5705f, v8
	v_cvt_f16_f32_e32 v10, v4
	v_cndmask_b32_e32 v9, 0, v9, vcc_lo
	v_cmp_ngt_f32_e32 vcc_lo, 0xc2ce8ed0, v8
	s_delay_alu instid0(VALU_DEP_4) | instskip(NEXT) | instid1(VALU_DEP_4)
	v_add_f32_e32 v11, v11, v18
	v_and_b32_e32 v10, 0xffff, v10
	s_delay_alu instid0(VALU_DEP_2) | instskip(SKIP_1) | instid1(TRANS32_DEP_1)
	v_exp_f32_e32 v11, v11
	v_nop
	v_ldexp_f32 v7, v11, v15
	v_cvt_f16_f32_e32 v11, v5
	s_delay_alu instid0(VALU_DEP_2) | instskip(SKIP_2) | instid1(VALU_DEP_4)
	v_cndmask_b32_e32 v7, 0, v7, vcc_lo
	v_cmp_nlt_f32_e32 vcc_lo, 0x42b17218, v6
	v_cndmask_b32_e32 v6, 0x7f800000, v9, vcc_lo
	v_and_b32_e32 v9, 0xffff, v11
	v_cmp_nlt_f32_e32 vcc_lo, 0x42b17218, v8
	v_mul_u32_u24_e32 v8, 0x10001, v10
	s_delay_alu instid0(VALU_DEP_3) | instskip(SKIP_1) | instid1(VALU_DEP_3)
	v_mul_u32_u24_e32 v9, 0x10001, v9
	v_cndmask_b32_e32 v7, 0x7f800000, v7, vcc_lo
	v_pk_mul_f16 v119, v119, v8
	v_pk_mul_f16 v33, v33, v8
	s_delay_alu instid0(VALU_DEP_4) | instskip(NEXT) | instid1(VALU_DEP_4)
	v_pk_mul_f16 v118, v118, v9
	v_pk_fma_f32 v[0:1], v[0:1], v[4:5], v[6:7]
	v_pk_mul_f16 v32, v32, v9
.LBB59_73:
	s_mov_b32 s2, exec_lo
	v_cmpx_gt_i32_e64 s38, v140
	s_cbranch_execz .LBB59_83
; %bb.74:
	s_load_b32 s0, s[0:1], 0xd4
	v_mov_b32_e32 v2, 1.0
	s_wait_kmcnt 0x0
	s_cmp_lg_u32 s0, 1
	s_cselect_b32 s3, -1, 0
	s_cmp_eq_u32 s0, 1
	s_cselect_b32 s1, -1, 0
	s_and_b32 vcc_lo, exec_lo, s3
	s_cbranch_vccnz .LBB59_76
; %bb.75:
	v_div_scale_f32 v2, null, v0, v0, 1.0
	s_delay_alu instid0(VALU_DEP_1) | instskip(SKIP_1) | instid1(TRANS32_DEP_1)
	v_rcp_f32_e32 v3, v2
	v_nop
	v_fma_f32 v4, -v2, v3, 1.0
	s_delay_alu instid0(VALU_DEP_1) | instskip(SKIP_1) | instid1(VALU_DEP_1)
	v_fmac_f32_e32 v3, v4, v3
	v_div_scale_f32 v4, vcc_lo, 1.0, v0, 1.0
	v_mul_f32_e32 v5, v4, v3
	s_delay_alu instid0(VALU_DEP_1) | instskip(NEXT) | instid1(VALU_DEP_1)
	v_fma_f32 v6, -v2, v5, v4
	v_fmac_f32_e32 v5, v6, v3
	s_delay_alu instid0(VALU_DEP_1) | instskip(NEXT) | instid1(VALU_DEP_1)
	v_fma_f32 v2, -v2, v5, v4
	v_div_fmas_f32 v2, v2, v3, v5
	s_delay_alu instid0(VALU_DEP_1)
	v_div_fixup_f32 v2, v2, v0, 1.0
.LBB59_76:
	s_mul_i32 s2, s34, s38
	v_dual_mov_b32 v7, 0 :: v_dual_lshrrev_b32 v9, 16, v33
	s_add_co_i32 s2, s2, s40
	s_delay_alu instid0(SALU_CYCLE_1) | instskip(SKIP_3) | instid1(VALU_DEP_4)
	v_dual_lshrrev_b32 v5, 16, v119 :: v_dual_add_nc_u32 v3, s2, v138
	v_cvt_f32_f16_e32 v4, v119
	v_cvt_f32_f16_e32 v8, v33
	;; [unrolled: 1-line block ×4, first 2 shown]
	v_mad_u32 v3, v3, s39, s33
	v_cmp_eq_u32_e32 vcc_lo, 0, v128
	s_and_b32 s3, vcc_lo, s3
	s_delay_alu instid0(VALU_DEP_2) | instskip(NEXT) | instid1(VALU_DEP_1)
	v_mad_u32 v3, s0, v3, s35
	v_lshl_add_u32 v6, v3, 7, v139
	v_pk_mul_f32 v[4:5], v[2:3], v[4:5] op_sel_hi:[0,1]
	s_delay_alu instid0(VALU_DEP_2)
	v_lshl_add_u64 v[10:11], v[6:7], 2, s[28:29]
	v_pk_mul_f32 v[6:7], v[2:3], v[8:9] op_sel_hi:[0,1]
	global_store_b128 v[10:11], v[4:7], off
	s_wait_xcnt 0x0
	s_and_saveexec_b32 s4, s3
	s_cbranch_execz .LBB59_78
; %bb.77:
	v_dual_mov_b32 v4, v132 :: v_dual_mov_b32 v5, v0
	global_store_b64 v3, v[4:5], s[30:31] scale_offset
.LBB59_78:
	s_wait_xcnt 0x0
	s_or_b32 exec_lo, exec_lo, s4
	v_cmp_gt_i32_e32 vcc_lo, s38, v137
	s_and_b32 exec_lo, exec_lo, vcc_lo
	s_cbranch_execz .LBB59_83
; %bb.79:
	v_mov_b32_e32 v0, 1.0
	s_and_not1_b32 vcc_lo, exec_lo, s1
	s_cbranch_vccnz .LBB59_81
; %bb.80:
	v_div_scale_f32 v0, null, v1, v1, 1.0
	s_delay_alu instid0(VALU_DEP_1) | instskip(SKIP_1) | instid1(TRANS32_DEP_1)
	v_rcp_f32_e32 v2, v0
	v_nop
	v_fma_f32 v3, -v0, v2, 1.0
	s_delay_alu instid0(VALU_DEP_1) | instskip(SKIP_1) | instid1(VALU_DEP_1)
	v_fmac_f32_e32 v2, v3, v2
	v_div_scale_f32 v3, vcc_lo, 1.0, v1, 1.0
	v_mul_f32_e32 v4, v3, v2
	s_delay_alu instid0(VALU_DEP_1) | instskip(NEXT) | instid1(VALU_DEP_1)
	v_fma_f32 v5, -v0, v4, v3
	v_fmac_f32_e32 v4, v5, v2
	s_delay_alu instid0(VALU_DEP_1) | instskip(NEXT) | instid1(VALU_DEP_1)
	v_fma_f32 v0, -v0, v4, v3
	v_div_fmas_f32 v0, v0, v2, v4
	s_delay_alu instid0(VALU_DEP_1)
	v_div_fixup_f32 v0, v0, v1, 1.0
.LBB59_81:
	v_dual_add_nc_u32 v2, s2, v136 :: v_dual_lshrrev_b32 v3, 16, v118
	v_dual_mov_b32 v7, 0 :: v_dual_lshrrev_b32 v9, 16, v32
	v_cvt_f32_f16_e32 v4, v118
	s_delay_alu instid0(VALU_DEP_3) | instskip(SKIP_3) | instid1(VALU_DEP_2)
	v_mad_u32 v2, v2, s39, s33
	v_cvt_f32_f16_e32 v8, v32
	v_cvt_f32_f16_e32 v5, v3
	;; [unrolled: 1-line block ×3, first 2 shown]
	v_pk_mul_f32 v[4:5], v[0:1], v[4:5] op_sel_hi:[0,1]
	v_mad_u32 v2, s0, v2, s35
	s_delay_alu instid0(VALU_DEP_1) | instskip(NEXT) | instid1(VALU_DEP_1)
	v_lshl_add_u32 v6, v2, 7, v139
	v_lshl_add_u64 v[10:11], v[6:7], 2, s[28:29]
	v_pk_mul_f32 v[6:7], v[0:1], v[8:9] op_sel_hi:[0,1]
	global_store_b128 v[10:11], v[4:7], off
	s_wait_xcnt 0x0
	s_and_b32 exec_lo, exec_lo, s3
	s_cbranch_execz .LBB59_83
; %bb.82:
	v_mov_b32_e32 v0, v133
	global_store_b64 v2, v[0:1], s[30:31] scale_offset
.LBB59_83:
	s_sendmsg sendmsg(MSG_DEALLOC_VGPRS)
	s_endpgm
	.section	.rodata,"a",@progbits
	.p2align	6, 0x0
	.amdhsa_kernel _ZL15flash_attn_tileILi128ELi128ELi16ELi1ELb0EEvPKcS1_S1_S1_S1_PKiPfP15HIP_vector_typeIfLj2EEffffjfiS5_IjLj3EEiiiiiiiiiiiliiliiiiil
		.amdhsa_group_segment_fixed_size 43008
		.amdhsa_private_segment_fixed_size 32
		.amdhsa_kernarg_size 464
		.amdhsa_user_sgpr_count 2
		.amdhsa_user_sgpr_dispatch_ptr 0
		.amdhsa_user_sgpr_queue_ptr 0
		.amdhsa_user_sgpr_kernarg_segment_ptr 1
		.amdhsa_user_sgpr_dispatch_id 0
		.amdhsa_user_sgpr_kernarg_preload_length 0
		.amdhsa_user_sgpr_kernarg_preload_offset 0
		.amdhsa_user_sgpr_private_segment_size 0
		.amdhsa_wavefront_size32 1
		.amdhsa_uses_dynamic_stack 0
		.amdhsa_enable_private_segment 1
		.amdhsa_system_sgpr_workgroup_id_x 1
		.amdhsa_system_sgpr_workgroup_id_y 1
		.amdhsa_system_sgpr_workgroup_id_z 1
		.amdhsa_system_sgpr_workgroup_info 0
		.amdhsa_system_vgpr_workitem_id 1
		.amdhsa_next_free_vgpr 231
		.amdhsa_next_free_sgpr 47
		.amdhsa_named_barrier_count 0
		.amdhsa_reserve_vcc 1
		.amdhsa_float_round_mode_32 0
		.amdhsa_float_round_mode_16_64 0
		.amdhsa_float_denorm_mode_32 3
		.amdhsa_float_denorm_mode_16_64 3
		.amdhsa_fp16_overflow 0
		.amdhsa_memory_ordered 1
		.amdhsa_forward_progress 1
		.amdhsa_inst_pref_size 253
		.amdhsa_round_robin_scheduling 0
		.amdhsa_exception_fp_ieee_invalid_op 0
		.amdhsa_exception_fp_denorm_src 0
		.amdhsa_exception_fp_ieee_div_zero 0
		.amdhsa_exception_fp_ieee_overflow 0
		.amdhsa_exception_fp_ieee_underflow 0
		.amdhsa_exception_fp_ieee_inexact 0
		.amdhsa_exception_int_div_zero 0
	.end_amdhsa_kernel
	.section	.text._ZL15flash_attn_tileILi128ELi128ELi16ELi1ELb0EEvPKcS1_S1_S1_S1_PKiPfP15HIP_vector_typeIfLj2EEffffjfiS5_IjLj3EEiiiiiiiiiiiliiliiiiil,"axG",@progbits,_ZL15flash_attn_tileILi128ELi128ELi16ELi1ELb0EEvPKcS1_S1_S1_S1_PKiPfP15HIP_vector_typeIfLj2EEffffjfiS5_IjLj3EEiiiiiiiiiiiliiliiiiil,comdat
.Lfunc_end59:
	.size	_ZL15flash_attn_tileILi128ELi128ELi16ELi1ELb0EEvPKcS1_S1_S1_S1_PKiPfP15HIP_vector_typeIfLj2EEffffjfiS5_IjLj3EEiiiiiiiiiiiliiliiiiil, .Lfunc_end59-_ZL15flash_attn_tileILi128ELi128ELi16ELi1ELb0EEvPKcS1_S1_S1_S1_PKiPfP15HIP_vector_typeIfLj2EEffffjfiS5_IjLj3EEiiiiiiiiiiiliiliiiiil
                                        ; -- End function
	.set _ZL15flash_attn_tileILi128ELi128ELi16ELi1ELb0EEvPKcS1_S1_S1_S1_PKiPfP15HIP_vector_typeIfLj2EEffffjfiS5_IjLj3EEiiiiiiiiiiiliiliiiiil.num_vgpr, 231
	.set _ZL15flash_attn_tileILi128ELi128ELi16ELi1ELb0EEvPKcS1_S1_S1_S1_PKiPfP15HIP_vector_typeIfLj2EEffffjfiS5_IjLj3EEiiiiiiiiiiiliiliiiiil.num_agpr, 0
	.set _ZL15flash_attn_tileILi128ELi128ELi16ELi1ELb0EEvPKcS1_S1_S1_S1_PKiPfP15HIP_vector_typeIfLj2EEffffjfiS5_IjLj3EEiiiiiiiiiiiliiliiiiil.numbered_sgpr, 47
	.set _ZL15flash_attn_tileILi128ELi128ELi16ELi1ELb0EEvPKcS1_S1_S1_S1_PKiPfP15HIP_vector_typeIfLj2EEffffjfiS5_IjLj3EEiiiiiiiiiiiliiliiiiil.num_named_barrier, 0
	.set _ZL15flash_attn_tileILi128ELi128ELi16ELi1ELb0EEvPKcS1_S1_S1_S1_PKiPfP15HIP_vector_typeIfLj2EEffffjfiS5_IjLj3EEiiiiiiiiiiiliiliiiiil.private_seg_size, 32
	.set _ZL15flash_attn_tileILi128ELi128ELi16ELi1ELb0EEvPKcS1_S1_S1_S1_PKiPfP15HIP_vector_typeIfLj2EEffffjfiS5_IjLj3EEiiiiiiiiiiiliiliiiiil.uses_vcc, 1
	.set _ZL15flash_attn_tileILi128ELi128ELi16ELi1ELb0EEvPKcS1_S1_S1_S1_PKiPfP15HIP_vector_typeIfLj2EEffffjfiS5_IjLj3EEiiiiiiiiiiiliiliiiiil.uses_flat_scratch, 1
	.set _ZL15flash_attn_tileILi128ELi128ELi16ELi1ELb0EEvPKcS1_S1_S1_S1_PKiPfP15HIP_vector_typeIfLj2EEffffjfiS5_IjLj3EEiiiiiiiiiiiliiliiiiil.has_dyn_sized_stack, 0
	.set _ZL15flash_attn_tileILi128ELi128ELi16ELi1ELb0EEvPKcS1_S1_S1_S1_PKiPfP15HIP_vector_typeIfLj2EEffffjfiS5_IjLj3EEiiiiiiiiiiiliiliiiiil.has_recursion, 0
	.set _ZL15flash_attn_tileILi128ELi128ELi16ELi1ELb0EEvPKcS1_S1_S1_S1_PKiPfP15HIP_vector_typeIfLj2EEffffjfiS5_IjLj3EEiiiiiiiiiiiliiliiiiil.has_indirect_call, 0
	.section	.AMDGPU.csdata,"",@progbits
; Kernel info:
; codeLenInByte = 32328
; TotalNumSgprs: 49
; NumVgprs: 231
; ScratchSize: 32
; MemoryBound: 0
; FloatMode: 240
; IeeeMode: 1
; LDSByteSize: 43008 bytes/workgroup (compile time only)
; SGPRBlocks: 0
; VGPRBlocks: 14
; NumSGPRsForWavesPerEU: 49
; NumVGPRsForWavesPerEU: 231
; NamedBarCnt: 0
; Occupancy: 4
; WaveLimiterHint : 1
; COMPUTE_PGM_RSRC2:SCRATCH_EN: 1
; COMPUTE_PGM_RSRC2:USER_SGPR: 2
; COMPUTE_PGM_RSRC2:TRAP_HANDLER: 0
; COMPUTE_PGM_RSRC2:TGID_X_EN: 1
; COMPUTE_PGM_RSRC2:TGID_Y_EN: 1
; COMPUTE_PGM_RSRC2:TGID_Z_EN: 1
; COMPUTE_PGM_RSRC2:TIDIG_COMP_CNT: 1
	.section	.text._ZL33flash_attn_stream_k_fixup_uniformILi128ELi16ELi1EEvPfPK15HIP_vector_typeIfLj2EEiiiiiiS1_IjLj3EES5_S5_,"axG",@progbits,_ZL33flash_attn_stream_k_fixup_uniformILi128ELi16ELi1EEvPfPK15HIP_vector_typeIfLj2EEiiiiiiS1_IjLj3EES5_S5_,comdat
	.globl	_ZL33flash_attn_stream_k_fixup_uniformILi128ELi16ELi1EEvPfPK15HIP_vector_typeIfLj2EEiiiiiiS1_IjLj3EES5_S5_ ; -- Begin function _ZL33flash_attn_stream_k_fixup_uniformILi128ELi16ELi1EEvPfPK15HIP_vector_typeIfLj2EEiiiiiiS1_IjLj3EES5_S5_
	.p2align	8
	.type	_ZL33flash_attn_stream_k_fixup_uniformILi128ELi16ELi1EEvPfPK15HIP_vector_typeIfLj2EEiiiiiiS1_IjLj3EES5_S5_,@function
_ZL33flash_attn_stream_k_fixup_uniformILi128ELi16ELi1EEvPfPK15HIP_vector_typeIfLj2EEiiiiiiS1_IjLj3EES5_S5_: ; @_ZL33flash_attn_stream_k_fixup_uniformILi128ELi16ELi1EEvPfPK15HIP_vector_typeIfLj2EEiiiiiiS1_IjLj3EES5_S5_
; %bb.0:
	s_load_b256 s[4:11], s[0:1], 0x1c
	s_bfe_u32 s2, ttmp6, 0x40014
	s_lshr_b32 s3, ttmp7, 16
	s_add_co_i32 s2, s2, 1
	s_bfe_u32 s13, ttmp6, 0x40010
	s_mul_i32 s2, s3, s2
	s_bfe_u32 s12, ttmp6, 0x40008
	s_and_b32 s14, ttmp7, 0xffff
	s_add_co_i32 s13, s13, 1
	s_bfe_u32 s15, ttmp6, 0x4000c
	s_add_co_i32 s2, s12, s2
	s_mul_i32 s12, s14, s13
	s_bfe_u32 s13, ttmp6, 0x40004
	s_add_co_i32 s15, s15, 1
	s_add_co_i32 s13, s13, s12
	s_and_b32 s12, ttmp6, 15
	s_mul_i32 s15, ttmp9, s15
	s_getreg_b32 s20, hwreg(HW_REG_IB_STS2, 6, 4)
	s_add_co_i32 s12, s12, s15
	s_load_b128 s[16:19], s[0:1], 0x3c
	s_cmp_eq_u32 s20, 0
	s_cselect_b32 s12, ttmp9, s12
	s_cselect_b32 s13, s14, s13
	s_wait_kmcnt 0x0
	s_mul_hi_u32 s7, s7, s12
	s_cselect_b32 s14, s3, s2
	s_add_co_i32 s2, s12, s7
	s_delay_alu instid0(SALU_CYCLE_1) | instskip(NEXT) | instid1(SALU_CYCLE_1)
	s_lshr_b32 s7, s2, s8
	s_mul_i32 s2, s7, s9
	s_delay_alu instid0(SALU_CYCLE_1) | instskip(NEXT) | instid1(SALU_CYCLE_1)
	s_sub_co_i32 s8, s12, s2
	s_mul_hi_u32 s2, s8, s10
	s_delay_alu instid0(SALU_CYCLE_1) | instskip(SKIP_2) | instid1(SALU_CYCLE_1)
	s_add_co_i32 s9, s8, s2
	s_load_b64 s[2:3], s[0:1], 0x10
	s_lshr_b32 s15, s9, s11
	s_mul_i32 s9, s15, s16
	s_delay_alu instid0(SALU_CYCLE_1) | instskip(NEXT) | instid1(SALU_CYCLE_1)
	s_sub_co_i32 s8, s8, s9
	s_mul_hi_u32 s9, s8, s17
	s_delay_alu instid0(SALU_CYCLE_1) | instskip(NEXT) | instid1(SALU_CYCLE_1)
	s_add_co_i32 s9, s8, s9
	s_lshr_b32 s16, s9, s18
	s_delay_alu instid0(SALU_CYCLE_1) | instskip(NEXT) | instid1(SALU_CYCLE_1)
	s_mul_i32 s9, s16, s19
	s_sub_co_i32 s17, s8, s9
	s_delay_alu instid0(SALU_CYCLE_1) | instskip(NEXT) | instid1(SALU_CYCLE_1)
	s_lshl_b32 s8, s17, 4
	s_add_co_i32 s8, s8, s13
	s_wait_kmcnt 0x0
	s_cmp_lt_i32 s8, s2
	s_cselect_b32 s8, -1, 0
	s_add_co_i32 s9, s16, s14
	s_delay_alu instid0(SALU_CYCLE_1) | instskip(SKIP_1) | instid1(SALU_CYCLE_1)
	s_cmp_lt_i32 s9, s5
	s_cselect_b32 s9, -1, 0
	s_and_b32 s8, s8, s9
	s_delay_alu instid0(SALU_CYCLE_1)
	s_and_not1_b32 vcc_lo, exec_lo, s8
	s_cbranch_vccnz .LBB60_6
; %bb.1:
	s_mul_i32 s2, s7, s2
	s_load_b128 s[8:11], s[0:1], 0x0
	s_wait_xcnt 0x0
	s_add_co_i32 s0, s2, s13
	s_mul_i32 s15, s15, s5
	s_mul_i32 s0, s0, s3
	s_mul_i32 s1, s3, s17
	s_add_co_i32 s0, s0, s14
	s_lshl_b32 s1, s1, 11
	s_add_co_i32 s0, s0, s15
	s_mul_i32 s7, s6, s12
	s_add_co_i32 s0, s0, s16
	s_add_co_i32 s5, s7, s6
	s_lshl_b32 s0, s0, 7
	s_add_co_i32 s13, s13, s14
	s_add_co_i32 s1, s1, s0
	s_lshl_b32 s0, s5, 4
	v_or_b32_e32 v4, s1, v0
	s_add_co_i32 s0, s13, s0
	s_add_co_i32 s2, s5, -2
	s_add_co_i32 s0, s0, -16
	s_delay_alu instid0(SALU_CYCLE_1)
	s_ashr_i32 s1, s0, 31
	s_wait_kmcnt 0x0
	global_load_b32 v3, v4, s[8:9] scale_offset
	s_lshl_b64 s[0:1], s[0:1], 3
	v_ashrrev_i32_e32 v5, 31, v4
	s_add_nc_u64 s[0:1], s[10:11], s[0:1]
	s_cmp_lt_i32 s2, s7
	s_load_b32 s14, s[0:1], 0x4
	s_cbranch_scc1 .LBB60_4
; %bb.2:
	s_wait_xcnt 0x0
	s_load_b32 s0, s[0:1], 0x0
	s_add_co_i32 s12, s12, 1
	s_lshl_b32 s3, s13, 7
	s_wait_xcnt 0x0
	s_mul_i32 s1, s6, s12
	s_lshl_b32 s2, s4, 6
	s_lshl_b32 s6, s1, 11
	;; [unrolled: 1-line block ×3, first 2 shown]
	s_add_co_i32 s6, s3, s6
	s_ashr_i32 s3, s2, 31
	s_wait_kmcnt 0x0
	v_dual_mov_b32 v2, s14 :: v_dual_bitop2_b32 v0, s6, v0 bitop3:0x54
	s_add_co_i32 s1, s13, s1
	s_lshl_b32 s4, s4, 4
	s_lshl_b64 s[2:3], s[2:3], 2
	s_delay_alu instid0(VALU_DEP_1)
	v_add_nc_u32_e32 v0, 0xfffff000, v0
	s_add_co_i32 s4, s1, s4
	s_add_nc_u64 s[2:3], s[10:11], s[2:3]
	s_add_co_i32 s1, s5, -1
	s_sub_co_i32 s4, s4, 32
.LBB60_3:                               ; =>This Inner Loop Header: Depth=1
	global_load_b32 v7, v0, s[2:3] scale_offset
	s_ashr_i32 s5, s4, 31
	v_max_num_f32_e64 v1, s0, s0
	s_lshl_b64 s[12:13], s[4:5], 3
	s_delay_alu instid0(SALU_CYCLE_1) | instskip(SKIP_1) | instid1(VALU_DEP_1)
	s_add_nc_u64 s[12:13], s[10:11], s[12:13]
	s_load_b64 s[12:13], s[12:13], 0x0
	v_readfirstlane_b32 s5, v1
	v_add_nc_u32_e32 v0, 0xfffff800, v0
	s_wait_kmcnt 0x0
	v_max_num_f32_e64 v1, s12, s12
	s_delay_alu instid0(VALU_DEP_1) | instskip(SKIP_1) | instid1(SALU_CYCLE_3)
	v_readfirstlane_b32 s6, v1
	s_max_num_f32 s5, s5, s6
	s_sub_f32 s0, s0, s5
	s_sub_f32 s6, s12, s5
	s_delay_alu instid0(SALU_CYCLE_2) | instskip(NEXT) | instid1(SALU_CYCLE_2)
	s_mul_f32 s12, s0, 0x3fb8aa3b
	s_mul_f32 s14, s6, 0x3fb8aa3b
	s_delay_alu instid0(SALU_CYCLE_2)
	s_xor_b32 s15, s12, 0x80000000
	s_rndne_f32 s16, s12
	s_fmamk_f32 s15, s0, 0x3fb8aa3b, s15
	s_cmp_nlt_f32 s0, 0xc2ce8ed0
	s_rndne_f32 s17, s14
	s_sub_f32 s12, s12, s16
	s_fmamk_f32 s15, s0, 0x32a5705f, s15
	s_cselect_b32 vcc_lo, -1, 0
	s_cmp_ngt_f32 s0, 0x42b17218
	s_delay_alu instid0(SALU_CYCLE_1) | instskip(SKIP_2) | instid1(SALU_CYCLE_1)
	s_add_f32 s12, s12, s15
	s_cvt_i32_f32 s15, s16
	s_sub_f32 s16, s14, s17
	v_s_exp_f32 s12, s12
	v_nop
	s_delay_alu instid0(TRANS32_DEP_1) | instskip(SKIP_1) | instid1(VALU_DEP_1)
	v_ldexp_f32 v1, s12, s15
	s_cvt_i32_f32 s12, s17
	v_cndmask_b32_e32 v1, 0, v1, vcc_lo
	s_cselect_b32 vcc_lo, -1, 0
	s_cmp_ge_f32 s0, 0xc1a00000
	s_delay_alu instid0(VALU_DEP_1)
	v_cndmask_b32_e32 v1, 0x7f800000, v1, vcc_lo
	s_cselect_b32 vcc_lo, -1, 0
	s_xor_b32 s0, s14, 0x80000000
	s_cmp_nlt_f32 s6, 0xc2ce8ed0
	s_fmamk_f32 s0, s6, 0x3fb8aa3b, s0
	v_cndmask_b32_e32 v10, 0, v1, vcc_lo
	s_delay_alu instid0(SALU_CYCLE_2) | instskip(NEXT) | instid1(SALU_CYCLE_3)
	s_fmamk_f32 s0, s6, 0x32a5705f, s0
	s_add_f32 s0, s16, s0
	s_delay_alu instid0(SALU_CYCLE_3) | instskip(SKIP_1) | instid1(TRANS32_DEP_1)
	v_s_exp_f32 s0, s0
	v_nop
	v_ldexp_f32 v6, s0, s12
	s_cselect_b32 s0, -1, 0
	s_cmp_ngt_f32 s6, 0x42b17218
	s_delay_alu instid0(VALU_DEP_1) | instskip(SKIP_2) | instid1(VALU_DEP_1)
	v_cndmask_b32_e64 v6, 0, v6, s0
	s_cselect_b32 s0, -1, 0
	s_cmp_ge_f32 s6, 0xc1a00000
	v_cndmask_b32_e64 v8, 0x7f800000, v6, s0
	s_cselect_b32 s0, -1, 0
	v_mov_b32_e32 v6, s13
	s_add_co_i32 s1, s1, -1
	s_add_co_i32 s4, s4, -16
	v_cndmask_b32_e64 v8, 0, v8, s0
	s_cmp_le_i32 s1, s7
	s_mov_b32 s0, s5
	s_wait_loadcnt 0x0
	s_delay_alu instid0(VALU_DEP_1) | instskip(NEXT) | instid1(VALU_DEP_1)
	v_pk_mul_f32 v[6:7], v[6:7], v[8:9] op_sel_hi:[1,0]
	v_pk_fma_f32 v[2:3], v[2:3], v[10:11], v[6:7] op_sel_hi:[1,0,1]
	s_cbranch_scc0 .LBB60_3
	s_branch .LBB60_5
.LBB60_4:
	s_wait_kmcnt 0x0
	v_mov_b32_e32 v2, s14
.LBB60_5:
	v_lshl_add_u64 v[0:1], v[4:5], 2, s[8:9]
	s_wait_loadcnt 0x0
	s_delay_alu instid0(VALU_DEP_2) | instskip(NEXT) | instid1(VALU_DEP_1)
	v_div_scale_f32 v4, null, v2, v2, v3
	v_rcp_f32_e32 v5, v4
	v_nop
	s_delay_alu instid0(TRANS32_DEP_1) | instskip(NEXT) | instid1(VALU_DEP_1)
	v_fma_f32 v6, -v4, v5, 1.0
	v_fmac_f32_e32 v5, v6, v5
	v_div_scale_f32 v6, vcc_lo, v3, v2, v3
	s_delay_alu instid0(VALU_DEP_1) | instskip(NEXT) | instid1(VALU_DEP_1)
	v_mul_f32_e32 v7, v6, v5
	v_fma_f32 v8, -v4, v7, v6
	s_delay_alu instid0(VALU_DEP_1) | instskip(NEXT) | instid1(VALU_DEP_1)
	v_fmac_f32_e32 v7, v8, v5
	v_fma_f32 v4, -v4, v7, v6
	s_delay_alu instid0(VALU_DEP_1) | instskip(NEXT) | instid1(VALU_DEP_1)
	v_div_fmas_f32 v4, v4, v5, v7
	v_div_fixup_f32 v2, v4, v2, v3
	global_store_b32 v[0:1], v2, off
.LBB60_6:
	s_endpgm
	.section	.rodata,"a",@progbits
	.p2align	6, 0x0
	.amdhsa_kernel _ZL33flash_attn_stream_k_fixup_uniformILi128ELi16ELi1EEvPfPK15HIP_vector_typeIfLj2EEiiiiiiS1_IjLj3EES5_S5_
		.amdhsa_group_segment_fixed_size 0
		.amdhsa_private_segment_fixed_size 0
		.amdhsa_kernarg_size 76
		.amdhsa_user_sgpr_count 2
		.amdhsa_user_sgpr_dispatch_ptr 0
		.amdhsa_user_sgpr_queue_ptr 0
		.amdhsa_user_sgpr_kernarg_segment_ptr 1
		.amdhsa_user_sgpr_dispatch_id 0
		.amdhsa_user_sgpr_kernarg_preload_length 0
		.amdhsa_user_sgpr_kernarg_preload_offset 0
		.amdhsa_user_sgpr_private_segment_size 0
		.amdhsa_wavefront_size32 1
		.amdhsa_uses_dynamic_stack 0
		.amdhsa_enable_private_segment 0
		.amdhsa_system_sgpr_workgroup_id_x 1
		.amdhsa_system_sgpr_workgroup_id_y 1
		.amdhsa_system_sgpr_workgroup_id_z 1
		.amdhsa_system_sgpr_workgroup_info 0
		.amdhsa_system_vgpr_workitem_id 0
		.amdhsa_next_free_vgpr 12
		.amdhsa_next_free_sgpr 21
		.amdhsa_named_barrier_count 0
		.amdhsa_reserve_vcc 1
		.amdhsa_float_round_mode_32 0
		.amdhsa_float_round_mode_16_64 0
		.amdhsa_float_denorm_mode_32 3
		.amdhsa_float_denorm_mode_16_64 3
		.amdhsa_fp16_overflow 0
		.amdhsa_memory_ordered 1
		.amdhsa_forward_progress 1
		.amdhsa_inst_pref_size 9
		.amdhsa_round_robin_scheduling 0
		.amdhsa_exception_fp_ieee_invalid_op 0
		.amdhsa_exception_fp_denorm_src 0
		.amdhsa_exception_fp_ieee_div_zero 0
		.amdhsa_exception_fp_ieee_overflow 0
		.amdhsa_exception_fp_ieee_underflow 0
		.amdhsa_exception_fp_ieee_inexact 0
		.amdhsa_exception_int_div_zero 0
	.end_amdhsa_kernel
	.section	.text._ZL33flash_attn_stream_k_fixup_uniformILi128ELi16ELi1EEvPfPK15HIP_vector_typeIfLj2EEiiiiiiS1_IjLj3EES5_S5_,"axG",@progbits,_ZL33flash_attn_stream_k_fixup_uniformILi128ELi16ELi1EEvPfPK15HIP_vector_typeIfLj2EEiiiiiiS1_IjLj3EES5_S5_,comdat
.Lfunc_end60:
	.size	_ZL33flash_attn_stream_k_fixup_uniformILi128ELi16ELi1EEvPfPK15HIP_vector_typeIfLj2EEiiiiiiS1_IjLj3EES5_S5_, .Lfunc_end60-_ZL33flash_attn_stream_k_fixup_uniformILi128ELi16ELi1EEvPfPK15HIP_vector_typeIfLj2EEiiiiiiS1_IjLj3EES5_S5_
                                        ; -- End function
	.set _ZL33flash_attn_stream_k_fixup_uniformILi128ELi16ELi1EEvPfPK15HIP_vector_typeIfLj2EEiiiiiiS1_IjLj3EES5_S5_.num_vgpr, 12
	.set _ZL33flash_attn_stream_k_fixup_uniformILi128ELi16ELi1EEvPfPK15HIP_vector_typeIfLj2EEiiiiiiS1_IjLj3EES5_S5_.num_agpr, 0
	.set _ZL33flash_attn_stream_k_fixup_uniformILi128ELi16ELi1EEvPfPK15HIP_vector_typeIfLj2EEiiiiiiS1_IjLj3EES5_S5_.numbered_sgpr, 21
	.set _ZL33flash_attn_stream_k_fixup_uniformILi128ELi16ELi1EEvPfPK15HIP_vector_typeIfLj2EEiiiiiiS1_IjLj3EES5_S5_.num_named_barrier, 0
	.set _ZL33flash_attn_stream_k_fixup_uniformILi128ELi16ELi1EEvPfPK15HIP_vector_typeIfLj2EEiiiiiiS1_IjLj3EES5_S5_.private_seg_size, 0
	.set _ZL33flash_attn_stream_k_fixup_uniformILi128ELi16ELi1EEvPfPK15HIP_vector_typeIfLj2EEiiiiiiS1_IjLj3EES5_S5_.uses_vcc, 1
	.set _ZL33flash_attn_stream_k_fixup_uniformILi128ELi16ELi1EEvPfPK15HIP_vector_typeIfLj2EEiiiiiiS1_IjLj3EES5_S5_.uses_flat_scratch, 0
	.set _ZL33flash_attn_stream_k_fixup_uniformILi128ELi16ELi1EEvPfPK15HIP_vector_typeIfLj2EEiiiiiiS1_IjLj3EES5_S5_.has_dyn_sized_stack, 0
	.set _ZL33flash_attn_stream_k_fixup_uniformILi128ELi16ELi1EEvPfPK15HIP_vector_typeIfLj2EEiiiiiiS1_IjLj3EES5_S5_.has_recursion, 0
	.set _ZL33flash_attn_stream_k_fixup_uniformILi128ELi16ELi1EEvPfPK15HIP_vector_typeIfLj2EEiiiiiiS1_IjLj3EES5_S5_.has_indirect_call, 0
	.section	.AMDGPU.csdata,"",@progbits
; Kernel info:
; codeLenInByte = 1080
; TotalNumSgprs: 23
; NumVgprs: 12
; ScratchSize: 0
; MemoryBound: 0
; FloatMode: 240
; IeeeMode: 1
; LDSByteSize: 0 bytes/workgroup (compile time only)
; SGPRBlocks: 0
; VGPRBlocks: 0
; NumSGPRsForWavesPerEU: 23
; NumVGPRsForWavesPerEU: 12
; NamedBarCnt: 0
; Occupancy: 16
; WaveLimiterHint : 0
; COMPUTE_PGM_RSRC2:SCRATCH_EN: 0
; COMPUTE_PGM_RSRC2:USER_SGPR: 2
; COMPUTE_PGM_RSRC2:TRAP_HANDLER: 0
; COMPUTE_PGM_RSRC2:TGID_X_EN: 1
; COMPUTE_PGM_RSRC2:TGID_Y_EN: 1
; COMPUTE_PGM_RSRC2:TGID_Z_EN: 1
; COMPUTE_PGM_RSRC2:TIDIG_COMP_CNT: 0
	.section	.text._ZL33flash_attn_stream_k_fixup_generalILi128ELi16ELi1EEvPfPK15HIP_vector_typeIfLj2EEiiiiS1_IjLj3EES5_S5_S5_,"axG",@progbits,_ZL33flash_attn_stream_k_fixup_generalILi128ELi16ELi1EEvPfPK15HIP_vector_typeIfLj2EEiiiiS1_IjLj3EES5_S5_S5_,comdat
	.globl	_ZL33flash_attn_stream_k_fixup_generalILi128ELi16ELi1EEvPfPK15HIP_vector_typeIfLj2EEiiiiS1_IjLj3EES5_S5_S5_ ; -- Begin function _ZL33flash_attn_stream_k_fixup_generalILi128ELi16ELi1EEvPfPK15HIP_vector_typeIfLj2EEiiiiS1_IjLj3EES5_S5_S5_
	.p2align	8
	.type	_ZL33flash_attn_stream_k_fixup_generalILi128ELi16ELi1EEvPfPK15HIP_vector_typeIfLj2EEiiiiS1_IjLj3EES5_S5_S5_,@function
_ZL33flash_attn_stream_k_fixup_generalILi128ELi16ELi1EEvPfPK15HIP_vector_typeIfLj2EEiiiiS1_IjLj3EES5_S5_S5_: ; @_ZL33flash_attn_stream_k_fixup_generalILi128ELi16ELi1EEvPfPK15HIP_vector_typeIfLj2EEiiiiS1_IjLj3EES5_S5_S5_
; %bb.0:
	s_clause 0x1
	s_load_b128 s[4:7], s[0:1], 0x10
	s_load_b32 s16, s[0:1], 0x50
	s_bfe_u32 s2, ttmp6, 0x4000c
	s_and_b32 s3, ttmp6, 15
	s_add_co_i32 s2, s2, 1
	s_getreg_b32 s15, hwreg(HW_REG_IB_STS2, 6, 4)
	s_mul_i32 s2, ttmp9, s2
	s_mov_b32 s17, 0
	s_add_co_i32 s3, s3, s2
	s_cmp_eq_u32 s15, 0
	s_cselect_b32 s2, ttmp9, s3
	s_delay_alu instid0(SALU_CYCLE_1) | instskip(SKIP_3) | instid1(SALU_CYCLE_1)
	s_ashr_i32 s3, s2, 31
	s_wait_kmcnt 0x0
	s_ashr_i32 s19, s7, 31
	s_mov_b32 s18, s7
	s_mul_u64 s[8:9], s[18:19], s[2:3]
	s_delay_alu instid0(SALU_CYCLE_1) | instskip(NEXT) | instid1(SALU_CYCLE_1)
	s_and_b64 s[10:11], s[8:9], 0xffffffff00000000
	s_cmp_lg_u64 s[10:11], 0
	s_cbranch_scc0 .LBB61_21
; %bb.1:
	s_add_nc_u64 s[10:11], s[16:17], 0
	s_mov_b32 s23, s17
	s_xor_b64 s[10:11], s[10:11], 0
	s_mov_b32 s27, s17
	s_cvt_f32_u32 s3, s10
	s_cvt_f32_u32 s7, s11
	s_sub_nc_u64 s[20:21], 0, s[10:11]
	s_delay_alu instid0(SALU_CYCLE_2) | instskip(NEXT) | instid1(SALU_CYCLE_3)
	s_fmamk_f32 s3, s7, 0x4f800000, s3
	v_s_rcp_f32 s3, s3
	s_delay_alu instid0(TRANS32_DEP_1) | instskip(NEXT) | instid1(SALU_CYCLE_3)
	s_mul_f32 s3, s3, 0x5f7ffffc
	s_mul_f32 s7, s3, 0x2f800000
	s_delay_alu instid0(SALU_CYCLE_3) | instskip(NEXT) | instid1(SALU_CYCLE_3)
	s_trunc_f32 s7, s7
	s_fmamk_f32 s3, s7, 0xcf800000, s3
	s_cvt_u32_f32 s13, s7
	s_delay_alu instid0(SALU_CYCLE_2) | instskip(NEXT) | instid1(SALU_CYCLE_3)
	s_cvt_u32_f32 s12, s3
	s_mul_u64 s[24:25], s[20:21], s[12:13]
	s_delay_alu instid0(SALU_CYCLE_1)
	s_mul_hi_u32 s29, s12, s25
	s_mul_i32 s28, s12, s25
	s_mul_hi_u32 s22, s12, s24
	s_mul_i32 s7, s13, s24
	s_add_nc_u64 s[22:23], s[22:23], s[28:29]
	s_mul_hi_u32 s3, s13, s24
	s_mul_hi_u32 s14, s13, s25
	s_add_co_u32 s7, s22, s7
	s_add_co_ci_u32 s26, s23, s3
	s_mul_i32 s24, s13, s25
	s_add_co_ci_u32 s25, s14, 0
	s_delay_alu instid0(SALU_CYCLE_1) | instskip(SKIP_3) | instid1(SALU_CYCLE_1)
	s_add_nc_u64 s[22:23], s[26:27], s[24:25]
	s_mov_b32 s25, s17
	s_add_co_u32 s12, s12, s22
	s_cselect_b32 s3, -1, 0
	s_cmp_lg_u32 s3, 0
	s_add_co_ci_u32 s13, s13, s23
	s_mov_b32 s23, s17
	s_mul_u64 s[20:21], s[20:21], s[12:13]
	s_delay_alu instid0(SALU_CYCLE_1)
	s_mul_hi_u32 s27, s12, s21
	s_mul_i32 s26, s12, s21
	s_mul_hi_u32 s22, s12, s20
	s_mul_i32 s7, s13, s20
	s_add_nc_u64 s[22:23], s[22:23], s[26:27]
	s_mul_hi_u32 s3, s13, s20
	s_mul_hi_u32 s14, s13, s21
	s_add_co_u32 s7, s22, s7
	s_add_co_ci_u32 s24, s23, s3
	s_mul_i32 s20, s13, s21
	s_add_co_ci_u32 s21, s14, 0
	s_mov_b32 s23, s17
	s_add_nc_u64 s[20:21], s[24:25], s[20:21]
	s_delay_alu instid0(SALU_CYCLE_1) | instskip(SKIP_1) | instid1(SALU_CYCLE_1)
	s_add_co_u32 s3, s12, s20
	s_cselect_b32 s7, -1, 0
	s_cmp_lg_u32 s7, 0
	s_add_co_ci_u32 s7, s13, s21
	s_ashr_i32 s12, s9, 31
	s_delay_alu instid0(SALU_CYCLE_1) | instskip(NEXT) | instid1(SALU_CYCLE_1)
	s_mov_b32 s13, s12
	s_add_nc_u64 s[20:21], s[8:9], s[12:13]
	s_delay_alu instid0(SALU_CYCLE_1) | instskip(NEXT) | instid1(SALU_CYCLE_1)
	s_xor_b64 s[20:21], s[20:21], s[12:13]
	s_mul_hi_u32 s27, s20, s7
	s_mul_i32 s26, s20, s7
	s_mul_hi_u32 s22, s20, s3
	s_mul_hi_u32 s14, s21, s3
	s_mul_i32 s3, s21, s3
	s_add_nc_u64 s[22:23], s[22:23], s[26:27]
	s_mul_hi_u32 s9, s21, s7
	s_add_co_u32 s3, s22, s3
	s_add_co_ci_u32 s24, s23, s14
	s_mul_i32 s26, s21, s7
	s_add_co_ci_u32 s27, s9, 0
	s_delay_alu instid0(SALU_CYCLE_1) | instskip(NEXT) | instid1(SALU_CYCLE_1)
	s_add_nc_u64 s[22:23], s[24:25], s[26:27]
	s_and_b64 s[24:25], s[22:23], 0xffffffff00000000
	s_delay_alu instid0(SALU_CYCLE_1) | instskip(NEXT) | instid1(SALU_CYCLE_1)
	s_or_b32 s24, s24, s22
	s_mul_u64 s[22:23], s[10:11], s[24:25]
	s_add_nc_u64 s[26:27], s[24:25], 1
	s_sub_co_u32 s3, s20, s22
	s_cselect_b32 s7, -1, 0
	s_sub_co_i32 s9, s21, s23
	s_cmp_lg_u32 s7, 0
	s_add_nc_u64 s[28:29], s[24:25], 2
	s_sub_co_ci_u32 s9, s9, s11
	s_sub_co_u32 s14, s3, s10
	s_cselect_b32 s20, -1, 0
	s_delay_alu instid0(SALU_CYCLE_1) | instskip(SKIP_1) | instid1(SALU_CYCLE_1)
	s_cmp_lg_u32 s20, 0
	s_sub_co_ci_u32 s9, s9, 0
	s_cmp_ge_u32 s9, s11
	s_cselect_b32 s20, -1, 0
	s_cmp_ge_u32 s14, s10
	s_cselect_b32 s14, -1, 0
	s_cmp_eq_u32 s9, s11
	s_cselect_b32 s9, s14, s20
	s_delay_alu instid0(SALU_CYCLE_1) | instskip(SKIP_4) | instid1(SALU_CYCLE_1)
	s_cmp_lg_u32 s9, 0
	s_cselect_b32 s9, s28, s26
	s_cselect_b32 s14, s29, s27
	s_cmp_lg_u32 s7, 0
	s_sub_co_ci_u32 s7, s21, s23
	s_cmp_ge_u32 s7, s11
	s_cselect_b32 s20, -1, 0
	s_cmp_ge_u32 s3, s10
	s_cselect_b32 s3, -1, 0
	s_cmp_eq_u32 s7, s11
	s_cselect_b32 s3, s3, s20
	s_delay_alu instid0(SALU_CYCLE_1) | instskip(SKIP_4) | instid1(SALU_CYCLE_1)
	s_cmp_lg_u32 s3, 0
	s_mov_b32 s3, s17
	s_cselect_b32 s11, s14, s25
	s_cselect_b32 s10, s9, s24
	s_xor_b64 s[12:13], s[12:13], 0
	s_xor_b64 s[10:11], s[10:11], s[12:13]
	s_delay_alu instid0(SALU_CYCLE_1)
	s_sub_nc_u64 s[20:21], s[10:11], s[12:13]
	s_and_not1_b32 vcc_lo, exec_lo, s3
	s_cbranch_vccnz .LBB61_3
.LBB61_2:
	v_cvt_f32_u32_e32 v1, s16
	s_sub_co_i32 s7, 0, s16
	s_mov_b32 s21, 0
	s_delay_alu instid0(VALU_DEP_1) | instskip(SKIP_1) | instid1(TRANS32_DEP_1)
	v_rcp_iflag_f32_e32 v1, v1
	v_nop
	v_mul_f32_e32 v1, 0x4f7ffffe, v1
	s_delay_alu instid0(VALU_DEP_1) | instskip(NEXT) | instid1(VALU_DEP_1)
	v_cvt_u32_f32_e32 v1, v1
	v_readfirstlane_b32 s3, v1
	s_mul_i32 s7, s7, s3
	s_delay_alu instid0(SALU_CYCLE_1) | instskip(NEXT) | instid1(SALU_CYCLE_1)
	s_mul_hi_u32 s7, s3, s7
	s_add_co_i32 s3, s3, s7
	s_delay_alu instid0(SALU_CYCLE_1) | instskip(NEXT) | instid1(SALU_CYCLE_1)
	s_mul_hi_u32 s3, s8, s3
	s_mul_i32 s7, s3, s16
	s_delay_alu instid0(SALU_CYCLE_1)
	s_sub_co_i32 s7, s8, s7
	s_add_co_i32 s8, s3, 1
	s_sub_co_i32 s9, s7, s16
	s_cmp_ge_u32 s7, s16
	s_cselect_b32 s3, s8, s3
	s_cselect_b32 s7, s9, s7
	s_add_co_i32 s8, s3, 1
	s_cmp_ge_u32 s7, s16
	s_cselect_b32 s20, s8, s3
.LBB61_3:
	s_add_co_i32 s8, s2, 1
	s_delay_alu instid0(SALU_CYCLE_1) | instskip(NEXT) | instid1(SALU_CYCLE_1)
	s_ashr_i32 s9, s8, 31
	s_mul_u64 s[8:9], s[18:19], s[8:9]
	s_delay_alu instid0(SALU_CYCLE_1) | instskip(NEXT) | instid1(SALU_CYCLE_1)
	s_and_b64 s[10:11], s[8:9], 0xffffffff00000000
	s_cmp_lg_u64 s[10:11], 0
	s_cbranch_scc0 .LBB61_22
; %bb.4:
	s_add_nc_u64 s[10:11], s[16:17], 0
	s_delay_alu instid0(SALU_CYCLE_1) | instskip(SKIP_4) | instid1(SALU_CYCLE_2)
	s_xor_b64 s[12:13], s[10:11], 0
	s_mov_b32 s11, 0
	s_cvt_f32_u32 s3, s12
	s_cvt_f32_u32 s7, s13
	s_sub_nc_u64 s[24:25], 0, s[12:13]
	s_fmamk_f32 s3, s7, 0x4f800000, s3
	s_delay_alu instid0(SALU_CYCLE_3) | instskip(NEXT) | instid1(TRANS32_DEP_1)
	v_s_rcp_f32 s3, s3
	s_mul_f32 s3, s3, 0x5f7ffffc
	s_delay_alu instid0(SALU_CYCLE_3) | instskip(NEXT) | instid1(SALU_CYCLE_3)
	s_mul_f32 s7, s3, 0x2f800000
	s_trunc_f32 s7, s7
	s_delay_alu instid0(SALU_CYCLE_3) | instskip(SKIP_1) | instid1(SALU_CYCLE_2)
	s_fmamk_f32 s3, s7, 0xcf800000, s3
	s_cvt_u32_f32 s23, s7
	s_cvt_u32_f32 s22, s3
	s_delay_alu instid0(SALU_CYCLE_3) | instskip(NEXT) | instid1(SALU_CYCLE_1)
	s_mul_u64 s[26:27], s[24:25], s[22:23]
	s_mul_hi_u32 s29, s22, s27
	s_mul_i32 s28, s22, s27
	s_mul_hi_u32 s10, s22, s26
	s_mul_i32 s7, s23, s26
	s_add_nc_u64 s[28:29], s[10:11], s[28:29]
	s_mul_hi_u32 s3, s23, s26
	s_mul_hi_u32 s14, s23, s27
	s_add_co_u32 s7, s28, s7
	s_add_co_ci_u32 s10, s29, s3
	s_mul_i32 s26, s23, s27
	s_add_co_ci_u32 s27, s14, 0
	s_delay_alu instid0(SALU_CYCLE_1) | instskip(NEXT) | instid1(SALU_CYCLE_1)
	s_add_nc_u64 s[26:27], s[10:11], s[26:27]
	s_add_co_u32 s22, s22, s26
	s_cselect_b32 s3, -1, 0
	s_delay_alu instid0(SALU_CYCLE_1) | instskip(SKIP_1) | instid1(SALU_CYCLE_1)
	s_cmp_lg_u32 s3, 0
	s_add_co_ci_u32 s23, s23, s27
	s_mul_u64 s[24:25], s[24:25], s[22:23]
	s_delay_alu instid0(SALU_CYCLE_1)
	s_mul_hi_u32 s27, s22, s25
	s_mul_i32 s26, s22, s25
	s_mul_hi_u32 s10, s22, s24
	s_mul_i32 s7, s23, s24
	s_add_nc_u64 s[26:27], s[10:11], s[26:27]
	s_mul_hi_u32 s3, s23, s24
	s_mul_hi_u32 s14, s23, s25
	s_add_co_u32 s7, s26, s7
	s_add_co_ci_u32 s10, s27, s3
	s_mul_i32 s24, s23, s25
	s_add_co_ci_u32 s25, s14, 0
	s_delay_alu instid0(SALU_CYCLE_1) | instskip(NEXT) | instid1(SALU_CYCLE_1)
	s_add_nc_u64 s[24:25], s[10:11], s[24:25]
	s_add_co_u32 s3, s22, s24
	s_cselect_b32 s7, -1, 0
	s_delay_alu instid0(SALU_CYCLE_1) | instskip(SKIP_2) | instid1(SALU_CYCLE_1)
	s_cmp_lg_u32 s7, 0
	s_add_co_ci_u32 s7, s23, s25
	s_ashr_i32 s22, s9, 31
	s_mov_b32 s23, s22
	s_delay_alu instid0(SALU_CYCLE_1) | instskip(NEXT) | instid1(SALU_CYCLE_1)
	s_add_nc_u64 s[24:25], s[8:9], s[22:23]
	s_xor_b64 s[24:25], s[24:25], s[22:23]
	s_delay_alu instid0(SALU_CYCLE_1)
	s_mul_hi_u32 s27, s24, s7
	s_mul_i32 s26, s24, s7
	s_mul_hi_u32 s10, s24, s3
	s_mul_hi_u32 s14, s25, s3
	s_mul_i32 s3, s25, s3
	s_add_nc_u64 s[26:27], s[10:11], s[26:27]
	s_mul_hi_u32 s9, s25, s7
	s_add_co_u32 s3, s26, s3
	s_add_co_ci_u32 s10, s27, s14
	s_mul_i32 s28, s25, s7
	s_add_co_ci_u32 s29, s9, 0
	s_delay_alu instid0(SALU_CYCLE_1) | instskip(NEXT) | instid1(SALU_CYCLE_1)
	s_add_nc_u64 s[26:27], s[10:11], s[28:29]
	s_and_b64 s[28:29], s[26:27], 0xffffffff00000000
	s_delay_alu instid0(SALU_CYCLE_1) | instskip(NEXT) | instid1(SALU_CYCLE_1)
	s_or_b32 s28, s28, s26
	s_mul_u64 s[26:27], s[12:13], s[28:29]
	s_add_nc_u64 s[30:31], s[28:29], 1
	s_sub_co_u32 s3, s24, s26
	s_cselect_b32 s7, -1, 0
	s_sub_co_i32 s9, s25, s27
	s_cmp_lg_u32 s7, 0
	s_add_nc_u64 s[34:35], s[28:29], 2
	s_sub_co_ci_u32 s9, s9, s13
	s_sub_co_u32 s10, s3, s12
	s_cselect_b32 s14, -1, 0
	s_delay_alu instid0(SALU_CYCLE_1) | instskip(SKIP_1) | instid1(SALU_CYCLE_1)
	s_cmp_lg_u32 s14, 0
	s_sub_co_ci_u32 s9, s9, 0
	s_cmp_ge_u32 s9, s13
	s_cselect_b32 s14, -1, 0
	s_cmp_ge_u32 s10, s12
	s_cselect_b32 s10, -1, 0
	s_cmp_eq_u32 s9, s13
	s_cselect_b32 s9, s10, s14
	s_delay_alu instid0(SALU_CYCLE_1) | instskip(SKIP_4) | instid1(SALU_CYCLE_1)
	s_cmp_lg_u32 s9, 0
	s_cselect_b32 s9, s34, s30
	s_cselect_b32 s10, s35, s31
	s_cmp_lg_u32 s7, 0
	s_sub_co_ci_u32 s7, s25, s27
	s_cmp_ge_u32 s7, s13
	s_cselect_b32 s14, -1, 0
	s_cmp_ge_u32 s3, s12
	s_cselect_b32 s3, -1, 0
	s_cmp_eq_u32 s7, s13
	s_cselect_b32 s3, s3, s14
	s_delay_alu instid0(SALU_CYCLE_1) | instskip(SKIP_3) | instid1(SALU_CYCLE_1)
	s_cmp_lg_u32 s3, 0
	s_cselect_b32 s13, s10, s29
	s_cselect_b32 s12, s9, s28
	s_xor_b64 s[22:23], s[22:23], 0
	s_xor_b64 s[12:13], s[12:13], s[22:23]
	s_delay_alu instid0(SALU_CYCLE_1)
	s_sub_nc_u64 s[24:25], s[12:13], s[22:23]
	s_load_b96 s[12:14], s[0:1], 0x44
	s_cbranch_execnz .LBB61_6
.LBB61_5:
	v_cvt_f32_u32_e32 v1, s16
	s_sub_co_i32 s7, 0, s16
	s_delay_alu instid0(VALU_DEP_1) | instskip(SKIP_1) | instid1(TRANS32_DEP_1)
	v_rcp_iflag_f32_e32 v1, v1
	v_nop
	v_mul_f32_e32 v1, 0x4f7ffffe, v1
	s_delay_alu instid0(VALU_DEP_1) | instskip(NEXT) | instid1(VALU_DEP_1)
	v_cvt_u32_f32_e32 v1, v1
	v_readfirstlane_b32 s3, v1
	s_mul_i32 s7, s7, s3
	s_delay_alu instid0(SALU_CYCLE_1) | instskip(NEXT) | instid1(SALU_CYCLE_1)
	s_mul_hi_u32 s7, s3, s7
	s_add_co_i32 s3, s3, s7
	s_delay_alu instid0(SALU_CYCLE_1) | instskip(NEXT) | instid1(SALU_CYCLE_1)
	s_mul_hi_u32 s3, s8, s3
	s_mul_i32 s7, s3, s16
	s_delay_alu instid0(SALU_CYCLE_1)
	s_sub_co_i32 s7, s8, s7
	s_add_co_i32 s8, s3, 1
	s_sub_co_i32 s9, s7, s16
	s_cmp_ge_u32 s7, s16
	s_cselect_b32 s3, s8, s3
	s_cselect_b32 s7, s9, s7
	s_add_co_i32 s8, s3, 1
	s_cmp_ge_u32 s7, s16
	s_cselect_b32 s24, s8, s3
.LBB61_6:
	s_delay_alu instid0(SALU_CYCLE_1)
	s_cmp_eq_u32 s20, s24
	s_mov_b64 s[8:9], 0xffffffff
	s_cselect_b32 s3, -1, 0
	s_and_b64 s[8:9], s[20:21], s[8:9]
	s_mov_b32 s23, 0
	s_wait_kmcnt 0x0
	s_mov_b32 s22, s12
	s_mov_b32 s25, s23
	s_mul_u64 s[10:11], s[8:9], s[22:23]
	s_delay_alu instid0(SALU_CYCLE_1) | instskip(SKIP_2) | instid1(SALU_CYCLE_1)
	s_add_co_i32 s7, s11, s20
	s_mul_u64 s[10:11], s[24:25], s[22:23]
	s_lshr_b32 s12, s7, s13
	s_mul_i32 s7, s12, s14
	s_delay_alu instid0(SALU_CYCLE_1) | instskip(SKIP_2) | instid1(SALU_CYCLE_1)
	s_cmp_eq_u32 s7, s20
	s_cselect_b32 s7, -1, 0
	s_add_co_i32 s10, s11, s24
	s_lshr_b32 s10, s10, s13
	s_delay_alu instid0(SALU_CYCLE_1)
	s_cmp_eq_u32 s12, s10
	s_mul_i32 s10, s10, s14
	s_cselect_b32 s11, -1, 0
	s_cmp_lg_u32 s10, s24
	s_cselect_b32 s10, -1, 0
	s_or_b32 s3, s3, s7
	s_and_b32 s10, s11, s10
	s_delay_alu instid0(SALU_CYCLE_1) | instskip(NEXT) | instid1(SALU_CYCLE_1)
	s_or_b32 s3, s3, s10
	s_and_b32 vcc_lo, exec_lo, s3
	s_cbranch_vccnz .LBB61_24
; %bb.7:
	s_load_b256 s[24:31], s[0:1], 0x20
	s_bfe_u32 s7, ttmp6, 0x40014
	s_bfe_u32 s33, ttmp6, 0x40010
	s_lshr_b32 s3, ttmp7, 16
	s_add_co_i32 s7, s7, 1
	s_and_b32 s21, ttmp7, 0xffff
	s_add_co_i32 s33, s33, 1
	s_bfe_u32 s10, ttmp6, 0x40008
	s_mul_i32 s7, s3, s7
	s_bfe_u32 s34, ttmp6, 0x40004
	s_mul_i32 s33, s21, s33
	s_mov_b32 s11, s23
	s_add_co_i32 s7, s10, s7
	s_add_co_i32 s34, s34, s33
	s_cmp_eq_u32 s15, 0
	s_cselect_b32 s15, s21, s34
	s_cselect_b32 s3, s3, s7
	s_wait_kmcnt 0x0
	s_mov_b32 s10, s24
	s_delay_alu instid0(SALU_CYCLE_1) | instskip(SKIP_2) | instid1(SALU_CYCLE_1)
	s_mul_u64 s[8:9], s[8:9], s[10:11]
	s_load_b32 s8, s[0:1], 0x40
	s_add_co_i32 s7, s9, s20
	s_lshr_b32 s7, s7, s25
	s_delay_alu instid0(SALU_CYCLE_1) | instskip(NEXT) | instid1(SALU_CYCLE_1)
	s_mul_i32 s9, s7, s26
	s_sub_co_i32 s9, s20, s9
	s_delay_alu instid0(SALU_CYCLE_1) | instskip(NEXT) | instid1(SALU_CYCLE_1)
	s_mul_hi_u32 s10, s9, s27
	s_add_co_i32 s10, s9, s10
	s_delay_alu instid0(SALU_CYCLE_1) | instskip(NEXT) | instid1(SALU_CYCLE_1)
	s_lshr_b32 s21, s10, s28
	s_mul_i32 s10, s21, s29
	s_delay_alu instid0(SALU_CYCLE_1) | instskip(NEXT) | instid1(SALU_CYCLE_1)
	s_sub_co_i32 s10, s9, s10
	s_mul_hi_u32 s9, s10, s30
	s_delay_alu instid0(SALU_CYCLE_1) | instskip(NEXT) | instid1(SALU_CYCLE_1)
	s_add_co_i32 s9, s10, s9
	s_lshr_b32 s24, s9, s31
	s_mov_b32 s9, s23
	s_wait_kmcnt 0x0
	s_mul_i32 s8, s24, s8
	s_delay_alu instid0(SALU_CYCLE_1) | instskip(NEXT) | instid1(SALU_CYCLE_1)
	s_sub_co_i32 s8, s10, s8
	s_mul_u64 s[10:11], s[8:9], s[22:23]
	s_delay_alu instid0(SALU_CYCLE_1) | instskip(NEXT) | instid1(SALU_CYCLE_1)
	s_add_co_i32 s8, s8, s11
	s_lshr_b32 s25, s8, s13
	s_delay_alu instid0(SALU_CYCLE_1) | instskip(NEXT) | instid1(SALU_CYCLE_1)
	s_lshl_b32 s8, s25, 4
	s_add_co_i32 s8, s8, s15
	s_delay_alu instid0(SALU_CYCLE_1) | instskip(SKIP_2) | instid1(SALU_CYCLE_1)
	s_cmp_lt_i32 s8, s4
	s_cselect_b32 s8, -1, 0
	s_add_co_i32 s9, s24, s3
	s_cmp_lt_i32 s9, s6
	s_cselect_b32 s9, -1, 0
	s_delay_alu instid0(SALU_CYCLE_1) | instskip(NEXT) | instid1(SALU_CYCLE_1)
	s_and_b32 s8, s8, s9
	s_and_not1_b32 vcc_lo, exec_lo, s8
	s_cbranch_vccnz .LBB61_24
; %bb.8:
	s_mul_i32 s4, s7, s4
	s_load_b128 s[8:11], s[0:1], 0x0
	s_wait_xcnt 0x0
	s_add_co_i32 s0, s4, s15
	s_mul_i32 s21, s21, s6
	s_mul_i32 s0, s0, s5
	;; [unrolled: 1-line block ×3, first 2 shown]
	s_add_co_i32 s0, s0, s3
	s_lshl_b32 s1, s1, 11
	s_add_co_i32 s0, s0, s21
	s_add_co_i32 s15, s15, s3
	;; [unrolled: 1-line block ×3, first 2 shown]
	v_lshl_or_b32 v6, s15, 7, v0
	s_lshl_b32 s0, s0, 7
	v_cvt_f32_u32_e32 v4, s16
	s_add_co_i32 s1, s1, s0
	s_lshl_b32 s24, s16, 6
	v_or_b32_e32 v2, s1, v0
	s_add_nc_u64 s[0:1], s[16:17], 0
	v_rcp_iflag_f32_e32 v4, v4
	s_xor_b64 s[6:7], s[0:1], 0
	s_lshl_b32 s0, s2, 4
	s_cvt_f32_u32 s3, s6
	s_add_co_i32 s0, s0, s15
	s_cvt_f32_u32 s4, s7
	s_ashr_i32 s1, s0, 31
	s_mov_b32 s25, 0
	s_lshl_b64 s[0:1], s[0:1], 3
	s_fmamk_f32 s3, s4, 0x4f800000, s3
	s_wait_kmcnt 0x0
	s_add_nc_u64 s[0:1], s[10:11], s[0:1]
	s_add_co_i32 s36, s2, -1
	s_load_b64 s[28:29], s[0:1], 0x0
	v_s_rcp_f32 s3, s3
	s_wait_xcnt 0x0
	s_lshl_b64 s[0:1], s[24:25], 2
	s_sub_nc_u64 s[34:35], 0, s[6:7]
	s_add_nc_u64 s[26:27], s[10:11], s[0:1]
	v_mul_f32_e32 v4, 0x4f7ffffe, v4
	s_delay_alu instid0(TRANS32_DEP_1) | instskip(NEXT) | instid1(VALU_DEP_1)
	s_mul_f32 s3, s3, 0x5f7ffffc
	v_cvt_u32_f32_e32 v7, v4
	s_delay_alu instid0(SALU_CYCLE_2) | instskip(NEXT) | instid1(SALU_CYCLE_3)
	s_mul_f32 s4, s3, 0x2f800000
	s_trunc_f32 s4, s4
	s_wait_kmcnt 0x0
	v_mov_b32_e32 v0, s29
	global_load_b32 v1, v2, s[8:9] scale_offset
	v_ashrrev_i32_e32 v3, 31, v2
	s_fmamk_f32 s0, s4, 0xcf800000, s3
	s_cvt_u32_f32 s31, s4
	s_wait_xcnt 0x0
	s_delay_alu instid0(VALU_DEP_1)
	v_lshl_add_u64 v[2:3], v[2:3], 2, s[8:9]
	s_cvt_u32_f32 s30, s0
	s_mov_b64 s[8:9], 0xffffffff
.LBB61_9:                               ; =>This Inner Loop Header: Depth=1
	s_ashr_i32 s37, s36, 31
                                        ; implicit-def: $sgpr40_sgpr41
	s_delay_alu instid0(SALU_CYCLE_1) | instskip(NEXT) | instid1(SALU_CYCLE_1)
	s_mul_u64 s[0:1], s[36:37], s[18:19]
	s_and_b64 s[2:3], s[0:1], 0xffffffff00000000
	s_delay_alu instid0(SALU_CYCLE_1)
	s_cmp_lg_u64 s[2:3], 0
	s_mov_b32 s2, -1
	s_cbranch_scc0 .LBB61_11
; %bb.10:                               ;   in Loop: Header=BB61_9 Depth=1
	s_mul_u64 s[2:3], s[34:35], s[30:31]
	s_delay_alu instid0(SALU_CYCLE_1)
	s_mul_hi_u32 s5, s30, s3
	s_mul_i32 s4, s30, s3
	s_mul_hi_u32 s24, s30, s2
	s_mul_hi_u32 s17, s31, s2
	s_add_nc_u64 s[4:5], s[24:25], s[4:5]
	s_mul_i32 s2, s31, s2
	s_mul_hi_u32 s21, s31, s3
	s_add_co_u32 s2, s4, s2
	s_add_co_ci_u32 s24, s5, s17
	s_add_co_ci_u32 s5, s21, 0
	s_mul_i32 s4, s31, s3
	s_delay_alu instid0(SALU_CYCLE_1) | instskip(NEXT) | instid1(SALU_CYCLE_1)
	s_add_nc_u64 s[2:3], s[24:25], s[4:5]
	s_add_co_u32 s2, s30, s2
	s_cselect_b32 s4, -1, 0
	s_delay_alu instid0(SALU_CYCLE_1) | instskip(SKIP_1) | instid1(SALU_CYCLE_1)
	s_cmp_lg_u32 s4, 0
	s_add_co_ci_u32 s3, s31, s3
	s_mul_u64 s[4:5], s[34:35], s[2:3]
	s_delay_alu instid0(SALU_CYCLE_1)
	s_mul_hi_u32 s39, s2, s5
	s_mul_i32 s38, s2, s5
	s_mul_hi_u32 s24, s2, s4
	s_mul_hi_u32 s17, s3, s4
	s_mul_i32 s4, s3, s4
	s_add_nc_u64 s[38:39], s[24:25], s[38:39]
	s_mul_hi_u32 s21, s3, s5
	s_add_co_u32 s4, s38, s4
	s_add_co_ci_u32 s24, s39, s17
	s_mul_i32 s4, s3, s5
	s_add_co_ci_u32 s5, s21, 0
	s_delay_alu instid0(SALU_CYCLE_1) | instskip(NEXT) | instid1(SALU_CYCLE_1)
	s_add_nc_u64 s[4:5], s[24:25], s[4:5]
	s_add_co_u32 s17, s2, s4
	s_cselect_b32 s2, -1, 0
	s_delay_alu instid0(SALU_CYCLE_1) | instskip(SKIP_2) | instid1(SALU_CYCLE_1)
	s_cmp_lg_u32 s2, 0
	s_add_co_ci_u32 s21, s3, s5
	s_ashr_i32 s2, s1, 31
	s_mov_b32 s3, s2
	s_delay_alu instid0(SALU_CYCLE_1) | instskip(NEXT) | instid1(SALU_CYCLE_1)
	s_add_nc_u64 s[4:5], s[0:1], s[2:3]
	s_xor_b64 s[4:5], s[4:5], s[2:3]
	s_delay_alu instid0(SALU_CYCLE_1)
	s_mul_hi_u32 s39, s4, s21
	s_mul_i32 s38, s4, s21
	s_mul_hi_u32 s24, s4, s17
	s_mul_hi_u32 s29, s5, s17
	s_mul_i32 s17, s5, s17
	s_add_nc_u64 s[38:39], s[24:25], s[38:39]
	s_mul_hi_u32 s1, s5, s21
	s_add_co_u32 s17, s38, s17
	s_add_co_ci_u32 s24, s39, s29
	s_mul_i32 s40, s5, s21
	s_add_co_ci_u32 s41, s1, 0
	s_delay_alu instid0(SALU_CYCLE_1) | instskip(NEXT) | instid1(SALU_CYCLE_1)
	s_add_nc_u64 s[38:39], s[24:25], s[40:41]
	s_and_b64 s[40:41], s[38:39], 0xffffffff00000000
	s_delay_alu instid0(SALU_CYCLE_1) | instskip(NEXT) | instid1(SALU_CYCLE_1)
	s_or_b32 s40, s40, s38
	s_mul_u64 s[38:39], s[6:7], s[40:41]
	s_add_nc_u64 s[42:43], s[40:41], 1
	s_sub_co_u32 s1, s4, s38
	s_cselect_b32 s4, -1, 0
	s_sub_co_i32 s17, s5, s39
	s_cmp_lg_u32 s4, 0
	s_add_nc_u64 s[44:45], s[40:41], 2
	s_sub_co_ci_u32 s17, s17, s7
	s_sub_co_u32 s21, s1, s6
	s_cselect_b32 s24, -1, 0
	s_delay_alu instid0(SALU_CYCLE_1) | instskip(SKIP_1) | instid1(SALU_CYCLE_1)
	s_cmp_lg_u32 s24, 0
	s_sub_co_ci_u32 s17, s17, 0
	s_cmp_ge_u32 s17, s7
	s_cselect_b32 s24, -1, 0
	s_cmp_ge_u32 s21, s6
	s_cselect_b32 s21, -1, 0
	s_cmp_eq_u32 s17, s7
	s_cselect_b32 s17, s21, s24
	s_delay_alu instid0(SALU_CYCLE_1) | instskip(SKIP_4) | instid1(SALU_CYCLE_1)
	s_cmp_lg_u32 s17, 0
	s_cselect_b32 s17, s44, s42
	s_cselect_b32 s21, s45, s43
	s_cmp_lg_u32 s4, 0
	s_sub_co_ci_u32 s4, s5, s39
	s_cmp_ge_u32 s4, s7
	s_cselect_b32 s5, -1, 0
	s_cmp_ge_u32 s1, s6
	s_cselect_b32 s1, -1, 0
	s_cmp_eq_u32 s4, s7
	s_cselect_b32 s1, s1, s5
	s_delay_alu instid0(SALU_CYCLE_1) | instskip(SKIP_3) | instid1(SALU_CYCLE_1)
	s_cmp_lg_u32 s1, 0
	s_cselect_b32 s5, s21, s41
	s_cselect_b32 s4, s17, s40
	s_xor_b64 s[2:3], s[2:3], 0
	s_xor_b64 s[4:5], s[4:5], s[2:3]
	s_delay_alu instid0(SALU_CYCLE_1)
	s_sub_nc_u64 s[40:41], s[4:5], s[2:3]
	s_mov_b32 s2, 0
.LBB61_11:                              ;   in Loop: Header=BB61_9 Depth=1
	s_delay_alu instid0(SALU_CYCLE_1)
	s_and_not1_b32 vcc_lo, exec_lo, s2
	s_cbranch_vccnz .LBB61_13
; %bb.12:                               ;   in Loop: Header=BB61_9 Depth=1
	v_readfirstlane_b32 s1, v7
	s_sub_co_i32 s2, 0, s16
	s_delay_alu instid0(SALU_CYCLE_1) | instskip(NEXT) | instid1(SALU_CYCLE_1)
	s_mul_i32 s2, s2, s1
	s_mul_hi_u32 s2, s1, s2
	s_delay_alu instid0(SALU_CYCLE_1) | instskip(NEXT) | instid1(SALU_CYCLE_1)
	s_add_co_i32 s1, s1, s2
	s_mul_hi_u32 s1, s0, s1
	s_delay_alu instid0(SALU_CYCLE_1) | instskip(NEXT) | instid1(SALU_CYCLE_1)
	s_mul_i32 s2, s1, s16
	s_sub_co_i32 s0, s0, s2
	s_add_co_i32 s2, s1, 1
	s_sub_co_i32 s3, s0, s16
	s_cmp_ge_u32 s0, s16
	s_cselect_b32 s1, s2, s1
	s_cselect_b32 s0, s3, s0
	s_add_co_i32 s2, s1, 1
	s_cmp_ge_u32 s0, s16
	s_cselect_b32 s24, s2, s1
	s_delay_alu instid0(SALU_CYCLE_1)
	s_mov_b64 s[40:41], s[24:25]
.LBB61_13:                              ;   in Loop: Header=BB61_9 Depth=1
	s_delay_alu instid0(SALU_CYCLE_1)
	s_cmp_lg_u32 s20, s40
	s_mov_b32 s0, -1
                                        ; implicit-def: $vgpr4_vgpr5
                                        ; implicit-def: $sgpr24
                                        ; implicit-def: $sgpr17
                                        ; implicit-def: $sgpr21
                                        ; implicit-def: $sgpr29
	s_cbranch_scc0 .LBB61_18
; %bb.14:                               ;   in Loop: Header=BB61_9 Depth=1
	s_add_co_i32 s0, s36, s16
	v_max_num_f32_e64 v4, s28, s28
	s_lshl_b32 s0, s0, 4
	s_mov_b32 s29, s20
	s_add_co_i32 s0, s0, s15
	s_load_b64 s[38:39], s[10:11], s0 offset:0x0 scale_offset
	s_wait_xcnt 0x0
	v_readfirstlane_b32 s0, v4
	s_wait_kmcnt 0x0
	v_max_num_f32_e64 v5, s38, s38
	s_delay_alu instid0(VALU_DEP_1) | instskip(SKIP_1) | instid1(SALU_CYCLE_3)
	v_readfirstlane_b32 s1, v5
	s_max_num_f32 s17, s0, s1
	s_sub_f32 s33, s28, s17
	s_sub_f32 s37, s38, s17
	s_delay_alu instid0(SALU_CYCLE_2)
	s_cmp_nlt_f32 s33, 0xc2ce8ed0
	s_cselect_b32 s1, -1, 0
	s_cmp_ngt_f32 s33, 0x42b17218
	s_cselect_b32 s2, -1, 0
	s_cmp_ge_f32 s33, 0xc1a00000
	s_cselect_b32 s0, -1, 0
	s_cmp_nlt_f32 s37, 0xc2ce8ed0
	s_cselect_b32 s3, -1, 0
	s_cmp_ngt_f32 s37, 0x42b17218
	s_cselect_b32 s4, -1, 0
	s_cmp_ge_f32 s37, 0xc1a00000
	s_cselect_b32 s5, -1, 0
	s_and_b64 s[42:43], s[40:41], s[8:9]
	s_delay_alu instid0(SALU_CYCLE_1) | instskip(NEXT) | instid1(SALU_CYCLE_1)
	s_mul_u64 s[42:43], s[42:43], s[22:23]
	s_add_co_i32 s21, s43, s40
	s_delay_alu instid0(SALU_CYCLE_1) | instskip(NEXT) | instid1(SALU_CYCLE_1)
	s_lshr_b32 s21, s21, s13
	s_mul_i32 s24, s21, s14
	s_delay_alu instid0(SALU_CYCLE_1) | instskip(SKIP_3) | instid1(SALU_CYCLE_1)
	s_cmp_eq_u32 s24, s40
	s_cselect_b32 s24, -1, 0
	s_cmp_lt_u32 s21, s12
	s_cselect_b32 s21, -1, 0
	s_or_b32 s21, s21, s24
	s_mov_b32 s24, -1
	s_and_b32 vcc_lo, exec_lo, s21
	s_mov_b32 s21, s36
	s_cbranch_vccnz .LBB61_16
; %bb.15:                               ;   in Loop: Header=BB61_9 Depth=1
	s_add_co_i32 s21, s36, -1
	s_mov_b32 s24, 0
	s_mov_b32 s29, s40
.LBB61_16:                              ;   in Loop: Header=BB61_9 Depth=1
	v_lshl_add_u32 v4, s36, 11, v6
	s_mul_f32 s40, s33, 0x3fb8aa3b
	s_mul_f32 s38, s37, 0x3fb8aa3b
	s_delay_alu instid0(SALU_CYCLE_2)
	s_xor_b32 s42, s40, 0x80000000
	global_load_b32 v5, v4, s[26:27] scale_offset
	s_fmamk_f32 s42, s33, 0x3fb8aa3b, s42
	s_rndne_f32 s44, s40
	s_xor_b32 s41, s38, 0x80000000
	s_rndne_f32 s43, s38
	s_fmamk_f32 s33, s33, 0x32a5705f, s42
	s_sub_f32 s40, s40, s44
	s_fmamk_f32 s41, s37, 0x3fb8aa3b, s41
	s_sub_f32 s38, s38, s43
	s_delay_alu instid0(SALU_CYCLE_1) | instskip(NEXT) | instid1(SALU_CYCLE_1)
	s_add_f32 s33, s40, s33
	s_fmamk_f32 s37, s37, 0x32a5705f, s41
	s_cvt_i32_f32 s40, s44
	s_delay_alu instid0(SALU_CYCLE_1) | instskip(NEXT) | instid1(SALU_CYCLE_1)
	v_s_exp_f32 s33, s33
	s_add_f32 s37, s38, s37
	s_cvt_i32_f32 s38, s43
	s_delay_alu instid0(SALU_CYCLE_2) | instskip(NEXT) | instid1(TRANS32_DEP_2)
	v_s_exp_f32 s37, s37
	v_ldexp_f32 v8, s33, s40
	s_wait_xcnt 0x0
	s_delay_alu instid0(TRANS32_DEP_1) | instskip(NEXT) | instid1(VALU_DEP_2)
	v_ldexp_f32 v4, s37, s38
	v_cndmask_b32_e64 v8, 0, v8, s1
	s_delay_alu instid0(VALU_DEP_1) | instskip(NEXT) | instid1(VALU_DEP_1)
	v_cndmask_b32_e64 v9, 0x7f800000, v8, s2
	v_dual_cndmask_b32 v4, 0, v4, s3 :: v_dual_cndmask_b32 v10, 0, v9, s0
	s_delay_alu instid0(VALU_DEP_1) | instskip(NEXT) | instid1(VALU_DEP_1)
	v_cndmask_b32_e64 v4, 0x7f800000, v4, s4
	v_dual_cndmask_b32 v8, 0, v4, s5 :: v_dual_mov_b32 v4, s39
	s_wait_loadcnt 0x0
	s_delay_alu instid0(VALU_DEP_1) | instskip(NEXT) | instid1(VALU_DEP_1)
	v_pk_mul_f32 v[4:5], v[4:5], v[8:9] op_sel_hi:[1,0]
	v_pk_fma_f32 v[4:5], v[0:1], v[10:11], v[4:5] op_sel_hi:[1,0,1]
	s_cbranch_execz .LBB61_19
.LBB61_17:                              ;   in Loop: Header=BB61_9 Depth=1
	s_and_not1_b32 vcc_lo, exec_lo, s24
	s_cbranch_vccnz .LBB61_20
	s_branch .LBB61_23
.LBB61_18:                              ;   in Loop: Header=BB61_9 Depth=1
	s_and_not1_b32 vcc_lo, exec_lo, s0
	s_cbranch_vccnz .LBB61_17
.LBB61_19:                              ;   in Loop: Header=BB61_9 Depth=1
	s_wait_loadcnt 0x0
	v_mov_b64_e32 v[4:5], v[0:1]
	s_add_co_i32 s21, s36, -1
	s_mov_b32 s29, s20
	s_mov_b32 s17, s28
	s_cbranch_execz .LBB61_23
.LBB61_20:                              ;   in Loop: Header=BB61_9 Depth=1
	s_wait_loadcnt 0x0
	s_delay_alu instid0(VALU_DEP_1)
	v_mov_b64_e32 v[0:1], v[4:5]
	s_mov_b32 s20, s29
	s_mov_b32 s36, s21
	;; [unrolled: 1-line block ×3, first 2 shown]
	s_branch .LBB61_9
.LBB61_21:
                                        ; implicit-def: $sgpr20_sgpr21
	s_branch .LBB61_2
.LBB61_22:
                                        ; implicit-def: $sgpr24_sgpr25
	s_load_b96 s[12:14], s[0:1], 0x44
	s_branch .LBB61_5
.LBB61_23:
	s_delay_alu instid0(VALU_DEP_1) | instskip(SKIP_1) | instid1(VALU_DEP_1)
	v_div_scale_f32 v0, null, v4, v4, v5
	s_wait_loadcnt 0x0
	v_rcp_f32_e32 v1, v0
	v_nop
	s_delay_alu instid0(TRANS32_DEP_1) | instskip(NEXT) | instid1(VALU_DEP_1)
	v_fma_f32 v6, -v0, v1, 1.0
	v_fmac_f32_e32 v1, v6, v1
	v_div_scale_f32 v6, vcc_lo, v5, v4, v5
	s_delay_alu instid0(VALU_DEP_1) | instskip(NEXT) | instid1(VALU_DEP_1)
	v_mul_f32_e32 v7, v6, v1
	v_fma_f32 v8, -v0, v7, v6
	s_delay_alu instid0(VALU_DEP_1) | instskip(NEXT) | instid1(VALU_DEP_1)
	v_fmac_f32_e32 v7, v8, v1
	v_fma_f32 v0, -v0, v7, v6
	s_delay_alu instid0(VALU_DEP_1) | instskip(NEXT) | instid1(VALU_DEP_1)
	v_div_fmas_f32 v0, v0, v1, v7
	v_div_fixup_f32 v0, v0, v4, v5
	global_store_b32 v[2:3], v0, off
.LBB61_24:
	s_endpgm
	.section	.rodata,"a",@progbits
	.p2align	6, 0x0
	.amdhsa_kernel _ZL33flash_attn_stream_k_fixup_generalILi128ELi16ELi1EEvPfPK15HIP_vector_typeIfLj2EEiiiiS1_IjLj3EES5_S5_S5_
		.amdhsa_group_segment_fixed_size 0
		.amdhsa_private_segment_fixed_size 0
		.amdhsa_kernarg_size 336
		.amdhsa_user_sgpr_count 2
		.amdhsa_user_sgpr_dispatch_ptr 0
		.amdhsa_user_sgpr_queue_ptr 0
		.amdhsa_user_sgpr_kernarg_segment_ptr 1
		.amdhsa_user_sgpr_dispatch_id 0
		.amdhsa_user_sgpr_kernarg_preload_length 0
		.amdhsa_user_sgpr_kernarg_preload_offset 0
		.amdhsa_user_sgpr_private_segment_size 0
		.amdhsa_wavefront_size32 1
		.amdhsa_uses_dynamic_stack 0
		.amdhsa_enable_private_segment 0
		.amdhsa_system_sgpr_workgroup_id_x 1
		.amdhsa_system_sgpr_workgroup_id_y 1
		.amdhsa_system_sgpr_workgroup_id_z 1
		.amdhsa_system_sgpr_workgroup_info 0
		.amdhsa_system_vgpr_workitem_id 0
		.amdhsa_next_free_vgpr 12
		.amdhsa_next_free_sgpr 46
		.amdhsa_named_barrier_count 0
		.amdhsa_reserve_vcc 1
		.amdhsa_float_round_mode_32 0
		.amdhsa_float_round_mode_16_64 0
		.amdhsa_float_denorm_mode_32 3
		.amdhsa_float_denorm_mode_16_64 3
		.amdhsa_fp16_overflow 0
		.amdhsa_memory_ordered 1
		.amdhsa_forward_progress 1
		.amdhsa_inst_pref_size 27
		.amdhsa_round_robin_scheduling 0
		.amdhsa_exception_fp_ieee_invalid_op 0
		.amdhsa_exception_fp_denorm_src 0
		.amdhsa_exception_fp_ieee_div_zero 0
		.amdhsa_exception_fp_ieee_overflow 0
		.amdhsa_exception_fp_ieee_underflow 0
		.amdhsa_exception_fp_ieee_inexact 0
		.amdhsa_exception_int_div_zero 0
	.end_amdhsa_kernel
	.section	.text._ZL33flash_attn_stream_k_fixup_generalILi128ELi16ELi1EEvPfPK15HIP_vector_typeIfLj2EEiiiiS1_IjLj3EES5_S5_S5_,"axG",@progbits,_ZL33flash_attn_stream_k_fixup_generalILi128ELi16ELi1EEvPfPK15HIP_vector_typeIfLj2EEiiiiS1_IjLj3EES5_S5_S5_,comdat
.Lfunc_end61:
	.size	_ZL33flash_attn_stream_k_fixup_generalILi128ELi16ELi1EEvPfPK15HIP_vector_typeIfLj2EEiiiiS1_IjLj3EES5_S5_S5_, .Lfunc_end61-_ZL33flash_attn_stream_k_fixup_generalILi128ELi16ELi1EEvPfPK15HIP_vector_typeIfLj2EEiiiiS1_IjLj3EES5_S5_S5_
                                        ; -- End function
	.set _ZL33flash_attn_stream_k_fixup_generalILi128ELi16ELi1EEvPfPK15HIP_vector_typeIfLj2EEiiiiS1_IjLj3EES5_S5_S5_.num_vgpr, 12
	.set _ZL33flash_attn_stream_k_fixup_generalILi128ELi16ELi1EEvPfPK15HIP_vector_typeIfLj2EEiiiiS1_IjLj3EES5_S5_S5_.num_agpr, 0
	.set _ZL33flash_attn_stream_k_fixup_generalILi128ELi16ELi1EEvPfPK15HIP_vector_typeIfLj2EEiiiiS1_IjLj3EES5_S5_S5_.numbered_sgpr, 46
	.set _ZL33flash_attn_stream_k_fixup_generalILi128ELi16ELi1EEvPfPK15HIP_vector_typeIfLj2EEiiiiS1_IjLj3EES5_S5_S5_.num_named_barrier, 0
	.set _ZL33flash_attn_stream_k_fixup_generalILi128ELi16ELi1EEvPfPK15HIP_vector_typeIfLj2EEiiiiS1_IjLj3EES5_S5_S5_.private_seg_size, 0
	.set _ZL33flash_attn_stream_k_fixup_generalILi128ELi16ELi1EEvPfPK15HIP_vector_typeIfLj2EEiiiiS1_IjLj3EES5_S5_S5_.uses_vcc, 1
	.set _ZL33flash_attn_stream_k_fixup_generalILi128ELi16ELi1EEvPfPK15HIP_vector_typeIfLj2EEiiiiS1_IjLj3EES5_S5_S5_.uses_flat_scratch, 0
	.set _ZL33flash_attn_stream_k_fixup_generalILi128ELi16ELi1EEvPfPK15HIP_vector_typeIfLj2EEiiiiS1_IjLj3EES5_S5_S5_.has_dyn_sized_stack, 0
	.set _ZL33flash_attn_stream_k_fixup_generalILi128ELi16ELi1EEvPfPK15HIP_vector_typeIfLj2EEiiiiS1_IjLj3EES5_S5_S5_.has_recursion, 0
	.set _ZL33flash_attn_stream_k_fixup_generalILi128ELi16ELi1EEvPfPK15HIP_vector_typeIfLj2EEiiiiS1_IjLj3EES5_S5_S5_.has_indirect_call, 0
	.section	.AMDGPU.csdata,"",@progbits
; Kernel info:
; codeLenInByte = 3352
; TotalNumSgprs: 48
; NumVgprs: 12
; ScratchSize: 0
; MemoryBound: 0
; FloatMode: 240
; IeeeMode: 1
; LDSByteSize: 0 bytes/workgroup (compile time only)
; SGPRBlocks: 0
; VGPRBlocks: 0
; NumSGPRsForWavesPerEU: 48
; NumVGPRsForWavesPerEU: 12
; NamedBarCnt: 0
; Occupancy: 16
; WaveLimiterHint : 0
; COMPUTE_PGM_RSRC2:SCRATCH_EN: 0
; COMPUTE_PGM_RSRC2:USER_SGPR: 2
; COMPUTE_PGM_RSRC2:TRAP_HANDLER: 0
; COMPUTE_PGM_RSRC2:TGID_X_EN: 1
; COMPUTE_PGM_RSRC2:TGID_Y_EN: 1
; COMPUTE_PGM_RSRC2:TGID_Z_EN: 1
; COMPUTE_PGM_RSRC2:TIDIG_COMP_CNT: 0
	.section	.text._ZL15flash_attn_tileILi128ELi128ELi8ELi1ELb0EEvPKcS1_S1_S1_S1_PKiPfP15HIP_vector_typeIfLj2EEffffjfiS5_IjLj3EEiiiiiiiiiiiliiliiiiil,"axG",@progbits,_ZL15flash_attn_tileILi128ELi128ELi8ELi1ELb0EEvPKcS1_S1_S1_S1_PKiPfP15HIP_vector_typeIfLj2EEffffjfiS5_IjLj3EEiiiiiiiiiiiliiliiiiil,comdat
	.globl	_ZL15flash_attn_tileILi128ELi128ELi8ELi1ELb0EEvPKcS1_S1_S1_S1_PKiPfP15HIP_vector_typeIfLj2EEffffjfiS5_IjLj3EEiiiiiiiiiiiliiliiiiil ; -- Begin function _ZL15flash_attn_tileILi128ELi128ELi8ELi1ELb0EEvPKcS1_S1_S1_S1_PKiPfP15HIP_vector_typeIfLj2EEffffjfiS5_IjLj3EEiiiiiiiiiiiliiliiiiil
	.p2align	8
	.type	_ZL15flash_attn_tileILi128ELi128ELi8ELi1ELb0EEvPKcS1_S1_S1_S1_PKiPfP15HIP_vector_typeIfLj2EEffffjfiS5_IjLj3EEiiiiiiiiiiiliiliiiiil,@function
_ZL15flash_attn_tileILi128ELi128ELi8ELi1ELb0EEvPKcS1_S1_S1_S1_PKiPfP15HIP_vector_typeIfLj2EEffffjfiS5_IjLj3EEiiiiiiiiiiiliiliiiiil: ; @_ZL15flash_attn_tileILi128ELi128ELi8ELi1ELb0EEvPKcS1_S1_S1_S1_PKiPfP15HIP_vector_typeIfLj2EEffffjfiS5_IjLj3EEiiiiiiiiiiiliiliiiiil
; %bb.0:
	s_clause 0x1
	s_load_b128 s[20:23], s[0:1], 0x5c
	s_load_b64 s[2:3], s[0:1], 0x80
	s_bfe_u32 s6, ttmp6, 0x40014
	s_lshr_b32 s5, ttmp7, 16
	s_add_co_i32 s6, s6, 1
	s_bfe_u32 s7, ttmp6, 0x40008
	s_mul_i32 s6, s5, s6
	s_getreg_b32 s40, hwreg(HW_REG_IB_STS2, 6, 4)
	s_add_co_i32 s7, s7, s6
	s_load_b64 s[38:39], s[0:1], 0xb8
	s_mov_b32 s37, 0
	s_mov_b64 s[30:31], 0
	s_wait_kmcnt 0x0
	s_cvt_f32_u32 s4, s23
	s_sub_co_i32 s8, 0, s23
	s_delay_alu instid0(SALU_CYCLE_2) | instskip(SKIP_1) | instid1(TRANS32_DEP_1)
	v_rcp_iflag_f32_e32 v1, s4
	v_nop
	v_readfirstlane_b32 s4, v1
	s_mul_f32 s4, s4, 0x4f7ffffe
	s_delay_alu instid0(SALU_CYCLE_3) | instskip(NEXT) | instid1(SALU_CYCLE_3)
	s_cvt_u32_f32 s4, s4
	s_mul_i32 s8, s8, s4
	s_delay_alu instid0(SALU_CYCLE_1) | instskip(NEXT) | instid1(SALU_CYCLE_1)
	s_mul_hi_u32 s8, s4, s8
	s_add_co_i32 s4, s4, s8
	s_cmp_eq_u32 s40, 0
	s_cselect_b32 s5, s5, s7
	s_delay_alu instid0(SALU_CYCLE_1) | instskip(NEXT) | instid1(SALU_CYCLE_1)
	s_mul_hi_u32 s4, s5, s4
	s_mul_i32 s6, s4, s23
	s_add_co_i32 s7, s4, 1
	s_sub_co_i32 s6, s5, s6
	s_delay_alu instid0(SALU_CYCLE_1)
	s_sub_co_i32 s8, s6, s23
	s_cmp_ge_u32 s6, s23
	s_cselect_b32 s4, s7, s4
	s_cselect_b32 s6, s8, s6
	s_add_co_i32 s7, s4, 1
	s_cmp_ge_u32 s6, s23
	s_cselect_b32 s28, s7, s4
	s_abs_i32 s4, s3
	s_mul_i32 s8, s28, s23
	s_cvt_f32_u32 s6, s4
	s_sub_co_i32 s7, 0, s4
	s_abs_i32 s9, s23
	s_sub_co_i32 s33, s5, s8
	v_rcp_iflag_f32_e32 v1, s6
	s_xor_b32 s3, s23, s3
	s_delay_alu instid0(SALU_CYCLE_1) | instskip(SKIP_1) | instid1(TRANS32_DEP_1)
	s_ashr_i32 s3, s3, 31
	v_nop
	v_readfirstlane_b32 s6, v1
	s_mul_f32 s6, s6, 0x4f7ffffe
	s_delay_alu instid0(SALU_CYCLE_3) | instskip(NEXT) | instid1(SALU_CYCLE_3)
	s_cvt_u32_f32 s6, s6
	s_mul_i32 s7, s7, s6
	s_delay_alu instid0(SALU_CYCLE_1) | instskip(NEXT) | instid1(SALU_CYCLE_1)
	s_mul_hi_u32 s7, s6, s7
	s_add_co_i32 s6, s6, s7
	s_delay_alu instid0(SALU_CYCLE_1) | instskip(NEXT) | instid1(SALU_CYCLE_1)
	s_mul_hi_u32 s5, s9, s6
	s_mul_i32 s6, s5, s4
	s_add_co_i32 s7, s5, 1
	s_sub_co_i32 s6, s9, s6
	s_delay_alu instid0(SALU_CYCLE_1)
	s_sub_co_i32 s8, s6, s4
	s_cmp_ge_u32 s6, s4
	s_cselect_b32 s5, s7, s5
	s_cselect_b32 s6, s8, s6
	s_add_co_i32 s7, s5, 1
	s_cmp_ge_u32 s6, s4
	s_cselect_b32 s4, s7, s5
	s_abs_i32 s36, s33
	s_xor_b32 s4, s4, s3
	s_delay_alu instid0(SALU_CYCLE_1) | instskip(NEXT) | instid1(SALU_CYCLE_1)
	s_sub_co_i32 s29, s4, s3
	s_abs_i32 s3, s29
	s_delay_alu instid0(SALU_CYCLE_1) | instskip(SKIP_1) | instid1(SALU_CYCLE_2)
	s_cvt_f32_u32 s4, s3
	s_sub_co_i32 s25, 0, s3
	v_rcp_iflag_f32_e32 v1, s4
	s_load_b512 s[4:19], s[0:1], 0x0
	v_nop
	s_delay_alu instid0(TRANS32_DEP_1) | instskip(SKIP_1) | instid1(SALU_CYCLE_3)
	v_readfirstlane_b32 s24, v1
	s_mul_f32 s24, s24, 0x4f7ffffe
	s_cvt_u32_f32 s24, s24
	s_delay_alu instid0(SALU_CYCLE_3) | instskip(NEXT) | instid1(SALU_CYCLE_1)
	s_mul_i32 s25, s25, s24
	s_mul_hi_u32 s25, s24, s25
	s_delay_alu instid0(SALU_CYCLE_1)
	s_add_co_i32 s34, s24, s25
	s_wait_kmcnt 0x0
	s_cmp_eq_u64 s[10:11], 0
	s_cbranch_scc1 .LBB62_2
; %bb.1:
	s_abs_i32 s26, s38
	s_abs_i32 s27, s28
	s_cvt_f32_u32 s24, s26
	s_sub_co_i32 s25, 0, s26
	s_delay_alu instid0(SALU_CYCLE_2) | instskip(SKIP_1) | instid1(TRANS32_DEP_1)
	v_rcp_iflag_f32_e32 v1, s24
	v_nop
	v_readfirstlane_b32 s24, v1
	s_mul_f32 s24, s24, 0x4f7ffffe
	s_delay_alu instid0(SALU_CYCLE_3) | instskip(NEXT) | instid1(SALU_CYCLE_3)
	s_cvt_u32_f32 s24, s24
	s_mul_i32 s25, s25, s24
	s_delay_alu instid0(SALU_CYCLE_1) | instskip(NEXT) | instid1(SALU_CYCLE_1)
	s_mul_hi_u32 s25, s24, s25
	s_add_co_i32 s24, s24, s25
	s_delay_alu instid0(SALU_CYCLE_1) | instskip(SKIP_2) | instid1(SALU_CYCLE_1)
	s_mul_hi_u32 s30, s27, s24
	s_load_b64 s[24:25], s[0:1], 0xc8
	s_mul_i32 s30, s30, s26
	s_sub_co_i32 s27, s27, s30
	s_ashr_i32 s30, s28, 31
	s_sub_co_i32 s31, s27, s26
	s_cmp_ge_u32 s27, s26
	s_cselect_b32 s27, s31, s27
	s_delay_alu instid0(SALU_CYCLE_1) | instskip(SKIP_2) | instid1(SALU_CYCLE_1)
	s_sub_co_i32 s31, s27, s26
	s_cmp_ge_u32 s27, s26
	s_cselect_b32 s26, s31, s27
	s_xor_b32 s26, s26, s30
	s_delay_alu instid0(SALU_CYCLE_1) | instskip(NEXT) | instid1(SALU_CYCLE_1)
	s_sub_co_i32 s26, s26, s30
	s_ashr_i32 s27, s26, 31
	s_wait_kmcnt 0x0
	s_mul_u64 s[24:25], s[24:25], s[26:27]
	s_delay_alu instid0(SALU_CYCLE_1)
	s_add_nc_u64 s[30:31], s[10:11], s[24:25]
.LBB62_2:
	s_clause 0x1
	s_load_b128 s[24:27], s[0:1], 0x40
	s_load_b32 s10, s[0:1], 0x50
	v_mov_b32_e32 v54, 1.0
	s_mov_b32 s35, s37
	s_wait_kmcnt 0x0
	s_cmp_le_f32 s25, 0
	s_cbranch_scc1 .LBB62_4
; %bb.3:
	v_sub_co_u32 v1, s10, s33, s10
	s_and_b32 s25, s10, exec_lo
	s_cselect_b32 s25, s26, s27
	s_add_co_i32 s26, s33, 1
	v_readfirstlane_b32 s11, v1
	s_lshl_b32 s11, s11, 1
	s_delay_alu instid0(SALU_CYCLE_1) | instskip(SKIP_4) | instid1(SALU_CYCLE_3)
	s_or_b32 s11, s11, 1
	s_and_b32 s10, s10, exec_lo
	s_cselect_b32 s10, s26, s11
	s_cmp_neq_f32 s25, 1.0
	s_cvt_f32_i32 s10, s10
	s_cselect_b32 s11, s10, 1.0
	s_delay_alu instid0(SALU_CYCLE_1) | instskip(SKIP_1) | instid1(SALU_CYCLE_1)
	s_cmp_neq_f32 s11, 0
	s_cselect_b32 s10, s25, 1.0
	v_cvt_f64_f32_e64 v[2:3], |s10|
	s_delay_alu instid0(VALU_DEP_1) | instskip(SKIP_1) | instid1(VALU_DEP_1)
	v_frexp_exp_i32_f64_e32 v1, v[2:3]
	v_frexp_mant_f32_e64 v2, |s10|
	v_readfirstlane_b32 s25, v2
	s_cmp_lt_f32 s25, 0x3f2aaaab
	s_cselect_b32 vcc_lo, -1, 0
	s_delay_alu instid0(SALU_CYCLE_1) | instskip(SKIP_1) | instid1(SALU_CYCLE_1)
	s_and_b32 s26, vcc_lo, exec_lo
	s_cselect_b32 s26, 2.0, 1.0
	s_mul_f32 s25, s25, s26
	s_delay_alu instid0(SALU_CYCLE_3) | instskip(SKIP_1) | instid1(SALU_CYCLE_2)
	s_add_f32 s26, s25, 1.0
	s_add_f32 s38, s25, -1.0
	v_s_rcp_f32 s27, s26
	s_add_f32 s43, s26, -1.0
	v_subrev_co_ci_u32_e64 v1, null, 0, v1, vcc_lo
	s_delay_alu instid0(SALU_CYCLE_2) | instskip(NEXT) | instid1(TRANS32_DEP_1)
	s_sub_f32 s25, s25, s43
	s_mul_f32 s41, s38, s27
	v_cvt_f32_i32_e32 v1, v1
	s_delay_alu instid0(SALU_CYCLE_2) | instskip(NEXT) | instid1(SALU_CYCLE_3)
	s_mul_f32 s42, s26, s41
	v_dual_mov_b32 v3, s38 :: v_dual_mov_b32 v4, s42
	s_xor_b32 s44, s42, 0x80000000
	s_delay_alu instid0(SALU_CYCLE_1) | instskip(NEXT) | instid1(SALU_CYCLE_3)
	s_fmac_f32 s44, s41, s26
	s_fmac_f32 s44, s41, s25
	s_delay_alu instid0(SALU_CYCLE_3) | instskip(NEXT) | instid1(SALU_CYCLE_3)
	s_add_f32 s25, s42, s44
	v_dual_mov_b32 v6, s44 :: v_dual_mov_b32 v7, s25
	s_sub_f32 s26, s38, s25
	s_delay_alu instid0(SALU_CYCLE_3) | instskip(NEXT) | instid1(VALU_DEP_1)
	v_dual_mov_b32 v2, s25 :: v_dual_mov_b32 v5, s26
	v_pk_add_f32 v[2:3], v[2:3], v[4:5] neg_lo:[0,1] neg_hi:[0,1]
	s_delay_alu instid0(VALU_DEP_1) | instskip(NEXT) | instid1(VALU_DEP_1)
	v_pk_add_f32 v[2:3], v[2:3], v[6:7] neg_lo:[0,1] neg_hi:[0,1]
	v_readfirstlane_b32 s25, v3
	s_delay_alu instid0(VALU_DEP_2) | instskip(SKIP_1) | instid1(SALU_CYCLE_3)
	v_readfirstlane_b32 s38, v2
	s_add_f32 s25, s38, s25
	s_add_f32 s25, s26, s25
	s_delay_alu instid0(SALU_CYCLE_3) | instskip(NEXT) | instid1(SALU_CYCLE_3)
	s_mul_f32 s25, s27, s25
	s_add_f32 s26, s41, s25
	s_delay_alu instid0(SALU_CYCLE_3) | instskip(SKIP_1) | instid1(SALU_CYCLE_2)
	s_sub_f32 s27, s26, s41
	s_mul_f32 s38, s26, s26
	s_sub_f32 s25, s25, s27
	s_delay_alu instid0(SALU_CYCLE_2) | instskip(NEXT) | instid1(SALU_CYCLE_1)
	s_xor_b32 s27, s38, 0x80000000
	s_fmac_f32 s27, s26, s26
	s_delay_alu instid0(SALU_CYCLE_1) | instskip(NEXT) | instid1(SALU_CYCLE_3)
	s_add_f32 s41, s25, s25
	s_fmac_f32 s27, s26, s41
	s_mov_b32 s41, 0x3e76c4e1
	s_delay_alu instid0(SALU_CYCLE_2) | instskip(NEXT) | instid1(SALU_CYCLE_3)
	s_add_f32 s42, s38, s27
	s_fmaak_f32 s41, s42, s41, 0x3e91f4c4
	s_sub_f32 s38, s42, s38
	s_delay_alu instid0(SALU_CYCLE_2) | instskip(NEXT) | instid1(SALU_CYCLE_2)
	s_fmaak_f32 s41, s42, s41, 0x3ecccdef
	s_sub_f32 s38, s27, s38
	s_delay_alu instid0(SALU_CYCLE_2) | instskip(NEXT) | instid1(SALU_CYCLE_3)
	s_mul_f32 s43, s42, s41
	s_xor_b32 s44, s43, 0x80000000
	s_delay_alu instid0(SALU_CYCLE_1) | instskip(NEXT) | instid1(SALU_CYCLE_3)
	s_fmac_f32 s44, s42, s41
	s_fmac_f32 s44, s38, s41
	s_delay_alu instid0(SALU_CYCLE_3) | instskip(NEXT) | instid1(SALU_CYCLE_3)
	s_add_f32 s41, s43, s44
	s_sub_f32 s27, s41, s43
	s_add_f32 s45, s41, 0x3f2aaaaa
	s_delay_alu instid0(SALU_CYCLE_2) | instskip(NEXT) | instid1(SALU_CYCLE_2)
	s_sub_f32 s27, s44, s27
	s_add_f32 s43, s45, 0xbf2aaaaa
	s_delay_alu instid0(SALU_CYCLE_2) | instskip(NEXT) | instid1(SALU_CYCLE_2)
	s_add_f32 s27, s27, 0x31739010
	s_sub_f32 s43, s41, s43
	s_delay_alu instid0(SALU_CYCLE_2) | instskip(NEXT) | instid1(SALU_CYCLE_2)
	v_mov_b64_e32 v[2:3], s[26:27]
	v_mov_b64_e32 v[4:5], s[42:43]
	s_delay_alu instid0(VALU_DEP_1) | instskip(SKIP_2) | instid1(VALU_DEP_3)
	v_pk_mul_f32 v[6:7], v[2:3], v[4:5]
	v_pk_add_f32 v[2:3], v[2:3], v[4:5]
	v_mov_b32_e32 v9, s45
	v_xor_b32_e32 v8, 0x80000000, v6
	s_delay_alu instid0(VALU_DEP_3) | instskip(NEXT) | instid1(VALU_DEP_2)
	v_mov_b32_e32 v7, v3
	v_fmac_f32_e64 v8, s42, s26
	s_delay_alu instid0(VALU_DEP_1) | instskip(NEXT) | instid1(VALU_DEP_1)
	v_fmac_f32_e64 v8, s42, s25
	v_fmac_f32_e64 v8, s38, s26
	s_delay_alu instid0(VALU_DEP_1) | instskip(NEXT) | instid1(VALU_DEP_1)
	v_pk_add_f32 v[4:5], v[6:7], v[8:9]
	v_dual_mov_b32 v2, v5 :: v_dual_sub_f32 v7, s45, v5
	v_mul_f32_e32 v12, 0x3f317218, v1
	s_delay_alu instid0(VALU_DEP_2) | instskip(NEXT) | instid1(VALU_DEP_3)
	v_pk_mul_f32 v[10:11], v[4:5], v[2:3]
	v_add_f32_e32 v3, v3, v7
	s_delay_alu instid0(VALU_DEP_3) | instskip(NEXT) | instid1(VALU_DEP_3)
	v_xor_b32_e32 v7, 0x80000000, v12
	v_xor_b32_e32 v2, 0x80000000, v10
	s_delay_alu instid0(VALU_DEP_2) | instskip(NEXT) | instid1(VALU_DEP_2)
	v_dual_sub_f32 v6, v4, v6 :: v_dual_fmac_f32 v7, 0x3f317218, v1
	v_fmac_f32_e32 v2, v4, v5
	s_delay_alu instid0(VALU_DEP_2) | instskip(NEXT) | instid1(VALU_DEP_2)
	v_sub_f32_e32 v6, v8, v6
	v_fmac_f32_e32 v2, v4, v3
	s_delay_alu instid0(VALU_DEP_1) | instskip(SKIP_3) | instid1(VALU_DEP_2)
	v_fmac_f32_e32 v2, v6, v5
	v_fmamk_f32 v4, v1, 0xb102e308, v7
	v_ldexp_f32 v5, s26, 1
	v_ldexp_f32 v1, s25, 1
	v_dual_add_f32 v13, v10, v2 :: v_dual_mov_b32 v11, v5
	s_delay_alu instid0(VALU_DEP_1) | instskip(SKIP_1) | instid1(VALU_DEP_2)
	v_pk_add_f32 v[6:7], v[12:13], v[4:5]
	v_dual_mov_b32 v8, v13 :: v_dual_mov_b32 v3, v13
	v_dual_mov_b32 v9, v7 :: v_dual_mov_b32 v5, v6
	v_mov_b32_e32 v14, v7
	s_delay_alu instid0(VALU_DEP_2) | instskip(NEXT) | instid1(VALU_DEP_1)
	v_pk_add_f32 v[8:9], v[8:9], v[10:11] neg_lo:[0,1] neg_hi:[0,1]
	v_pk_add_f32 v[2:3], v[2:3], v[8:9] neg_lo:[0,1] neg_hi:[0,1]
	s_delay_alu instid0(VALU_DEP_1) | instskip(NEXT) | instid1(VALU_DEP_1)
	v_add_f32_e32 v1, v1, v2
	v_add_f32_e32 v13, v1, v3
	s_delay_alu instid0(VALU_DEP_1) | instskip(SKIP_1) | instid1(VALU_DEP_2)
	v_pk_add_f32 v[2:3], v[6:7], v[12:13]
	v_pk_add_f32 v[8:9], v[6:7], v[12:13] neg_lo:[0,1] neg_hi:[0,1]
	v_mov_b32_e32 v9, v3
	s_delay_alu instid0(VALU_DEP_1) | instskip(SKIP_2) | instid1(VALU_DEP_3)
	v_pk_add_f32 v[10:11], v[4:5], v[8:9]
	v_pk_add_f32 v[4:5], v[4:5], v[8:9] neg_lo:[0,1] neg_hi:[0,1]
	v_dual_mov_b32 v16, v3 :: v_dual_mov_b32 v5, v6
	v_dual_mov_b32 v12, v11 :: v_dual_mov_b32 v17, v11
	s_delay_alu instid0(VALU_DEP_3) | instskip(NEXT) | instid1(VALU_DEP_2)
	v_readfirstlane_b32 s25, v4
	v_pk_add_f32 v[8:9], v[12:13], v[6:7] neg_lo:[0,1] neg_hi:[0,1]
	s_delay_alu instid0(VALU_DEP_2) | instskip(NEXT) | instid1(VALU_DEP_2)
	v_dual_mov_b32 v4, v13 :: v_dual_mov_b32 v10, s25
	v_dual_mov_b32 v15, v8 :: v_dual_mov_b32 v1, v8
	s_delay_alu instid0(VALU_DEP_1) | instskip(NEXT) | instid1(VALU_DEP_2)
	v_pk_add_f32 v[6:7], v[16:17], v[14:15] neg_lo:[0,1] neg_hi:[0,1]
	v_pk_add_f32 v[2:3], v[2:3], v[0:1] neg_lo:[0,1] neg_hi:[0,1]
	v_mov_b32_e32 v2, s25
	s_delay_alu instid0(VALU_DEP_3) | instskip(NEXT) | instid1(VALU_DEP_1)
	v_pk_add_f32 v[4:5], v[4:5], v[6:7] neg_lo:[0,1] neg_hi:[0,1]
	v_pk_add_f32 v[2:3], v[2:3], v[4:5]
	s_delay_alu instid0(VALU_DEP_1) | instskip(NEXT) | instid1(VALU_DEP_2)
	v_readfirstlane_b32 s26, v2
	v_mov_b32_e32 v6, v3
	s_delay_alu instid0(VALU_DEP_1) | instskip(NEXT) | instid1(VALU_DEP_3)
	v_pk_add_f32 v[6:7], v[2:3], v[6:7]
	v_mov_b32_e32 v2, s26
	s_delay_alu instid0(VALU_DEP_2) | instskip(SKIP_1) | instid1(VALU_DEP_2)
	v_pk_add_f32 v[8:9], v[12:13], v[6:7]
	v_mov_b32_e32 v5, v6
	v_readfirstlane_b32 s27, v8
	s_delay_alu instid0(VALU_DEP_1) | instskip(NEXT) | instid1(VALU_DEP_1)
	v_mov_b32_e32 v3, s27
	v_pk_add_f32 v[2:3], v[2:3], v[10:11] neg_lo:[0,1] neg_hi:[0,1]
	s_delay_alu instid0(VALU_DEP_1) | instskip(NEXT) | instid1(VALU_DEP_2)
	v_readfirstlane_b32 s38, v2
	v_pk_add_f32 v[2:3], v[4:5], v[2:3] neg_lo:[0,1] neg_hi:[0,1]
	s_sub_f32 s26, s26, s38
	s_delay_alu instid0(VALU_DEP_1) | instskip(NEXT) | instid1(SALU_CYCLE_2)
	v_readfirstlane_b32 s38, v2
	s_sub_f32 s25, s25, s26
	v_readfirstlane_b32 s26, v3
	s_delay_alu instid0(SALU_CYCLE_2) | instskip(NEXT) | instid1(SALU_CYCLE_3)
	s_add_f32 s25, s38, s25
	s_add_f32 s25, s25, s26
	s_delay_alu instid0(SALU_CYCLE_3) | instskip(NEXT) | instid1(SALU_CYCLE_3)
	s_add_f32 s26, s27, s25
	s_mul_f32 s38, s11, s26
	s_sub_f32 s27, s26, s27
	s_delay_alu instid0(SALU_CYCLE_2) | instskip(NEXT) | instid1(SALU_CYCLE_2)
	s_xor_b32 s41, s38, 0x80000000
	s_sub_f32 s25, s25, s27
	s_fmac_f32 s41, s11, s26
	s_delay_alu instid0(SALU_CYCLE_3) | instskip(SKIP_1) | instid1(SALU_CYCLE_2)
	s_fmac_f32 s41, s11, s25
	v_cmp_class_f32_e64 s25, s38, 0x204
	s_add_f32 s26, s38, s41
	s_and_b32 s25, s25, exec_lo
	s_delay_alu instid0(SALU_CYCLE_2) | instskip(SKIP_1) | instid1(SALU_CYCLE_1)
	s_sub_f32 s25, s26, s38
	s_cselect_b32 s26, s38, s26
	s_and_b32 s27, s26, 0x7fffffff
	s_delay_alu instid0(SALU_CYCLE_1) | instskip(SKIP_1) | instid1(SALU_CYCLE_2)
	s_sub_f32 s25, s41, s25
	s_cmp_neq_f32 s27, 0x7f800000
	s_cselect_b32 s25, s25, 0
	s_cmp_eq_f32 s26, 0x42b17218
	s_cselect_b32 s27, 0x37000000, 0
	s_delay_alu instid0(SALU_CYCLE_1) | instskip(SKIP_1) | instid1(SALU_CYCLE_2)
	s_sub_f32 s26, s26, s27
	s_add_f32 s25, s27, s25
	s_mul_f32 s38, s26, 0x3fb8aa3b
	s_delay_alu instid0(SALU_CYCLE_3) | instskip(SKIP_3) | instid1(SALU_CYCLE_1)
	s_xor_b32 s41, s38, 0x80000000
	s_rndne_f32 s42, s38
	s_fmamk_f32 s41, s26, 0x3fb8aa3b, s41
	s_cmp_nlt_f32 s26, 0xc2ce8ed0
	s_sub_f32 s38, s38, s42
	s_delay_alu instid0(SALU_CYCLE_1)
	s_fmamk_f32 s41, s26, 0x32a5705f, s41
	s_cselect_b32 vcc_lo, -1, 0
	s_cmp_ngt_f32 s26, 0x42b17218
	s_trunc_f32 s26, s11
	s_add_f32 s38, s38, s41
	s_cvt_i32_f32 s41, s42
	s_delay_alu instid0(SALU_CYCLE_2)
	v_s_exp_f32 s38, s38
	v_nop
	s_delay_alu instid0(TRANS32_DEP_1) | instid1(SALU_CYCLE_1)
	v_ldexp_f32 v1, s38, s41
	s_mul_f32 s38, s11, 0.5
	s_delay_alu instid0(VALU_DEP_1) | instskip(SKIP_3) | instid1(VALU_DEP_1)
	v_cndmask_b32_e32 v1, 0, v1, vcc_lo
	s_cselect_b32 vcc_lo, -1, 0
	s_cmp_eq_f32 s26, s11
	s_trunc_f32 s41, s38
	v_cndmask_b32_e32 v1, 0x7f800000, v1, vcc_lo
	s_cselect_b32 s42, -1, 0
	s_delay_alu instid0(SALU_CYCLE_1) | instskip(NEXT) | instid1(VALU_DEP_1)
	s_cmp_neq_f32 s41, s38
	v_fma_f32 v2, s25, v1, v1
	v_cmp_class_f32_e64 vcc_lo, v1, 0x204
	s_cselect_b32 s27, -1, 0
	s_delay_alu instid0(SALU_CYCLE_1)
	s_and_b32 s25, s42, s27
	v_cndmask_b32_e32 v1, v2, v1, vcc_lo
	s_and_b32 s27, s25, exec_lo
	s_cselect_b32 s27, s10, 1.0
	s_cmp_eq_f32 s26, s11
	v_cmp_class_f32_e64 s26, s10, 0x204
	v_bfi_b32 v1, 0x7fffffff, v1, s27
	s_cselect_b32 vcc_lo, -1, 0
	s_cmp_lt_f32 s10, 0
	s_delay_alu instid0(VALU_DEP_1) | instskip(SKIP_2) | instid1(VALU_DEP_1)
	v_cndmask_b32_e32 v2, 0x7fc00000, v1, vcc_lo
	s_cselect_b32 vcc_lo, -1, 0
	s_cmp_eq_f32 s10, 0
	v_cndmask_b32_e32 v1, v1, v2, vcc_lo
	s_cselect_b32 s27, -1, 0
	s_delay_alu instid0(SALU_CYCLE_1) | instskip(SKIP_2) | instid1(SALU_CYCLE_1)
	s_or_b32 vcc_lo, s27, s26
	s_cmp_lt_f32 s11, 0
	s_cselect_b32 s11, -1, 0
	s_xor_b32 s11, s11, s27
	s_delay_alu instid0(SALU_CYCLE_1)
	s_and_b32 s11, s11, exec_lo
	s_cselect_b32 s11, 0, 0x7f800000
	s_and_b32 s25, s25, exec_lo
	s_cselect_b32 s25, s10, 0
	s_cmp_o_f32 s10, s10
	v_mov_b32_e32 v2, s25
	s_delay_alu instid0(VALU_DEP_1) | instskip(NEXT) | instid1(VALU_DEP_1)
	v_bfi_b32 v2, 0x7fffffff, s11, v2
	v_cndmask_b32_e32 v1, v1, v2, vcc_lo
	s_cselect_b32 vcc_lo, -1, 0
	s_delay_alu instid0(VALU_DEP_1)
	v_cndmask_b32_e32 v54, 0x7fc00000, v1, vcc_lo
.LBB62_4:
	s_bfe_u32 s11, ttmp6, 0x4000c
	s_and_b32 s25, ttmp6, 15
	s_add_co_i32 s11, s11, 1
	s_ashr_i32 s10, s33, 31
	s_mul_i32 s26, ttmp9, s11
	v_bfe_u32 v53, v0, 10, 10
	s_ashr_i32 s11, s29, 31
	s_add_co_i32 s25, s25, s26
	s_cmp_eq_u32 s40, 0
	s_load_b96 s[44:46], s[0:1], 0x70
	s_cselect_b32 s25, ttmp9, s25
	v_and_b32_e32 v12, 0x3ff, v0
	s_lshl_b32 s38, s25, 3
	v_dual_mov_b32 v19, 0 :: v_dual_lshlrev_b32 v48, 1, v53
	s_delay_alu instid0(VALU_DEP_2) | instskip(NEXT) | instid1(VALU_DEP_2)
	v_dual_lshlrev_b32 v18, 4, v12 :: v_dual_lshlrev_b32 v52, 3, v12
	v_or_b32_e32 v46, 1, v48
	s_delay_alu instid0(VALU_DEP_1) | instskip(NEXT) | instid1(VALU_DEP_1)
	v_dual_add_nc_u32 v47, s38, v46 :: v_dual_add_nc_u32 v50, s38, v48
	v_mul_hi_u32 v2, v47, s20
	s_delay_alu instid0(VALU_DEP_2)
	v_mul_hi_u32 v1, v50, s20
	s_wait_kmcnt 0x0
	s_mul_i32 s26, s28, s46
	s_mul_i32 s42, s33, s45
	s_ashr_i32 s27, s26, 31
	s_ashr_i32 s43, s42, 31
	s_add_nc_u64 s[4:5], s[4:5], s[26:27]
	s_ashr_i32 s45, s44, 31
	s_add_nc_u64 s[4:5], s[4:5], s[42:43]
	s_lshr_b64 s[26:27], s[44:45], 2
	s_cmp_eq_u64 s[14:15], 0
	v_dual_add_nc_u32 v2, v47, v2 :: v_dual_add_nc_u32 v1, v50, v1
	s_delay_alu instid0(VALU_DEP_1) | instskip(NEXT) | instid1(VALU_DEP_1)
	v_dual_lshrrev_b32 v0, s21, v2 :: v_dual_lshrrev_b32 v1, s21, v1
	v_mul_lo_u32 v2, v0, s22
	s_delay_alu instid0(VALU_DEP_2) | instskip(NEXT) | instid1(VALU_DEP_1)
	v_mul_lo_u32 v1, v1, s22
	v_dual_mov_b32 v23, v19 :: v_dual_sub_nc_u32 v22, v50, v1
	v_add_nc_u64_e32 v[0:1], s[4:5], v[18:19]
	s_delay_alu instid0(VALU_DEP_4) | instskip(SKIP_3) | instid1(VALU_DEP_2)
	v_sub_nc_u32_e32 v18, v47, v2
	s_mul_u64 s[4:5], s[36:37], s[34:35]
	s_mov_b32 s35, 0
	v_mul_u64_e32 v[2:3], s[26:27], v[22:23]
	v_mul_u64_e32 v[4:5], s[26:27], v[18:19]
	s_delay_alu instid0(VALU_DEP_2) | instskip(NEXT) | instid1(VALU_DEP_2)
	v_lshl_add_u64 v[8:9], v[2:3], 2, v[0:1]
	v_lshl_add_u64 v[10:11], v[4:5], 2, v[0:1]
	s_clause 0x1
	global_load_b128 v[0:3], v[8:9], off
	global_load_b128 v[4:7], v[10:11], off
	s_wait_xcnt 0x1
	v_add_nc_u32_e32 v8, 0x2400, v52
	s_wait_loadcnt 0x1
	v_fma_mixlo_f16 v0, s24, v0, 0
	v_fma_mixlo_f16 v1, s24, v1, 0
	s_wait_loadcnt 0x0
	v_fma_mixlo_f16 v4, s24, v4, 0
	v_fma_mixlo_f16 v5, s24, v5, 0
	v_fma_mixlo_f16 v2, s24, v2, 0
	v_fma_mixlo_f16 v3, s24, v3, 0
	v_and_b32_e32 v0, 0xffff, v0
	v_and_b32_e32 v4, 0xffff, v4
	v_lshlrev_b32_e32 v5, 16, v5
	v_lshlrev_b32_e32 v1, 16, v1
	v_dual_lshlrev_b32 v13, 9, v53 :: v_dual_lshlrev_b32 v3, 16, v3
	v_fma_mixlo_f16 v6, s24, v6, 0
	v_fma_mixlo_f16 v7, s24, v7, 0
	v_and_b32_e32 v2, 0xffff, v2
	v_or_b32_e32 v4, v5, v4
	v_dual_add_nc_u32 v9, v8, v13 :: v_dual_bitop2_b32 v0, v1, v0 bitop3:0x54
	s_delay_alu instid0(VALU_DEP_4) | instskip(SKIP_2) | instid1(VALU_DEP_4)
	v_lshlrev_b32_e32 v7, 16, v7
	v_and_b32_e32 v6, 0xffff, v6
	v_or3_b32 v1, v3, v2, 0
	v_or3_b32 v0, 0, 0, v0
	v_lshl_add_u32 v5, v46, 8, v8
	v_or3_b32 v2, 0, 0, v4
	v_or3_b32 v3, v7, v6, 0
	ds_store_b64 v9, v[0:1]
	ds_store_b64 v5, v[2:3]
	s_wait_dscnt 0x0
	s_barrier_signal -1
	s_barrier_wait -1
	s_cbranch_scc1 .LBB62_6
; %bb.5:
	s_load_b32 s2, s[0:1], 0xd0
	s_wait_kmcnt 0x0
	s_mul_i32 s2, s2, s28
	s_delay_alu instid0(SALU_CYCLE_1)
	s_add_co_i32 s2, s2, s25
	s_load_b32 s2, s[14:15], s2 offset:0x0 scale_offset
.LBB62_6:
	s_wait_xcnt 0x0
	s_clause 0x2
	s_load_b64 s[14:15], s[0:1], 0x8c
	s_load_b128 s[24:27], s[0:1], 0x98
	s_load_b64 s[42:43], s[0:1], 0xa8
	s_mul_i32 s4, s5, s3
	s_mov_b32 s34, s20
	s_sub_co_i32 s4, s36, s4
	s_ashr_i32 s39, s39, 1
	s_ashr_i32 s29, s28, 31
	s_xor_b32 s11, s10, s11
	s_add_co_i32 s20, s5, 1
	s_sub_co_i32 s37, s4, s3
	v_dual_lshlrev_b32 v49, 2, v12 :: v_dual_lshrrev_b32 v25, 3, v12
	v_mul_u32_u24_e32 v23, 0x90, v12
	v_dual_lshrrev_b32 v15, 4, v12 :: v_dual_bitop2_b32 v20, 1, v50 bitop3:0x54
	s_delay_alu instid0(VALU_DEP_3)
	v_and_b32_e32 v24, 28, v49
	v_and_b32_e32 v14, 60, v49
	v_mbcnt_lo_u32_b32 v51, -1, 0
	s_wait_kmcnt 0x0
	s_ashr_i32 s36, s14, 2
	s_ashr_i32 s10, s26, 2
	s_cmp_ge_u32 s4, s3
	s_mul_u64 s[24:25], s[24:25], s[28:29]
	s_cselect_b32 s14, s20, s5
	s_cselect_b32 s4, s37, s4
	s_add_co_i32 s20, s14, 1
	s_cmp_ge_u32 s4, s3
	s_add_nc_u64 s[4:5], s[6:7], s[24:25]
	s_cselect_b32 s3, s20, s14
	s_bfe_u32 s6, ttmp6, 0x40010
	s_xor_b32 s3, s3, s11
	s_and_b32 s14, ttmp7, 0xffff
	s_add_co_i32 s6, s6, 1
	s_sub_co_i32 s3, s3, s11
	s_bfe_u32 s7, ttmp6, 0x40004
	s_mul_i32 s11, s14, s6
	s_mul_i32 s6, s3, s15
	;; [unrolled: 1-line block ×3, first 2 shown]
	s_add_co_i32 s3, s7, s11
	s_ashr_i32 s7, s6, 31
	s_ashr_i32 s25, s24, 31
	s_cmp_eq_u32 s40, 0
	s_mul_u64 s[42:43], s[42:43], s[28:29]
	s_cselect_b32 s20, s14, s3
	s_add_nc_u64 s[4:5], s[4:5], s[6:7]
	s_sub_co_i32 s3, s2, 64
	s_lshl_b32 s14, s20, 6
	s_add_nc_u64 s[6:7], s[8:9], s[42:43]
	s_cmp_ge_i32 s14, s3
	s_add_nc_u64 s[8:9], s[6:7], s[24:25]
	s_cbranch_scc1 .LBB62_19
; %bb.7:
	v_mov_b32_e32 v27, 0
	v_lshl_add_u32 v2, v53, 2, v25
	v_dual_mov_b32 v8, 0xfeffffff :: v_dual_add_nc_u32 v3, v15, v48
	s_ashr_i32 s37, s36, 31
	s_delay_alu instid0(VALU_DEP_3) | instskip(SKIP_3) | instid1(VALU_DEP_2)
	v_dual_mov_b32 v21, v27 :: v_dual_lshlrev_b32 v4, 2, v14
	s_lshl_b32 s6, s36, 4
	s_cmp_lg_u64 s[30:31], 0
	v_mul_lo_u32 v30, s36, v2
	v_mul_u64_e32 v[0:1], s[34:35], v[20:21]
	v_lshlrev_b32_e32 v0, 2, v24
	s_cselect_b32 s26, -1, 0
	s_lshl_b32 s7, s10, 3
	v_lshl_or_b32 v62, v3, 8, v4
	v_mul_lo_u32 v58, v22, s39
	v_mad_u32_u24 v61, 0x90, v2, v0
	v_mul_lo_u32 v0, s10, v3
	v_dual_mov_b32 v70, v27 :: v_dual_add_nc_u32 v21, 0x2400, v13
	v_ashrrev_i32_e32 v31, 31, v30
	v_lshl_add_u32 v59, v53, 8, 0x2c00
	v_dual_lshlrev_b32 v28, 2, v24 :: v_dual_lshlrev_b32 v26, 2, v14
	v_mbcnt_lo_u32_b32 v60, -1, 0
	v_dual_mov_b32 v29, v27 :: v_dual_add_nc_u32 v64, 0x1200, v61
	v_dual_mov_b32 v56, v27 :: v_dual_add_nc_u32 v63, 0x900, v61
	;; [unrolled: 1-line block ×4, first 2 shown]
	v_add_nc_u32_e32 v67, 0x1000, v62
	v_dual_mov_b32 v55, v27 :: v_dual_add_nc_u32 v68, 0x1800, v62
	s_ashr_i32 s11, s10, 31
	v_dual_add_nc_u32 v2, s7, v0 :: v_dual_add_nc_u32 v32, s6, v30
	v_dual_mov_b32 v19, v27 :: v_dual_add_nc_u32 v1, v20, v1
	s_delay_alu instid0(VALU_DEP_2) | instskip(SKIP_1) | instid1(VALU_DEP_2)
	v_dual_add_nc_u32 v4, s7, v2 :: v_dual_add_nc_u32 v34, s6, v32
	v_dual_ashrrev_i32 v33, 31, v32 :: v_dual_ashrrev_i32 v3, 31, v2
	v_dual_lshrrev_b32 v1, s21, v1 :: v_dual_add_nc_u32 v6, s7, v4
	s_delay_alu instid0(VALU_DEP_3) | instskip(SKIP_1) | instid1(VALU_DEP_3)
	v_dual_ashrrev_i32 v35, 31, v34 :: v_dual_add_nc_u32 v38, s6, v34
	v_ashrrev_i32_e32 v5, 31, v4
	v_mul_lo_u32 v9, v1, s22
	s_delay_alu instid0(VALU_DEP_4) | instskip(SKIP_1) | instid1(VALU_DEP_4)
	v_dual_ashrrev_i32 v1, 31, v0 :: v_dual_ashrrev_i32 v7, 31, v6
	v_lshlrev_b64_e32 v[40:41], 2, v[2:3]
	v_lshlrev_b64_e32 v[42:43], 2, v[4:5]
	v_ashrrev_i32_e32 v39, 31, v38
	s_delay_alu instid0(VALU_DEP_4) | instskip(SKIP_4) | instid1(VALU_DEP_3)
	v_lshlrev_b64_e32 v[36:37], 2, v[0:1]
	s_add_nc_u64 s[6:7], s[0:1], 0xd0
	v_sub_nc_u32_e32 v0, v20, v9
	v_lshlrev_b64_e32 v[44:45], 2, v[6:7]
	v_mov_b32_e32 v9, 0xfeffffff
	v_mul_lo_u32 v69, v0, s39
.LBB62_8:                               ; =>This Inner Loop Header: Depth=1
	s_ashr_i32 s15, s14, 31
	s_and_not1_b32 vcc_lo, exec_lo, s26
	s_mul_u64 s[24:25], s[14:15], s[36:37]
	v_mov_b32_e32 v71, 0
	s_lshl_b64 s[24:25], s[24:25], 2
	s_delay_alu instid0(SALU_CYCLE_1) | instskip(NEXT) | instid1(SALU_CYCLE_1)
	s_add_nc_u64 s[24:25], s[4:5], s[24:25]
	v_lshl_add_u64 v[0:1], v[30:31], 2, s[24:25]
	v_lshl_add_u64 v[2:3], v[32:33], 2, s[24:25]
	;; [unrolled: 1-line block ×4, first 2 shown]
	s_delay_alu instid0(VALU_DEP_4) | instskip(NEXT) | instid1(VALU_DEP_4)
	v_add_nc_u64_e32 v[6:7], v[0:1], v[28:29]
	v_add_nc_u64_e32 v[4:5], v[2:3], v[28:29]
	s_delay_alu instid0(VALU_DEP_4) | instskip(NEXT) | instid1(VALU_DEP_4)
	v_add_nc_u64_e32 v[2:3], v[10:11], v[28:29]
	v_add_nc_u64_e32 v[0:1], v[16:17], v[28:29]
	v_dual_mov_b32 v10, 0 :: v_dual_mov_b32 v17, 0
	v_mov_b32_e32 v11, 0
	s_clause 0x3
	global_load_b128 v[72:75], v[6:7], off
	global_load_b128 v[76:79], v[4:5], off
	;; [unrolled: 1-line block ×4, first 2 shown]
	s_wait_loadcnt 0x3
	ds_store_b128 v61, v[72:75]
	s_wait_loadcnt 0x2
	ds_store_b128 v63, v[76:79]
	;; [unrolled: 2-line block ×4, first 2 shown]
	s_wait_dscnt 0x0
	s_barrier_signal -1
	s_barrier_wait -1
	ds_load_b128 v[72:75], v23
	ds_load_b128 v[76:79], v21
	ds_load_b128 v[80:83], v21 offset:256
	ds_load_b128 v[84:87], v23 offset:4608
	s_wait_dscnt 0x2
	;;#ASMSTART
	v_dot2_f32_f16 v10, v72, v76, v10
	;;#ASMEND
	;;#ASMSTART
	v_dot2_f32_f16 v10, v73, v77, v10
	;;#ASMEND
	;;#ASMSTART
	v_dot2_f32_f16 v10, v74, v78, v10
	;;#ASMEND
	;;#ASMSTART
	v_dot2_f32_f16 v10, v75, v79, v10
	;;#ASMEND
	s_wait_dscnt 0x1
	;;#ASMSTART
	v_dot2_f32_f16 v17, v72, v80, v17
	;;#ASMEND
	;;#ASMSTART
	v_dot2_f32_f16 v17, v73, v81, v17
	;;#ASMEND
	;;#ASMSTART
	v_dot2_f32_f16 v17, v74, v82, v17
	;;#ASMEND
	;;#ASMSTART
	v_dot2_f32_f16 v17, v75, v83, v17
	;;#ASMEND
	s_wait_dscnt 0x0
	;;#ASMSTART
	v_dot2_f32_f16 v11, v84, v76, v11
	;;#ASMEND
	;;#ASMSTART
	v_dot2_f32_f16 v11, v85, v77, v11
	;;#ASMEND
	;;#ASMSTART
	v_dot2_f32_f16 v11, v86, v78, v11
	;;#ASMEND
	;;#ASMSTART
	v_dot2_f32_f16 v11, v87, v79, v11
	;;#ASMEND
	;;#ASMSTART
	v_dot2_f32_f16 v71, v84, v80, v71
	;;#ASMEND
	;;#ASMSTART
	v_dot2_f32_f16 v71, v85, v81, v71
	;;#ASMEND
	;;#ASMSTART
	v_dot2_f32_f16 v71, v86, v82, v71
	;;#ASMEND
	;;#ASMSTART
	v_dot2_f32_f16 v71, v87, v83, v71
	;;#ASMEND
	ds_load_b128 v[72:75], v23 offset:16
	ds_load_b128 v[76:79], v21 offset:16
	ds_load_b128 v[80:83], v21 offset:272
	ds_load_b128 v[84:87], v23 offset:4624
	s_wait_dscnt 0x2
	;;#ASMSTART
	v_dot2_f32_f16 v10, v72, v76, v10
	;;#ASMEND
	;;#ASMSTART
	v_dot2_f32_f16 v10, v73, v77, v10
	;;#ASMEND
	;;#ASMSTART
	v_dot2_f32_f16 v10, v74, v78, v10
	;;#ASMEND
	;;#ASMSTART
	v_dot2_f32_f16 v10, v75, v79, v10
	;;#ASMEND
	s_wait_dscnt 0x1
	;;#ASMSTART
	v_dot2_f32_f16 v17, v72, v80, v17
	;;#ASMEND
	;;#ASMSTART
	v_dot2_f32_f16 v17, v73, v81, v17
	;;#ASMEND
	;;#ASMSTART
	v_dot2_f32_f16 v17, v74, v82, v17
	;;#ASMEND
	;;#ASMSTART
	v_dot2_f32_f16 v17, v75, v83, v17
	;;#ASMEND
	s_wait_dscnt 0x0
	;;#ASMSTART
	v_dot2_f32_f16 v11, v84, v76, v11
	;;#ASMEND
	;;#ASMSTART
	v_dot2_f32_f16 v11, v85, v77, v11
	;;#ASMEND
	;;#ASMSTART
	v_dot2_f32_f16 v11, v86, v78, v11
	;;#ASMEND
	;;#ASMSTART
	v_dot2_f32_f16 v11, v87, v79, v11
	;;#ASMEND
	;;#ASMSTART
	v_dot2_f32_f16 v71, v84, v80, v71
	;;#ASMEND
	;;#ASMSTART
	v_dot2_f32_f16 v71, v85, v81, v71
	;;#ASMEND
	;;#ASMSTART
	v_dot2_f32_f16 v71, v86, v82, v71
	;;#ASMEND
	;;#ASMSTART
	v_dot2_f32_f16 v71, v87, v83, v71
	;;#ASMEND
	ds_load_b128 v[72:75], v23 offset:32
	ds_load_b128 v[76:79], v21 offset:32
	;; [unrolled: 55-line block ×7, first 2 shown]
	ds_load_b128 v[80:83], v21 offset:368
	ds_load_b128 v[84:87], v23 offset:4720
	s_wait_dscnt 0x2
	;;#ASMSTART
	v_dot2_f32_f16 v10, v72, v76, v10
	;;#ASMEND
	;;#ASMSTART
	v_dot2_f32_f16 v10, v73, v77, v10
	;;#ASMEND
	;;#ASMSTART
	v_dot2_f32_f16 v10, v74, v78, v10
	;;#ASMEND
	;;#ASMSTART
	v_dot2_f32_f16 v10, v75, v79, v10
	;;#ASMEND
	s_wait_dscnt 0x1
	;;#ASMSTART
	v_dot2_f32_f16 v17, v72, v80, v17
	;;#ASMEND
	;;#ASMSTART
	v_dot2_f32_f16 v17, v73, v81, v17
	;;#ASMEND
	;;#ASMSTART
	v_dot2_f32_f16 v17, v74, v82, v17
	;;#ASMEND
	;;#ASMSTART
	v_dot2_f32_f16 v17, v75, v83, v17
	;;#ASMEND
	;; [unrolled: 13-line block ×3, first 2 shown]
	;;#ASMSTART
	v_dot2_f32_f16 v71, v84, v80, v71
	;;#ASMEND
	;;#ASMSTART
	v_dot2_f32_f16 v71, v85, v81, v71
	;;#ASMEND
	;; [unrolled: 3-line block ×4, first 2 shown]
	s_barrier_signal -1
	s_barrier_wait -1
	s_clause 0x3
	global_load_b128 v[72:75], v[6:7], off offset:128
	global_load_b128 v[4:7], v[4:5], off offset:128
	;; [unrolled: 1-line block ×4, first 2 shown]
	s_wait_loadcnt 0x3
	ds_store_b128 v61, v[72:75]
	s_wait_loadcnt 0x2
	ds_store_b128 v63, v[4:7]
	;; [unrolled: 2-line block ×4, first 2 shown]
	s_wait_dscnt 0x0
	s_barrier_signal -1
	s_barrier_wait -1
	ds_load_b128 v[0:3], v23
	ds_load_b128 v[4:7], v21 offset:128
	ds_load_b128 v[72:75], v21 offset:384
	ds_load_b128 v[76:79], v23 offset:4608
	s_wait_dscnt 0x2
	;;#ASMSTART
	v_dot2_f32_f16 v10, v0, v4, v10
	;;#ASMEND
	;;#ASMSTART
	v_dot2_f32_f16 v10, v1, v5, v10
	;;#ASMEND
	;;#ASMSTART
	v_dot2_f32_f16 v10, v2, v6, v10
	;;#ASMEND
	;;#ASMSTART
	v_dot2_f32_f16 v10, v3, v7, v10
	;;#ASMEND
	s_wait_dscnt 0x1
	;;#ASMSTART
	v_dot2_f32_f16 v17, v0, v72, v17
	;;#ASMEND
	;;#ASMSTART
	v_dot2_f32_f16 v17, v1, v73, v17
	;;#ASMEND
	;;#ASMSTART
	v_dot2_f32_f16 v17, v2, v74, v17
	;;#ASMEND
	;;#ASMSTART
	v_dot2_f32_f16 v17, v3, v75, v17
	;;#ASMEND
	s_wait_dscnt 0x0
	;;#ASMSTART
	v_dot2_f32_f16 v11, v76, v4, v11
	;;#ASMEND
	;;#ASMSTART
	v_dot2_f32_f16 v11, v77, v5, v11
	;;#ASMEND
	;;#ASMSTART
	v_dot2_f32_f16 v11, v78, v6, v11
	;;#ASMEND
	;;#ASMSTART
	v_dot2_f32_f16 v11, v79, v7, v11
	;;#ASMEND
	;;#ASMSTART
	v_dot2_f32_f16 v71, v76, v72, v71
	;;#ASMEND
	;;#ASMSTART
	v_dot2_f32_f16 v71, v77, v73, v71
	;;#ASMEND
	;;#ASMSTART
	v_dot2_f32_f16 v71, v78, v74, v71
	;;#ASMEND
	;;#ASMSTART
	v_dot2_f32_f16 v71, v79, v75, v71
	;;#ASMEND
	ds_load_b128 v[0:3], v23 offset:16
	ds_load_b128 v[4:7], v21 offset:144
	ds_load_b128 v[72:75], v21 offset:400
	ds_load_b128 v[76:79], v23 offset:4624
	s_wait_dscnt 0x2
	;;#ASMSTART
	v_dot2_f32_f16 v10, v0, v4, v10
	;;#ASMEND
	;;#ASMSTART
	v_dot2_f32_f16 v10, v1, v5, v10
	;;#ASMEND
	;;#ASMSTART
	v_dot2_f32_f16 v10, v2, v6, v10
	;;#ASMEND
	;;#ASMSTART
	v_dot2_f32_f16 v10, v3, v7, v10
	;;#ASMEND
	s_wait_dscnt 0x1
	;;#ASMSTART
	v_dot2_f32_f16 v17, v0, v72, v17
	;;#ASMEND
	;;#ASMSTART
	v_dot2_f32_f16 v17, v1, v73, v17
	;;#ASMEND
	;;#ASMSTART
	v_dot2_f32_f16 v17, v2, v74, v17
	;;#ASMEND
	;;#ASMSTART
	v_dot2_f32_f16 v17, v3, v75, v17
	;;#ASMEND
	s_wait_dscnt 0x0
	;;#ASMSTART
	v_dot2_f32_f16 v11, v76, v4, v11
	;;#ASMEND
	;;#ASMSTART
	v_dot2_f32_f16 v11, v77, v5, v11
	;;#ASMEND
	;;#ASMSTART
	v_dot2_f32_f16 v11, v78, v6, v11
	;;#ASMEND
	;;#ASMSTART
	v_dot2_f32_f16 v11, v79, v7, v11
	;;#ASMEND
	;;#ASMSTART
	v_dot2_f32_f16 v71, v76, v72, v71
	;;#ASMEND
	;;#ASMSTART
	v_dot2_f32_f16 v71, v77, v73, v71
	;;#ASMEND
	;;#ASMSTART
	v_dot2_f32_f16 v71, v78, v74, v71
	;;#ASMEND
	;;#ASMSTART
	v_dot2_f32_f16 v71, v79, v75, v71
	;;#ASMEND
	ds_load_b128 v[0:3], v23 offset:32
	;; [unrolled: 55-line block ×7, first 2 shown]
	ds_load_b128 v[76:79], v21 offset:240
	ds_load_b128 v[80:83], v21 offset:496
	;; [unrolled: 1-line block ×3, first 2 shown]
	s_wait_dscnt 0x2
	;;#ASMSTART
	v_dot2_f32_f16 v10, v72, v76, v10
	;;#ASMEND
	;;#ASMSTART
	v_dot2_f32_f16 v10, v73, v77, v10
	;;#ASMEND
	v_dual_mov_b32 v4, 0 :: v_dual_add_nc_u32 v1, s14, v12
	;;#ASMSTART
	v_dot2_f32_f16 v10, v74, v78, v10
	;;#ASMEND
	;;#ASMSTART
	v_dot2_f32_f16 v10, v75, v79, v10
	;;#ASMEND
	s_wait_dscnt 0x1
	;;#ASMSTART
	v_dot2_f32_f16 v17, v72, v80, v17
	;;#ASMEND
	;;#ASMSTART
	v_dot2_f32_f16 v17, v73, v81, v17
	;;#ASMEND
	;; [unrolled: 3-line block ×4, first 2 shown]
	s_wait_dscnt 0x0
	;;#ASMSTART
	v_dot2_f32_f16 v11, v84, v76, v11
	;;#ASMEND
	v_add_nc_u32_e32 v0, v1, v58
	;;#ASMSTART
	v_dot2_f32_f16 v11, v85, v77, v11
	;;#ASMEND
	;;#ASMSTART
	v_dot2_f32_f16 v11, v86, v78, v11
	;;#ASMEND
	;; [unrolled: 3-line block ×7, first 2 shown]
	s_cbranch_vccnz .LBB62_10
; %bb.9:                                ;   in Loop: Header=BB62_8 Depth=1
	global_load_u16 v2, v0, s[30:31] scale_offset
	s_wait_loadcnt 0x0
	v_cvt_f32_f16_e32 v2, v2
	s_delay_alu instid0(VALU_DEP_1)
	v_mul_f32_e32 v4, v54, v2
.LBB62_10:                              ;   in Loop: Header=BB62_8 Depth=1
	v_dual_mov_b32 v3, 0 :: v_dual_mov_b32 v2, 0
	s_and_not1_b32 vcc_lo, exec_lo, s26
	s_cbranch_vccnz .LBB62_12
; %bb.11:                               ;   in Loop: Header=BB62_8 Depth=1
	global_load_u16 v0, v0, s[30:31] offset:64 scale_offset
	s_wait_loadcnt 0x0
	v_cvt_f32_f16_e32 v0, v0
	s_delay_alu instid0(VALU_DEP_1)
	v_mul_f32_e32 v2, v54, v0
.LBB62_12:                              ;   in Loop: Header=BB62_8 Depth=1
	s_delay_alu instid0(VALU_DEP_1) | instskip(SKIP_2) | instid1(VALU_DEP_3)
	v_dual_add_f32 v0, v10, v4 :: v_dual_add_f32 v2, v11, v2
	v_xor_b32_e32 v7, 8, v60
	v_dual_add_nc_u32 v1, v1, v69 :: v_dual_bitop2_b32 v4, 16, v60 bitop3:0x14
	v_dual_add_f32 v5, 0x40051340, v0 :: v_dual_add_f32 v6, 0x40051340, v2
	s_delay_alu instid0(VALU_DEP_2) | instskip(NEXT) | instid1(VALU_DEP_2)
	v_cmp_gt_i32_e32 vcc_lo, 32, v4
	v_max3_num_f32 v6, v8, v5, v6
	v_cndmask_b32_e32 v4, v60, v4, vcc_lo
	v_cmp_gt_i32_e32 vcc_lo, 32, v7
	s_delay_alu instid0(VALU_DEP_2) | instskip(SKIP_3) | instid1(VALU_DEP_1)
	v_dual_cndmask_b32 v7, v60, v7 :: v_dual_lshlrev_b32 v4, 2, v4
	ds_bpermute_b32 v5, v4, v6
	s_wait_dscnt 0x0
	v_dual_max_num_f32 v10, v5, v5 :: v_dual_lshlrev_b32 v5, 2, v7
	v_dual_max_num_f32 v7, v6, v10 :: v_dual_bitop2_b32 v10, 4, v60 bitop3:0x14
	ds_bpermute_b32 v6, v5, v7
	v_cmp_gt_i32_e32 vcc_lo, 32, v10
	v_cndmask_b32_e32 v10, v60, v10, vcc_lo
	s_wait_dscnt 0x0
	v_max_num_f32_e32 v11, v6, v6
	s_delay_alu instid0(VALU_DEP_1)
	v_dual_lshlrev_b32 v6, 2, v10 :: v_dual_max_num_f32 v10, v7, v11
	v_xor_b32_e32 v11, 2, v60
	ds_bpermute_b32 v7, v6, v10
	v_cmp_gt_i32_e32 vcc_lo, 32, v11
	v_cndmask_b32_e32 v11, v60, v11, vcc_lo
	s_wait_dscnt 0x0
	v_max_num_f32_e32 v16, v7, v7
	s_delay_alu instid0(VALU_DEP_1)
	v_dual_lshlrev_b32 v7, 2, v11 :: v_dual_max_num_f32 v11, v10, v16
	v_xor_b32_e32 v16, 1, v60
	ds_bpermute_b32 v10, v7, v11
	v_cmp_gt_i32_e32 vcc_lo, 32, v16
	v_cndmask_b32_e32 v16, v60, v16, vcc_lo
	s_and_not1_b32 vcc_lo, exec_lo, s26
	s_wait_dscnt 0x0
	s_delay_alu instid0(VALU_DEP_1) | instskip(NEXT) | instid1(VALU_DEP_1)
	v_dual_max_num_f32 v72, v10, v10 :: v_dual_lshlrev_b32 v10, 2, v16
	v_max_num_f32_e32 v11, v11, v72
	ds_bpermute_b32 v16, v10, v11
	s_cbranch_vccnz .LBB62_14
; %bb.13:                               ;   in Loop: Header=BB62_8 Depth=1
	global_load_u16 v3, v1, s[30:31] scale_offset
	s_wait_loadcnt 0x0
	v_cvt_f32_f16_e32 v3, v3
	s_delay_alu instid0(VALU_DEP_1)
	v_mul_f32_e32 v3, v54, v3
.LBB62_14:                              ;   in Loop: Header=BB62_8 Depth=1
	s_and_not1_b32 vcc_lo, exec_lo, s26
	s_cbranch_vccnz .LBB62_16
; %bb.15:                               ;   in Loop: Header=BB62_8 Depth=1
	global_load_u16 v1, v1, s[30:31] offset:64 scale_offset
	s_wait_loadcnt 0x0
	v_cvt_f32_f16_e32 v1, v1
	s_delay_alu instid0(VALU_DEP_1)
	v_mul_f32_e32 v1, v54, v1
	s_branch .LBB62_17
.LBB62_16:                              ;   in Loop: Header=BB62_8 Depth=1
	v_mov_b32_e32 v1, 0
.LBB62_17:                              ;   in Loop: Header=BB62_8 Depth=1
	s_wait_dscnt 0x0
	v_dual_add_f32 v3, v17, v3 :: v_dual_max_num_f32 v16, v16, v16
	v_max_num_f32_e32 v11, v11, v11
	s_mul_u64 s[24:25], s[14:15], s[10:11]
	s_delay_alu instid0(VALU_DEP_2) | instskip(SKIP_1) | instid1(VALU_DEP_2)
	v_add_f32_e32 v17, 0x40051340, v3
	s_lshl_b64 s[24:25], s[24:25], 2
	v_max_num_f32_e32 v16, v11, v16
	v_add_f32_e32 v11, v71, v1
	s_add_nc_u64 s[24:25], s[8:9], s[24:25]
	s_barrier_signal -1
	s_barrier_wait -1
	s_delay_alu instid0(VALU_DEP_1) | instskip(SKIP_1) | instid1(VALU_DEP_2)
	v_dual_add_f32 v1, 0x40051340, v11 :: v_dual_sub_f32 v2, v2, v16
	v_sub_f32_e32 v0, v0, v16
	v_max3_num_f32 v1, v9, v17, v1
	s_delay_alu instid0(VALU_DEP_2) | instskip(SKIP_3) | instid1(VALU_DEP_1)
	v_cmp_ngt_f32_e32 vcc_lo, 0xc2ce8ed0, v0
	ds_bpermute_b32 v4, v4, v1
	s_wait_dscnt 0x0
	v_max_num_f32_e32 v4, v4, v4
	v_max_num_f32_e32 v1, v1, v4
	ds_bpermute_b32 v4, v5, v1
	s_wait_dscnt 0x0
	v_max_num_f32_e32 v4, v4, v4
	s_delay_alu instid0(VALU_DEP_1) | instskip(SKIP_3) | instid1(VALU_DEP_1)
	v_max_num_f32_e32 v1, v1, v4
	ds_bpermute_b32 v4, v6, v1
	s_wait_dscnt 0x0
	v_max_num_f32_e32 v4, v4, v4
	v_max_num_f32_e32 v1, v1, v4
	ds_bpermute_b32 v4, v7, v1
	s_wait_dscnt 0x0
	v_max_num_f32_e32 v4, v4, v4
	s_delay_alu instid0(VALU_DEP_1) | instskip(SKIP_3) | instid1(VALU_DEP_1)
	v_max_num_f32_e32 v1, v1, v4
	ds_bpermute_b32 v4, v10, v1
	s_wait_dscnt 0x0
	v_max_num_f32_e32 v4, v4, v4
	v_max_num_f32_e32 v17, v1, v4
	v_sub_f32_e32 v1, v8, v16
	v_mul_f32_e32 v4, 0x3fb8aa3b, v0
	s_delay_alu instid0(VALU_DEP_1) | instskip(SKIP_1) | instid1(VALU_DEP_1)
	v_fma_f32 v5, 0x3fb8aa3b, v0, -v4
	v_rndne_f32_e32 v6, v4
	v_dual_fmac_f32 v5, 0x32a5705f, v0 :: v_dual_sub_f32 v4, v4, v6
	v_sub_f32_e32 v7, v9, v17
	s_delay_alu instid0(VALU_DEP_2) | instskip(SKIP_1) | instid1(VALU_DEP_2)
	v_add_f32_e32 v4, v4, v5
	v_cvt_i32_f32_e32 v5, v6
	v_exp_f32_e32 v4, v4
	v_nop
	s_delay_alu instid0(TRANS32_DEP_1) | instskip(NEXT) | instid1(VALU_DEP_1)
	v_ldexp_f32 v4, v4, v5
	v_cndmask_b32_e32 v4, 0, v4, vcc_lo
	v_cmp_nlt_f32_e32 vcc_lo, 0x42b17218, v0
	s_delay_alu instid0(VALU_DEP_2) | instskip(SKIP_2) | instid1(VALU_DEP_2)
	v_cndmask_b32_e32 v0, 0x7f800000, v4, vcc_lo
	v_mul_f32_e32 v4, 0x3fb8aa3b, v2
	v_cmp_ngt_f32_e32 vcc_lo, 0xc2ce8ed0, v2
	v_fma_f32 v5, 0x3fb8aa3b, v2, -v4
	v_rndne_f32_e32 v6, v4
	s_delay_alu instid0(VALU_DEP_2) | instskip(NEXT) | instid1(VALU_DEP_2)
	v_fmac_f32_e32 v5, 0x32a5705f, v2
	v_sub_f32_e32 v4, v4, v6
	s_delay_alu instid0(VALU_DEP_1) | instskip(SKIP_1) | instid1(VALU_DEP_2)
	v_add_f32_e32 v4, v4, v5
	v_cvt_i32_f32_e32 v5, v6
	v_exp_f32_e32 v4, v4
	v_nop
	s_delay_alu instid0(TRANS32_DEP_1) | instskip(NEXT) | instid1(VALU_DEP_1)
	v_ldexp_f32 v4, v4, v5
	v_cndmask_b32_e32 v4, 0, v4, vcc_lo
	v_cmp_nlt_f32_e32 vcc_lo, 0x42b17218, v2
	s_delay_alu instid0(VALU_DEP_2) | instskip(SKIP_2) | instid1(VALU_DEP_2)
	v_cndmask_b32_e32 v2, 0x7f800000, v4, vcc_lo
	v_mul_f32_e32 v4, 0x3fb8aa3b, v1
	v_cmp_ngt_f32_e32 vcc_lo, 0xc2ce8ed0, v1
	v_fma_f32 v5, 0x3fb8aa3b, v1, -v4
	v_rndne_f32_e32 v6, v4
	s_delay_alu instid0(VALU_DEP_1) | instskip(NEXT) | instid1(VALU_DEP_1)
	v_dual_fmac_f32 v5, 0x32a5705f, v1 :: v_dual_sub_f32 v4, v4, v6
	v_add_f32_e32 v4, v4, v5
	v_cvt_i32_f32_e32 v5, v6
	s_delay_alu instid0(VALU_DEP_2) | instskip(SKIP_1) | instid1(TRANS32_DEP_1)
	v_exp_f32_e32 v4, v4
	v_nop
	v_ldexp_f32 v4, v4, v5
	s_delay_alu instid0(VALU_DEP_1) | instskip(SKIP_1) | instid1(VALU_DEP_2)
	v_cndmask_b32_e32 v4, 0, v4, vcc_lo
	v_cmp_nlt_f32_e32 vcc_lo, 0x42b17218, v1
	v_cndmask_b32_e32 v6, 0x7f800000, v4, vcc_lo
	s_delay_alu instid0(VALU_DEP_1) | instskip(NEXT) | instid1(VALU_DEP_1)
	v_cvt_f16_f32_e32 v1, v6
	v_and_b32_e32 v1, 0xffff, v1
	s_delay_alu instid0(VALU_DEP_1) | instskip(SKIP_1) | instid1(VALU_DEP_2)
	v_mul_u32_u24_e32 v5, 0x10001, v1
	v_sub_f32_e32 v1, v3, v17
	v_pk_mul_f16 v4, v70, v5
	s_delay_alu instid0(VALU_DEP_2) | instskip(SKIP_1) | instid1(VALU_DEP_2)
	v_mul_f32_e32 v3, 0x3fb8aa3b, v1
	v_cmp_ngt_f32_e32 vcc_lo, 0xc2ce8ed0, v1
	v_fma_f32 v8, 0x3fb8aa3b, v1, -v3
	v_rndne_f32_e32 v9, v3
	s_delay_alu instid0(VALU_DEP_2) | instskip(NEXT) | instid1(VALU_DEP_2)
	v_fmac_f32_e32 v8, 0x32a5705f, v1
	v_sub_f32_e32 v3, v3, v9
	s_delay_alu instid0(VALU_DEP_1) | instskip(SKIP_1) | instid1(VALU_DEP_2)
	v_add_f32_e32 v3, v3, v8
	v_cvt_i32_f32_e32 v8, v9
	v_exp_f32_e32 v3, v3
	v_nop
	s_delay_alu instid0(TRANS32_DEP_1) | instskip(NEXT) | instid1(VALU_DEP_1)
	v_ldexp_f32 v3, v3, v8
	v_cndmask_b32_e32 v3, 0, v3, vcc_lo
	v_cmp_nlt_f32_e32 vcc_lo, 0x42b17218, v1
	s_delay_alu instid0(VALU_DEP_2) | instskip(SKIP_1) | instid1(VALU_DEP_1)
	v_cndmask_b32_e32 v1, 0x7f800000, v3, vcc_lo
	v_sub_f32_e32 v3, v11, v17
	v_mul_f32_e32 v8, 0x3fb8aa3b, v3
	v_cmp_ngt_f32_e32 vcc_lo, 0xc2ce8ed0, v3
	s_delay_alu instid0(VALU_DEP_2) | instskip(SKIP_1) | instid1(VALU_DEP_1)
	v_fma_f32 v9, 0x3fb8aa3b, v3, -v8
	v_rndne_f32_e32 v10, v8
	v_dual_fmac_f32 v9, 0x32a5705f, v3 :: v_dual_sub_f32 v8, v8, v10
	s_delay_alu instid0(VALU_DEP_1) | instskip(SKIP_1) | instid1(VALU_DEP_2)
	v_add_f32_e32 v8, v8, v9
	v_cvt_i32_f32_e32 v9, v10
	v_exp_f32_e32 v8, v8
	v_nop
	s_delay_alu instid0(TRANS32_DEP_1) | instskip(NEXT) | instid1(VALU_DEP_1)
	v_ldexp_f32 v8, v8, v9
	v_cndmask_b32_e32 v8, 0, v8, vcc_lo
	v_cmp_nlt_f32_e32 vcc_lo, 0x42b17218, v3
	s_delay_alu instid0(VALU_DEP_2) | instskip(SKIP_2) | instid1(VALU_DEP_2)
	v_cndmask_b32_e32 v3, 0x7f800000, v8, vcc_lo
	v_mul_f32_e32 v8, 0x3fb8aa3b, v7
	v_cmp_ngt_f32_e32 vcc_lo, 0xc2ce8ed0, v7
	v_fma_f32 v9, 0x3fb8aa3b, v7, -v8
	v_rndne_f32_e32 v10, v8
	s_delay_alu instid0(VALU_DEP_1) | instskip(NEXT) | instid1(VALU_DEP_1)
	v_dual_fmac_f32 v9, 0x32a5705f, v7 :: v_dual_sub_f32 v8, v8, v10
	v_add_f32_e32 v8, v8, v9
	v_cvt_i32_f32_e32 v9, v10
	s_delay_alu instid0(VALU_DEP_2) | instskip(SKIP_1) | instid1(TRANS32_DEP_1)
	v_exp_f32_e32 v8, v8
	v_nop
	v_ldexp_f32 v8, v8, v9
	s_delay_alu instid0(VALU_DEP_1) | instskip(SKIP_1) | instid1(VALU_DEP_2)
	v_cndmask_b32_e32 v8, 0, v8, vcc_lo
	v_cmp_nlt_f32_e32 vcc_lo, 0x42b17218, v7
	v_cndmask_b32_e32 v7, 0x7f800000, v8, vcc_lo
	v_pk_add_f32 v[8:9], v[0:1], v[2:3]
	v_cvt_pk_f16_f32 v0, v0, v1
	v_cvt_pk_f16_f32 v1, v2, v3
	s_delay_alu instid0(VALU_DEP_3)
	v_pk_fma_f32 v[18:19], v[18:19], v[6:7], v[8:9]
	v_add_nc_u32_e32 v8, v59, v49
	v_cvt_f16_f32_e32 v6, v7
	ds_store_2addr_b32 v8, v0, v1 offset1:32
	v_add_nc_u64_e32 v[0:1], s[24:25], v[36:37]
	v_and_b32_e32 v6, 0xffff, v6
	s_delay_alu instid0(VALU_DEP_1) | instskip(NEXT) | instid1(VALU_DEP_3)
	v_mul_u32_u24_e32 v7, 0x10001, v6
	v_add_nc_u64_e32 v[0:1], v[0:1], v[26:27]
	s_delay_alu instid0(VALU_DEP_2) | instskip(SKIP_4) | instid1(VALU_DEP_1)
	v_pk_mul_f16 v6, v57, v7
	global_load_b128 v[0:3], v[0:1], off
	s_wait_loadcnt 0x0
	ds_store_b128 v62, v[0:3]
	v_add_nc_u64_e32 v[0:1], s[24:25], v[40:41]
	v_add_nc_u64_e32 v[0:1], v[0:1], v[26:27]
	global_load_b128 v[0:3], v[0:1], off
	s_wait_loadcnt 0x0
	ds_store_b128 v66, v[0:3]
	v_add_nc_u64_e32 v[0:1], s[24:25], v[42:43]
	s_delay_alu instid0(VALU_DEP_1)
	v_add_nc_u64_e32 v[0:1], v[0:1], v[26:27]
	global_load_b128 v[0:3], v[0:1], off
	s_wait_loadcnt 0x0
	ds_store_b128 v67, v[0:3]
	v_add_nc_u64_e32 v[0:1], s[24:25], v[44:45]
	s_or_b32 s24, s14, 32
	s_delay_alu instid0(SALU_CYCLE_1) | instskip(NEXT) | instid1(SALU_CYCLE_1)
	s_ashr_i32 s25, s24, 31
	s_mul_u64 s[24:25], s[24:25], s[10:11]
	s_delay_alu instid0(VALU_DEP_1) | instskip(SKIP_1) | instid1(SALU_CYCLE_1)
	v_add_nc_u64_e32 v[0:1], v[0:1], v[26:27]
	s_lshl_b64 s[24:25], s[24:25], 2
	s_add_nc_u64 s[24:25], s[8:9], s[24:25]
	global_load_b128 v[0:3], v[0:1], off
	s_wait_loadcnt 0x0
	ds_store_b128 v68, v[0:3]
	s_wait_dscnt 0x0
	s_barrier_signal -1
	s_barrier_wait -1
	ds_load_2addr_b64 v[8:11], v52 offset1:32
	ds_load_b128 v[70:73], v59
	ds_load_b128 v[74:77], v59 offset:16
	ds_load_b128 v[78:81], v59 offset:32
	;; [unrolled: 1-line block ×3, first 2 shown]
	s_wait_dscnt 0x3
	v_lshrrev_b32_e32 v57, 16, v70
	v_and_b32_e32 v70, 0xffff, v70
	s_delay_alu instid0(VALU_DEP_2) | instskip(NEXT) | instid1(VALU_DEP_2)
	v_mul_u32_u24_e32 v57, 0x10001, v57
	v_mul_u32_u24_e32 v70, 0x10001, v70
	s_delay_alu instid0(VALU_DEP_2) | instskip(NEXT) | instid1(VALU_DEP_2)
	v_pk_fma_f16 v6, v9, v57, v6
	v_pk_mul_f16 v82, v8, v70
	v_pk_mul_f16 v8, v8, v57
	v_pk_fma_f16 v4, v9, v70, v4
	v_and_b32_e32 v9, 0xffff, v71
	v_add_nc_u32_e32 v57, 0x800, v52
	v_pk_fma_f16 v5, v56, v5, v82
	v_pk_fma_f16 v7, v55, v7, v8
	v_lshrrev_b32_e32 v8, 16, v71
	v_mul_u32_u24_e32 v9, 0x10001, v9
	v_and_b32_e32 v56, 0xffff, v72
	s_delay_alu instid0(VALU_DEP_3) | instskip(NEXT) | instid1(VALU_DEP_3)
	v_mul_u32_u24_e32 v8, 0x10001, v8
	v_pk_fma_f16 v55, v10, v9, v5
	v_pk_fma_f16 v9, v11, v9, v4
	s_delay_alu instid0(VALU_DEP_4) | instskip(NEXT) | instid1(VALU_DEP_4)
	v_mul_u32_u24_e32 v56, 0x10001, v56
	v_pk_fma_f16 v10, v10, v8, v7
	v_pk_fma_f16 v8, v11, v8, v6
	ds_load_2addr_b64 v[4:7], v52 offset0:64 offset1:96
	v_lshrrev_b32_e32 v11, 16, v72
	s_delay_alu instid0(VALU_DEP_1) | instskip(SKIP_2) | instid1(VALU_DEP_2)
	v_mul_u32_u24_e32 v11, 0x10001, v11
	s_wait_dscnt 0x0
	v_pk_fma_f16 v55, v4, v56, v55
	v_pk_fma_f16 v4, v4, v11, v10
	;; [unrolled: 1-line block ×4, first 2 shown]
	v_lshrrev_b32_e32 v8, 16, v73
	v_and_b32_e32 v10, 0xffff, v73
	v_and_b32_e32 v56, 0xffff, v74
	s_delay_alu instid0(VALU_DEP_3) | instskip(NEXT) | instid1(VALU_DEP_3)
	v_mul_u32_u24_e32 v8, 0x10001, v8
	v_mul_u32_u24_e32 v10, 0x10001, v10
	s_delay_alu instid0(VALU_DEP_3) | instskip(NEXT) | instid1(VALU_DEP_2)
	v_mul_u32_u24_e32 v56, 0x10001, v56
	v_pk_fma_f16 v11, v6, v10, v55
	s_delay_alu instid0(VALU_DEP_4) | instskip(SKIP_4) | instid1(VALU_DEP_1)
	v_pk_fma_f16 v55, v6, v8, v4
	v_pk_fma_f16 v9, v7, v10, v9
	;; [unrolled: 1-line block ×3, first 2 shown]
	ds_load_2addr_b64 v[4:7], v52 offset0:128 offset1:160
	v_lshrrev_b32_e32 v10, 16, v74
	v_mul_u32_u24_e32 v10, 0x10001, v10
	s_wait_dscnt 0x0
	v_pk_fma_f16 v11, v4, v56, v11
	s_delay_alu instid0(VALU_DEP_2)
	v_pk_fma_f16 v4, v4, v10, v55
	v_pk_fma_f16 v9, v5, v56, v9
	;; [unrolled: 1-line block ×3, first 2 shown]
	v_lshrrev_b32_e32 v8, 16, v75
	v_and_b32_e32 v10, 0xffff, v75
	v_and_b32_e32 v56, 0xffff, v76
	s_delay_alu instid0(VALU_DEP_3) | instskip(NEXT) | instid1(VALU_DEP_3)
	v_mul_u32_u24_e32 v8, 0x10001, v8
	v_mul_u32_u24_e32 v10, 0x10001, v10
	s_delay_alu instid0(VALU_DEP_3) | instskip(NEXT) | instid1(VALU_DEP_3)
	v_mul_u32_u24_e32 v56, 0x10001, v56
	v_pk_fma_f16 v55, v6, v8, v4
	s_delay_alu instid0(VALU_DEP_3) | instskip(SKIP_4) | instid1(VALU_DEP_1)
	v_pk_fma_f16 v11, v6, v10, v11
	v_pk_fma_f16 v9, v7, v10, v9
	;; [unrolled: 1-line block ×3, first 2 shown]
	ds_load_2addr_b64 v[4:7], v52 offset0:192 offset1:224
	v_lshrrev_b32_e32 v10, 16, v76
	v_mul_u32_u24_e32 v10, 0x10001, v10
	s_wait_dscnt 0x0
	v_pk_fma_f16 v11, v4, v56, v11
	s_delay_alu instid0(VALU_DEP_2)
	v_pk_fma_f16 v4, v4, v10, v55
	v_pk_fma_f16 v9, v5, v56, v9
	;; [unrolled: 1-line block ×3, first 2 shown]
	v_lshrrev_b32_e32 v8, 16, v77
	v_and_b32_e32 v10, 0xffff, v77
	v_and_b32_e32 v56, 0xffff, v78
	s_delay_alu instid0(VALU_DEP_3) | instskip(NEXT) | instid1(VALU_DEP_3)
	v_mul_u32_u24_e32 v8, 0x10001, v8
	v_mul_u32_u24_e32 v10, 0x10001, v10
	s_delay_alu instid0(VALU_DEP_3) | instskip(NEXT) | instid1(VALU_DEP_3)
	v_mul_u32_u24_e32 v56, 0x10001, v56
	v_pk_fma_f16 v55, v6, v8, v4
	s_delay_alu instid0(VALU_DEP_3) | instskip(SKIP_4) | instid1(VALU_DEP_1)
	v_pk_fma_f16 v11, v6, v10, v11
	v_pk_fma_f16 v9, v7, v10, v9
	;; [unrolled: 1-line block ×3, first 2 shown]
	ds_load_2addr_b64 v[4:7], v57 offset1:32
	v_lshrrev_b32_e32 v10, 16, v78
	v_mul_u32_u24_e32 v10, 0x10001, v10
	s_wait_dscnt 0x0
	v_pk_fma_f16 v11, v4, v56, v11
	s_delay_alu instid0(VALU_DEP_2)
	v_pk_fma_f16 v4, v4, v10, v55
	v_pk_fma_f16 v9, v5, v56, v9
	;; [unrolled: 1-line block ×3, first 2 shown]
	v_lshrrev_b32_e32 v8, 16, v79
	v_and_b32_e32 v10, 0xffff, v79
	v_and_b32_e32 v56, 0xffff, v80
	s_delay_alu instid0(VALU_DEP_3) | instskip(NEXT) | instid1(VALU_DEP_3)
	v_mul_u32_u24_e32 v8, 0x10001, v8
	v_mul_u32_u24_e32 v10, 0x10001, v10
	s_delay_alu instid0(VALU_DEP_3) | instskip(NEXT) | instid1(VALU_DEP_3)
	v_mul_u32_u24_e32 v56, 0x10001, v56
	v_pk_fma_f16 v55, v6, v8, v4
	s_delay_alu instid0(VALU_DEP_3) | instskip(SKIP_4) | instid1(VALU_DEP_1)
	v_pk_fma_f16 v11, v6, v10, v11
	v_pk_fma_f16 v9, v7, v10, v9
	;; [unrolled: 1-line block ×3, first 2 shown]
	ds_load_2addr_b64 v[4:7], v57 offset0:64 offset1:96
	v_lshrrev_b32_e32 v10, 16, v80
	v_mul_u32_u24_e32 v10, 0x10001, v10
	s_wait_dscnt 0x0
	v_pk_fma_f16 v11, v4, v56, v11
	s_delay_alu instid0(VALU_DEP_2)
	v_pk_fma_f16 v4, v4, v10, v55
	v_pk_fma_f16 v9, v5, v56, v9
	;; [unrolled: 1-line block ×3, first 2 shown]
	v_lshrrev_b32_e32 v8, 16, v81
	v_and_b32_e32 v10, 0xffff, v81
	v_add_nc_u32_e32 v56, 0x1000, v52
	s_delay_alu instid0(VALU_DEP_3) | instskip(NEXT) | instid1(VALU_DEP_3)
	v_mul_u32_u24_e32 v8, 0x10001, v8
	v_mul_u32_u24_e32 v10, 0x10001, v10
	s_delay_alu instid0(VALU_DEP_2) | instskip(NEXT) | instid1(VALU_DEP_2)
	v_pk_fma_f16 v55, v6, v8, v4
	v_pk_fma_f16 v11, v6, v10, v11
	;; [unrolled: 1-line block ×4, first 2 shown]
	ds_load_2addr_b64 v[4:7], v57 offset0:128 offset1:160
	v_lshrrev_b32_e32 v10, 16, v0
	v_and_b32_e32 v0, 0xffff, v0
	s_delay_alu instid0(VALU_DEP_2) | instskip(NEXT) | instid1(VALU_DEP_2)
	v_mul_u32_u24_e32 v10, 0x10001, v10
	v_mul_u32_u24_e32 v0, 0x10001, v0
	s_wait_dscnt 0x0
	s_delay_alu instid0(VALU_DEP_1)
	v_pk_fma_f16 v11, v4, v0, v11
	v_pk_fma_f16 v0, v5, v0, v9
	;; [unrolled: 1-line block ×3, first 2 shown]
	v_lshrrev_b32_e32 v8, 16, v1
	v_and_b32_e32 v1, 0xffff, v1
	v_pk_fma_f16 v4, v4, v10, v55
	s_delay_alu instid0(VALU_DEP_3) | instskip(NEXT) | instid1(VALU_DEP_3)
	v_mul_u32_u24_e32 v8, 0x10001, v8
	v_mul_u32_u24_e32 v1, 0x10001, v1
	s_delay_alu instid0(VALU_DEP_2) | instskip(NEXT) | instid1(VALU_DEP_2)
	v_pk_fma_f16 v10, v6, v8, v4
	v_pk_fma_f16 v9, v6, v1, v11
	;; [unrolled: 1-line block ×4, first 2 shown]
	ds_load_2addr_b64 v[4:7], v57 offset0:192 offset1:224
	v_lshrrev_b32_e32 v8, 16, v2
	v_and_b32_e32 v2, 0xffff, v2
	s_delay_alu instid0(VALU_DEP_2) | instskip(NEXT) | instid1(VALU_DEP_2)
	v_mul_u32_u24_e32 v8, 0x10001, v8
	v_mul_u32_u24_e32 v2, 0x10001, v2
	s_wait_dscnt 0x0
	s_delay_alu instid0(VALU_DEP_1)
	v_pk_fma_f16 v9, v4, v2, v9
	v_pk_fma_f16 v0, v5, v2, v0
	v_lshrrev_b32_e32 v2, 16, v3
	v_and_b32_e32 v3, 0xffff, v3
	v_pk_fma_f16 v4, v4, v8, v10
	v_pk_fma_f16 v1, v5, v8, v1
	s_delay_alu instid0(VALU_DEP_4) | instskip(NEXT) | instid1(VALU_DEP_4)
	v_mul_u32_u24_e32 v2, 0x10001, v2
	v_mul_u32_u24_e32 v3, 0x10001, v3
	s_delay_alu instid0(VALU_DEP_2) | instskip(NEXT) | instid1(VALU_DEP_2)
	v_pk_fma_f16 v11, v7, v2, v1
	v_pk_fma_f16 v8, v6, v3, v9
	;; [unrolled: 1-line block ×4, first 2 shown]
	ds_load_2addr_b64 v[0:3], v56 offset1:32
	ds_load_b128 v[4:7], v59 offset:64
	s_wait_dscnt 0x0
	v_lshrrev_b32_e32 v55, 16, v4
	v_and_b32_e32 v4, 0xffff, v4
	s_delay_alu instid0(VALU_DEP_2) | instskip(NEXT) | instid1(VALU_DEP_2)
	v_mul_u32_u24_e32 v55, 0x10001, v55
	v_mul_u32_u24_e32 v4, 0x10001, v4
	s_delay_alu instid0(VALU_DEP_1) | instskip(NEXT) | instid1(VALU_DEP_3)
	v_pk_fma_f16 v8, v0, v4, v8
	v_pk_fma_f16 v0, v0, v55, v9
	v_lshrrev_b32_e32 v9, 16, v5
	v_and_b32_e32 v5, 0xffff, v5
	v_pk_fma_f16 v4, v1, v4, v10
	v_pk_fma_f16 v1, v1, v55, v11
	s_delay_alu instid0(VALU_DEP_4) | instskip(NEXT) | instid1(VALU_DEP_4)
	v_mul_u32_u24_e32 v9, 0x10001, v9
	v_mul_u32_u24_e32 v5, 0x10001, v5
	s_delay_alu instid0(VALU_DEP_2) | instskip(NEXT) | instid1(VALU_DEP_2)
	v_pk_fma_f16 v10, v2, v9, v0
	v_pk_fma_f16 v8, v2, v5, v8
	;; [unrolled: 1-line block ×4, first 2 shown]
	ds_load_2addr_b64 v[0:3], v56 offset0:64 offset1:96
	v_lshrrev_b32_e32 v9, 16, v6
	v_and_b32_e32 v6, 0xffff, v6
	s_delay_alu instid0(VALU_DEP_2) | instskip(NEXT) | instid1(VALU_DEP_2)
	v_mul_u32_u24_e32 v9, 0x10001, v9
	v_mul_u32_u24_e32 v6, 0x10001, v6
	s_wait_dscnt 0x0
	s_delay_alu instid0(VALU_DEP_1)
	v_pk_fma_f16 v8, v0, v6, v8
	v_pk_fma_f16 v4, v1, v6, v4
	;; [unrolled: 1-line block ×3, first 2 shown]
	v_lshrrev_b32_e32 v5, 16, v7
	v_and_b32_e32 v6, 0xffff, v7
	v_pk_fma_f16 v0, v0, v9, v10
	s_delay_alu instid0(VALU_DEP_3) | instskip(NEXT) | instid1(VALU_DEP_3)
	v_mul_u32_u24_e32 v5, 0x10001, v5
	v_mul_u32_u24_e32 v6, 0x10001, v6
	s_delay_alu instid0(VALU_DEP_2) | instskip(NEXT) | instid1(VALU_DEP_2)
	v_pk_fma_f16 v9, v2, v5, v0
	v_pk_fma_f16 v8, v2, v6, v8
	;; [unrolled: 1-line block ×4, first 2 shown]
	ds_load_2addr_b64 v[0:3], v56 offset0:128 offset1:160
	ds_load_b128 v[4:7], v59 offset:80
	s_wait_dscnt 0x0
	v_lshrrev_b32_e32 v55, 16, v4
	v_and_b32_e32 v4, 0xffff, v4
	s_delay_alu instid0(VALU_DEP_2) | instskip(NEXT) | instid1(VALU_DEP_2)
	v_mul_u32_u24_e32 v55, 0x10001, v55
	v_mul_u32_u24_e32 v4, 0x10001, v4
	s_delay_alu instid0(VALU_DEP_1) | instskip(NEXT) | instid1(VALU_DEP_3)
	v_pk_fma_f16 v8, v0, v4, v8
	v_pk_fma_f16 v0, v0, v55, v9
	v_lshrrev_b32_e32 v9, 16, v5
	v_and_b32_e32 v5, 0xffff, v5
	v_pk_fma_f16 v4, v1, v4, v10
	v_pk_fma_f16 v1, v1, v55, v11
	v_add_nc_u32_e32 v55, 0x1800, v52
	v_mul_u32_u24_e32 v9, 0x10001, v9
	v_mul_u32_u24_e32 v5, 0x10001, v5
	s_delay_alu instid0(VALU_DEP_2) | instskip(NEXT) | instid1(VALU_DEP_2)
	v_pk_fma_f16 v10, v2, v9, v0
	v_pk_fma_f16 v8, v2, v5, v8
	v_pk_fma_f16 v4, v3, v5, v4
	v_pk_fma_f16 v5, v3, v9, v1
	ds_load_2addr_b64 v[0:3], v56 offset0:192 offset1:224
	v_lshrrev_b32_e32 v9, 16, v6
	v_and_b32_e32 v6, 0xffff, v6
	s_delay_alu instid0(VALU_DEP_2) | instskip(NEXT) | instid1(VALU_DEP_2)
	v_mul_u32_u24_e32 v9, 0x10001, v9
	v_mul_u32_u24_e32 v6, 0x10001, v6
	s_wait_dscnt 0x0
	s_delay_alu instid0(VALU_DEP_1)
	v_pk_fma_f16 v8, v0, v6, v8
	v_pk_fma_f16 v4, v1, v6, v4
	;; [unrolled: 1-line block ×3, first 2 shown]
	v_lshrrev_b32_e32 v5, 16, v7
	v_and_b32_e32 v6, 0xffff, v7
	v_pk_fma_f16 v0, v0, v9, v10
	s_delay_alu instid0(VALU_DEP_3) | instskip(NEXT) | instid1(VALU_DEP_3)
	v_mul_u32_u24_e32 v5, 0x10001, v5
	v_mul_u32_u24_e32 v6, 0x10001, v6
	s_delay_alu instid0(VALU_DEP_2) | instskip(NEXT) | instid1(VALU_DEP_2)
	v_pk_fma_f16 v9, v2, v5, v0
	v_pk_fma_f16 v8, v2, v6, v8
	;; [unrolled: 1-line block ×4, first 2 shown]
	ds_load_2addr_b64 v[0:3], v55 offset1:32
	ds_load_b128 v[4:7], v59 offset:96
	s_wait_dscnt 0x0
	v_lshrrev_b32_e32 v70, 16, v4
	v_and_b32_e32 v4, 0xffff, v4
	s_delay_alu instid0(VALU_DEP_2) | instskip(NEXT) | instid1(VALU_DEP_2)
	v_mul_u32_u24_e32 v70, 0x10001, v70
	v_mul_u32_u24_e32 v4, 0x10001, v4
	s_delay_alu instid0(VALU_DEP_1) | instskip(NEXT) | instid1(VALU_DEP_3)
	v_pk_fma_f16 v8, v0, v4, v8
	v_pk_fma_f16 v0, v0, v70, v9
	v_lshrrev_b32_e32 v9, 16, v5
	v_and_b32_e32 v5, 0xffff, v5
	v_pk_fma_f16 v4, v1, v4, v10
	v_pk_fma_f16 v1, v1, v70, v11
	s_delay_alu instid0(VALU_DEP_4) | instskip(NEXT) | instid1(VALU_DEP_4)
	v_mul_u32_u24_e32 v9, 0x10001, v9
	v_mul_u32_u24_e32 v5, 0x10001, v5
	s_delay_alu instid0(VALU_DEP_2) | instskip(NEXT) | instid1(VALU_DEP_2)
	v_pk_fma_f16 v10, v2, v9, v0
	v_pk_fma_f16 v8, v2, v5, v8
	;; [unrolled: 1-line block ×4, first 2 shown]
	ds_load_2addr_b64 v[0:3], v55 offset0:64 offset1:96
	v_lshrrev_b32_e32 v9, 16, v6
	v_and_b32_e32 v6, 0xffff, v6
	s_delay_alu instid0(VALU_DEP_2) | instskip(NEXT) | instid1(VALU_DEP_2)
	v_mul_u32_u24_e32 v9, 0x10001, v9
	v_mul_u32_u24_e32 v6, 0x10001, v6
	s_wait_dscnt 0x0
	s_delay_alu instid0(VALU_DEP_1)
	v_pk_fma_f16 v8, v0, v6, v8
	v_pk_fma_f16 v4, v1, v6, v4
	;; [unrolled: 1-line block ×3, first 2 shown]
	v_lshrrev_b32_e32 v5, 16, v7
	v_and_b32_e32 v6, 0xffff, v7
	v_pk_fma_f16 v0, v0, v9, v10
	s_delay_alu instid0(VALU_DEP_3) | instskip(NEXT) | instid1(VALU_DEP_3)
	v_mul_u32_u24_e32 v5, 0x10001, v5
	v_mul_u32_u24_e32 v6, 0x10001, v6
	s_delay_alu instid0(VALU_DEP_2) | instskip(NEXT) | instid1(VALU_DEP_2)
	v_pk_fma_f16 v9, v2, v5, v0
	v_pk_fma_f16 v8, v2, v6, v8
	v_pk_fma_f16 v10, v3, v6, v4
	v_pk_fma_f16 v11, v3, v5, v1
	ds_load_2addr_b64 v[0:3], v55 offset0:128 offset1:160
	ds_load_b128 v[4:7], v59 offset:112
	s_wait_dscnt 0x0
	v_lshrrev_b32_e32 v70, 16, v4
	v_and_b32_e32 v4, 0xffff, v4
	s_delay_alu instid0(VALU_DEP_2) | instskip(NEXT) | instid1(VALU_DEP_2)
	v_mul_u32_u24_e32 v70, 0x10001, v70
	v_mul_u32_u24_e32 v4, 0x10001, v4
	s_delay_alu instid0(VALU_DEP_1) | instskip(NEXT) | instid1(VALU_DEP_3)
	v_pk_fma_f16 v8, v0, v4, v8
	v_pk_fma_f16 v0, v0, v70, v9
	v_lshrrev_b32_e32 v9, 16, v5
	v_and_b32_e32 v5, 0xffff, v5
	v_pk_fma_f16 v4, v1, v4, v10
	v_pk_fma_f16 v1, v1, v70, v11
	s_delay_alu instid0(VALU_DEP_4) | instskip(NEXT) | instid1(VALU_DEP_4)
	v_mul_u32_u24_e32 v9, 0x10001, v9
	v_mul_u32_u24_e32 v5, 0x10001, v5
	s_delay_alu instid0(VALU_DEP_2) | instskip(NEXT) | instid1(VALU_DEP_2)
	v_pk_fma_f16 v10, v2, v9, v0
	v_pk_fma_f16 v8, v2, v5, v8
	;; [unrolled: 1-line block ×4, first 2 shown]
	ds_load_2addr_b64 v[0:3], v55 offset0:192 offset1:224
	v_lshrrev_b32_e32 v9, 16, v6
	v_and_b32_e32 v6, 0xffff, v6
	s_wait_dscnt 0x0
	s_barrier_signal -1
	s_barrier_wait -1
	v_mul_u32_u24_e32 v9, 0x10001, v9
	v_mul_u32_u24_e32 v6, 0x10001, v6
	s_delay_alu instid0(VALU_DEP_1) | instskip(NEXT) | instid1(VALU_DEP_3)
	v_pk_fma_f16 v4, v1, v6, v4
	v_pk_fma_f16 v1, v1, v9, v5
	v_lshrrev_b32_e32 v5, 16, v7
	v_pk_fma_f16 v8, v0, v6, v8
	v_pk_fma_f16 v0, v0, v9, v10
	v_and_b32_e32 v6, 0xffff, v7
	s_delay_alu instid0(VALU_DEP_4) | instskip(NEXT) | instid1(VALU_DEP_2)
	v_mul_u32_u24_e32 v5, 0x10001, v5
	v_mul_u32_u24_e32 v6, 0x10001, v6
	s_delay_alu instid0(VALU_DEP_2) | instskip(SKIP_2) | instid1(VALU_DEP_4)
	v_pk_fma_f16 v71, v2, v5, v0
	v_pk_fma_f16 v73, v3, v5, v1
	v_add_nc_u64_e32 v[0:1], s[24:25], v[36:37]
	v_pk_fma_f16 v70, v2, v6, v8
	v_pk_fma_f16 v72, v3, v6, v4
	s_delay_alu instid0(VALU_DEP_3) | instskip(SKIP_4) | instid1(VALU_DEP_1)
	v_add_nc_u64_e32 v[0:1], v[0:1], v[26:27]
	global_load_b128 v[0:3], v[0:1], off
	s_wait_loadcnt 0x0
	ds_store_b128 v62, v[0:3]
	v_add_nc_u64_e32 v[0:1], s[24:25], v[40:41]
	v_add_nc_u64_e32 v[0:1], v[0:1], v[26:27]
	global_load_b128 v[0:3], v[0:1], off
	s_wait_loadcnt 0x0
	ds_store_b128 v66, v[0:3]
	v_add_nc_u64_e32 v[0:1], s[24:25], v[42:43]
	s_delay_alu instid0(VALU_DEP_1) | instskip(SKIP_4) | instid1(VALU_DEP_1)
	v_add_nc_u64_e32 v[0:1], v[0:1], v[26:27]
	global_load_b128 v[0:3], v[0:1], off
	s_wait_loadcnt 0x0
	ds_store_b128 v67, v[0:3]
	v_add_nc_u64_e32 v[0:1], s[24:25], v[44:45]
	v_add_nc_u64_e32 v[0:1], v[0:1], v[26:27]
	global_load_b128 v[0:3], v[0:1], off
	s_wait_loadcnt 0x0
	ds_store_b128 v68, v[0:3]
	s_wait_dscnt 0x0
	s_barrier_signal -1
	s_barrier_wait -1
	ds_load_2addr_b64 v[74:77], v52 offset1:32
	ds_load_b128 v[78:81], v59 offset:128
	ds_load_b128 v[8:11], v59 offset:144
	;; [unrolled: 1-line block ×4, first 2 shown]
	s_wait_dscnt 0x3
	v_lshrrev_b32_e32 v82, 16, v78
	v_and_b32_e32 v78, 0xffff, v78
	s_delay_alu instid0(VALU_DEP_2) | instskip(NEXT) | instid1(VALU_DEP_2)
	v_mul_u32_u24_e32 v82, 0x10001, v82
	v_mul_u32_u24_e32 v78, 0x10001, v78
	s_delay_alu instid0(VALU_DEP_2) | instskip(NEXT) | instid1(VALU_DEP_2)
	v_pk_fma_f16 v71, v74, v82, v71
	v_pk_fma_f16 v70, v74, v78, v70
	;; [unrolled: 1-line block ×4, first 2 shown]
	v_lshrrev_b32_e32 v74, 16, v79
	v_and_b32_e32 v75, 0xffff, v79
	v_and_b32_e32 v79, 0xffff, v80
	s_delay_alu instid0(VALU_DEP_3) | instskip(NEXT) | instid1(VALU_DEP_3)
	v_mul_u32_u24_e32 v74, 0x10001, v74
	v_mul_u32_u24_e32 v75, 0x10001, v75
	s_delay_alu instid0(VALU_DEP_3) | instskip(NEXT) | instid1(VALU_DEP_2)
	v_mul_u32_u24_e32 v79, 0x10001, v79
	v_pk_fma_f16 v78, v76, v75, v70
	s_delay_alu instid0(VALU_DEP_4) | instskip(SKIP_4) | instid1(VALU_DEP_1)
	v_pk_fma_f16 v76, v76, v74, v71
	v_pk_fma_f16 v75, v77, v75, v72
	;; [unrolled: 1-line block ×3, first 2 shown]
	ds_load_2addr_b64 v[70:73], v52 offset0:64 offset1:96
	v_lshrrev_b32_e32 v77, 16, v80
	v_mul_u32_u24_e32 v77, 0x10001, v77
	s_wait_dscnt 0x0
	v_pk_fma_f16 v78, v70, v79, v78
	s_delay_alu instid0(VALU_DEP_2) | instskip(SKIP_4) | instid1(VALU_DEP_2)
	v_pk_fma_f16 v70, v70, v77, v76
	v_pk_fma_f16 v75, v71, v79, v75
	;; [unrolled: 1-line block ×3, first 2 shown]
	v_lshrrev_b32_e32 v74, 16, v81
	v_and_b32_e32 v76, 0xffff, v81
	v_mul_u32_u24_e32 v74, 0x10001, v74
	s_delay_alu instid0(VALU_DEP_2) | instskip(NEXT) | instid1(VALU_DEP_1)
	v_mul_u32_u24_e32 v76, 0x10001, v76
	v_pk_fma_f16 v77, v72, v76, v78
	s_delay_alu instid0(VALU_DEP_3)
	v_pk_fma_f16 v78, v72, v74, v70
	v_pk_fma_f16 v75, v73, v76, v75
	;; [unrolled: 1-line block ×3, first 2 shown]
	ds_load_2addr_b64 v[70:73], v52 offset0:128 offset1:160
	v_lshrrev_b32_e32 v76, 16, v8
	v_and_b32_e32 v8, 0xffff, v8
	s_delay_alu instid0(VALU_DEP_2) | instskip(NEXT) | instid1(VALU_DEP_2)
	v_mul_u32_u24_e32 v76, 0x10001, v76
	v_mul_u32_u24_e32 v8, 0x10001, v8
	s_wait_dscnt 0x0
	s_delay_alu instid0(VALU_DEP_1)
	v_pk_fma_f16 v77, v70, v8, v77
	v_pk_fma_f16 v8, v71, v8, v75
	;; [unrolled: 1-line block ×3, first 2 shown]
	v_lshrrev_b32_e32 v74, 16, v9
	v_and_b32_e32 v9, 0xffff, v9
	v_pk_fma_f16 v70, v70, v76, v78
	s_delay_alu instid0(VALU_DEP_3) | instskip(NEXT) | instid1(VALU_DEP_3)
	v_mul_u32_u24_e32 v74, 0x10001, v74
	v_mul_u32_u24_e32 v9, 0x10001, v9
	s_delay_alu instid0(VALU_DEP_2) | instskip(NEXT) | instid1(VALU_DEP_2)
	v_pk_fma_f16 v76, v72, v74, v70
	v_pk_fma_f16 v75, v72, v9, v77
	;; [unrolled: 1-line block ×4, first 2 shown]
	ds_load_2addr_b64 v[70:73], v52 offset0:192 offset1:224
	v_lshrrev_b32_e32 v74, 16, v10
	v_and_b32_e32 v10, 0xffff, v10
	s_delay_alu instid0(VALU_DEP_1) | instskip(SKIP_1) | instid1(VALU_DEP_1)
	v_mul_u32_u24_e32 v10, 0x10001, v10
	s_wait_dscnt 0x0
	v_pk_fma_f16 v75, v70, v10, v75
	v_pk_fma_f16 v8, v71, v10, v8
	v_lshrrev_b32_e32 v10, 16, v11
	v_mul_u32_u24_e32 v74, 0x10001, v74
	v_and_b32_e32 v11, 0xffff, v11
	s_delay_alu instid0(VALU_DEP_3) | instskip(NEXT) | instid1(VALU_DEP_3)
	v_mul_u32_u24_e32 v10, 0x10001, v10
	v_pk_fma_f16 v70, v70, v74, v76
	v_pk_fma_f16 v9, v71, v74, v9
	s_delay_alu instid0(VALU_DEP_4) | instskip(SKIP_3) | instid1(VALU_DEP_4)
	v_mul_u32_u24_e32 v11, 0x10001, v11
	v_lshrrev_b32_e32 v74, 16, v4
	v_and_b32_e32 v4, 0xffff, v4
	v_pk_fma_f16 v70, v72, v10, v70
	v_pk_fma_f16 v71, v72, v11, v75
	;; [unrolled: 1-line block ×4, first 2 shown]
	ds_load_2addr_b64 v[8:11], v57 offset1:32
	v_mul_u32_u24_e32 v4, 0x10001, v4
	v_mul_u32_u24_e32 v74, 0x10001, v74
	s_wait_dscnt 0x0
	s_delay_alu instid0(VALU_DEP_2) | instskip(NEXT) | instid1(VALU_DEP_2)
	v_pk_fma_f16 v71, v8, v4, v71
	v_pk_fma_f16 v8, v8, v74, v70
	v_lshrrev_b32_e32 v70, 16, v5
	v_and_b32_e32 v5, 0xffff, v5
	v_pk_fma_f16 v4, v9, v4, v72
	v_pk_fma_f16 v9, v9, v74, v73
	s_delay_alu instid0(VALU_DEP_4) | instskip(NEXT) | instid1(VALU_DEP_4)
	v_mul_u32_u24_e32 v70, 0x10001, v70
	v_mul_u32_u24_e32 v5, 0x10001, v5
	s_delay_alu instid0(VALU_DEP_2) | instskip(NEXT) | instid1(VALU_DEP_2)
	v_pk_fma_f16 v72, v10, v70, v8
	v_pk_fma_f16 v71, v10, v5, v71
	;; [unrolled: 1-line block ×4, first 2 shown]
	ds_load_2addr_b64 v[8:11], v57 offset0:64 offset1:96
	v_lshrrev_b32_e32 v70, 16, v6
	v_and_b32_e32 v6, 0xffff, v6
	s_delay_alu instid0(VALU_DEP_1) | instskip(SKIP_1) | instid1(VALU_DEP_1)
	v_mul_u32_u24_e32 v6, 0x10001, v6
	s_wait_dscnt 0x0
	v_pk_fma_f16 v71, v8, v6, v71
	v_pk_fma_f16 v4, v9, v6, v4
	v_lshrrev_b32_e32 v6, 16, v7
	v_mul_u32_u24_e32 v70, 0x10001, v70
	v_and_b32_e32 v7, 0xffff, v7
	s_delay_alu instid0(VALU_DEP_3) | instskip(NEXT) | instid1(VALU_DEP_3)
	v_mul_u32_u24_e32 v6, 0x10001, v6
	v_pk_fma_f16 v8, v8, v70, v72
	v_pk_fma_f16 v5, v9, v70, v5
	s_delay_alu instid0(VALU_DEP_4) | instskip(SKIP_3) | instid1(VALU_DEP_4)
	v_mul_u32_u24_e32 v7, 0x10001, v7
	v_lshrrev_b32_e32 v70, 16, v0
	v_and_b32_e32 v0, 0xffff, v0
	v_pk_fma_f16 v8, v10, v6, v8
	v_pk_fma_f16 v9, v10, v7, v71
	;; [unrolled: 1-line block ×4, first 2 shown]
	ds_load_2addr_b64 v[4:7], v57 offset0:128 offset1:160
	v_mul_u32_u24_e32 v0, 0x10001, v0
	v_mul_u32_u24_e32 v70, 0x10001, v70
	s_wait_dscnt 0x0
	s_delay_alu instid0(VALU_DEP_2) | instskip(NEXT) | instid1(VALU_DEP_2)
	v_pk_fma_f16 v9, v4, v0, v9
	v_pk_fma_f16 v4, v4, v70, v8
	v_lshrrev_b32_e32 v8, 16, v1
	v_and_b32_e32 v1, 0xffff, v1
	v_pk_fma_f16 v0, v5, v0, v10
	v_pk_fma_f16 v5, v5, v70, v11
	s_delay_alu instid0(VALU_DEP_4) | instskip(NEXT) | instid1(VALU_DEP_4)
	v_mul_u32_u24_e32 v8, 0x10001, v8
	v_mul_u32_u24_e32 v1, 0x10001, v1
	s_delay_alu instid0(VALU_DEP_2) | instskip(NEXT) | instid1(VALU_DEP_2)
	v_pk_fma_f16 v10, v6, v8, v4
	v_pk_fma_f16 v9, v6, v1, v9
	;; [unrolled: 1-line block ×4, first 2 shown]
	ds_load_2addr_b64 v[4:7], v57 offset0:192 offset1:224
	v_lshrrev_b32_e32 v8, 16, v2
	v_and_b32_e32 v2, 0xffff, v2
	s_delay_alu instid0(VALU_DEP_1) | instskip(SKIP_1) | instid1(VALU_DEP_1)
	v_mul_u32_u24_e32 v2, 0x10001, v2
	s_wait_dscnt 0x0
	v_pk_fma_f16 v9, v4, v2, v9
	v_pk_fma_f16 v0, v5, v2, v0
	v_lshrrev_b32_e32 v2, 16, v3
	v_mul_u32_u24_e32 v8, 0x10001, v8
	v_and_b32_e32 v3, 0xffff, v3
	s_delay_alu instid0(VALU_DEP_3) | instskip(NEXT) | instid1(VALU_DEP_3)
	v_mul_u32_u24_e32 v2, 0x10001, v2
	v_pk_fma_f16 v4, v4, v8, v10
	v_pk_fma_f16 v1, v5, v8, v1
	s_delay_alu instid0(VALU_DEP_4) | instskip(NEXT) | instid1(VALU_DEP_2)
	v_mul_u32_u24_e32 v3, 0x10001, v3
	v_pk_fma_f16 v11, v7, v2, v1
	s_delay_alu instid0(VALU_DEP_2)
	v_pk_fma_f16 v8, v6, v3, v9
	v_pk_fma_f16 v9, v6, v2, v4
	;; [unrolled: 1-line block ×3, first 2 shown]
	ds_load_2addr_b64 v[0:3], v56 offset1:32
	ds_load_b128 v[4:7], v59 offset:192
	s_wait_dscnt 0x0
	v_lshrrev_b32_e32 v57, 16, v4
	v_and_b32_e32 v4, 0xffff, v4
	s_delay_alu instid0(VALU_DEP_2) | instskip(NEXT) | instid1(VALU_DEP_2)
	v_mul_u32_u24_e32 v57, 0x10001, v57
	v_mul_u32_u24_e32 v4, 0x10001, v4
	s_delay_alu instid0(VALU_DEP_1) | instskip(NEXT) | instid1(VALU_DEP_3)
	v_pk_fma_f16 v8, v0, v4, v8
	v_pk_fma_f16 v0, v0, v57, v9
	v_lshrrev_b32_e32 v9, 16, v5
	v_and_b32_e32 v5, 0xffff, v5
	v_pk_fma_f16 v4, v1, v4, v10
	v_pk_fma_f16 v1, v1, v57, v11
	s_delay_alu instid0(VALU_DEP_4) | instskip(NEXT) | instid1(VALU_DEP_4)
	v_mul_u32_u24_e32 v9, 0x10001, v9
	v_mul_u32_u24_e32 v5, 0x10001, v5
	s_delay_alu instid0(VALU_DEP_2) | instskip(NEXT) | instid1(VALU_DEP_2)
	v_pk_fma_f16 v10, v2, v9, v0
	v_pk_fma_f16 v8, v2, v5, v8
	;; [unrolled: 1-line block ×4, first 2 shown]
	ds_load_2addr_b64 v[0:3], v56 offset0:64 offset1:96
	v_lshrrev_b32_e32 v9, 16, v6
	v_and_b32_e32 v6, 0xffff, v6
	s_delay_alu instid0(VALU_DEP_2) | instskip(NEXT) | instid1(VALU_DEP_2)
	v_mul_u32_u24_e32 v9, 0x10001, v9
	v_mul_u32_u24_e32 v6, 0x10001, v6
	s_wait_dscnt 0x0
	s_delay_alu instid0(VALU_DEP_1)
	v_pk_fma_f16 v8, v0, v6, v8
	v_pk_fma_f16 v4, v1, v6, v4
	;; [unrolled: 1-line block ×3, first 2 shown]
	v_lshrrev_b32_e32 v5, 16, v7
	v_and_b32_e32 v6, 0xffff, v7
	v_pk_fma_f16 v0, v0, v9, v10
	s_delay_alu instid0(VALU_DEP_3) | instskip(NEXT) | instid1(VALU_DEP_3)
	v_mul_u32_u24_e32 v5, 0x10001, v5
	v_mul_u32_u24_e32 v6, 0x10001, v6
	s_delay_alu instid0(VALU_DEP_2) | instskip(NEXT) | instid1(VALU_DEP_2)
	v_pk_fma_f16 v9, v2, v5, v0
	v_pk_fma_f16 v8, v2, v6, v8
	;; [unrolled: 1-line block ×4, first 2 shown]
	ds_load_2addr_b64 v[0:3], v56 offset0:128 offset1:160
	ds_load_b128 v[4:7], v59 offset:208
	s_wait_dscnt 0x0
	v_lshrrev_b32_e32 v57, 16, v4
	v_and_b32_e32 v4, 0xffff, v4
	s_delay_alu instid0(VALU_DEP_2) | instskip(NEXT) | instid1(VALU_DEP_2)
	v_mul_u32_u24_e32 v57, 0x10001, v57
	v_mul_u32_u24_e32 v4, 0x10001, v4
	s_delay_alu instid0(VALU_DEP_1) | instskip(NEXT) | instid1(VALU_DEP_3)
	v_pk_fma_f16 v8, v0, v4, v8
	v_pk_fma_f16 v0, v0, v57, v9
	v_lshrrev_b32_e32 v9, 16, v5
	v_and_b32_e32 v5, 0xffff, v5
	v_pk_fma_f16 v4, v1, v4, v10
	v_pk_fma_f16 v1, v1, v57, v11
	s_delay_alu instid0(VALU_DEP_4) | instskip(NEXT) | instid1(VALU_DEP_4)
	v_mul_u32_u24_e32 v9, 0x10001, v9
	v_mul_u32_u24_e32 v5, 0x10001, v5
	s_delay_alu instid0(VALU_DEP_2) | instskip(NEXT) | instid1(VALU_DEP_2)
	v_pk_fma_f16 v10, v2, v9, v0
	v_pk_fma_f16 v8, v2, v5, v8
	;; [unrolled: 1-line block ×4, first 2 shown]
	ds_load_2addr_b64 v[0:3], v56 offset0:192 offset1:224
	v_lshrrev_b32_e32 v9, 16, v6
	v_and_b32_e32 v6, 0xffff, v6
	s_delay_alu instid0(VALU_DEP_2) | instskip(NEXT) | instid1(VALU_DEP_2)
	v_mul_u32_u24_e32 v9, 0x10001, v9
	v_mul_u32_u24_e32 v6, 0x10001, v6
	s_wait_dscnt 0x0
	s_delay_alu instid0(VALU_DEP_1)
	v_pk_fma_f16 v8, v0, v6, v8
	v_pk_fma_f16 v4, v1, v6, v4
	;; [unrolled: 1-line block ×3, first 2 shown]
	v_lshrrev_b32_e32 v5, 16, v7
	v_and_b32_e32 v6, 0xffff, v7
	v_pk_fma_f16 v0, v0, v9, v10
	s_delay_alu instid0(VALU_DEP_3) | instskip(NEXT) | instid1(VALU_DEP_3)
	v_mul_u32_u24_e32 v5, 0x10001, v5
	v_mul_u32_u24_e32 v6, 0x10001, v6
	s_delay_alu instid0(VALU_DEP_2) | instskip(NEXT) | instid1(VALU_DEP_2)
	v_pk_fma_f16 v9, v2, v5, v0
	v_pk_fma_f16 v8, v2, v6, v8
	;; [unrolled: 1-line block ×4, first 2 shown]
	ds_load_2addr_b64 v[0:3], v55 offset1:32
	ds_load_b128 v[4:7], v59 offset:224
	s_wait_dscnt 0x0
	v_lshrrev_b32_e32 v56, 16, v4
	v_and_b32_e32 v4, 0xffff, v4
	s_delay_alu instid0(VALU_DEP_2) | instskip(NEXT) | instid1(VALU_DEP_2)
	v_mul_u32_u24_e32 v56, 0x10001, v56
	v_mul_u32_u24_e32 v4, 0x10001, v4
	s_delay_alu instid0(VALU_DEP_1) | instskip(NEXT) | instid1(VALU_DEP_3)
	v_pk_fma_f16 v8, v0, v4, v8
	v_pk_fma_f16 v0, v0, v56, v9
	v_lshrrev_b32_e32 v9, 16, v5
	v_and_b32_e32 v5, 0xffff, v5
	v_pk_fma_f16 v4, v1, v4, v10
	v_pk_fma_f16 v1, v1, v56, v11
	s_delay_alu instid0(VALU_DEP_4) | instskip(NEXT) | instid1(VALU_DEP_4)
	v_mul_u32_u24_e32 v9, 0x10001, v9
	v_mul_u32_u24_e32 v5, 0x10001, v5
	s_delay_alu instid0(VALU_DEP_2) | instskip(NEXT) | instid1(VALU_DEP_2)
	v_pk_fma_f16 v10, v2, v9, v0
	v_pk_fma_f16 v8, v2, v5, v8
	;; [unrolled: 1-line block ×4, first 2 shown]
	ds_load_2addr_b64 v[0:3], v55 offset0:64 offset1:96
	v_lshrrev_b32_e32 v9, 16, v6
	v_and_b32_e32 v6, 0xffff, v6
	s_delay_alu instid0(VALU_DEP_2) | instskip(NEXT) | instid1(VALU_DEP_2)
	v_mul_u32_u24_e32 v9, 0x10001, v9
	v_mul_u32_u24_e32 v6, 0x10001, v6
	s_wait_dscnt 0x0
	s_delay_alu instid0(VALU_DEP_1)
	v_pk_fma_f16 v8, v0, v6, v8
	v_pk_fma_f16 v4, v1, v6, v4
	;; [unrolled: 1-line block ×3, first 2 shown]
	v_lshrrev_b32_e32 v5, 16, v7
	v_and_b32_e32 v6, 0xffff, v7
	v_pk_fma_f16 v0, v0, v9, v10
	s_delay_alu instid0(VALU_DEP_3) | instskip(NEXT) | instid1(VALU_DEP_3)
	v_mul_u32_u24_e32 v5, 0x10001, v5
	v_mul_u32_u24_e32 v6, 0x10001, v6
	s_delay_alu instid0(VALU_DEP_2) | instskip(NEXT) | instid1(VALU_DEP_2)
	v_pk_fma_f16 v9, v2, v5, v0
	v_pk_fma_f16 v8, v2, v6, v8
	;; [unrolled: 1-line block ×4, first 2 shown]
	ds_load_2addr_b64 v[4:7], v55 offset0:128 offset1:160
	ds_load_b128 v[0:3], v59 offset:240
	s_wait_dscnt 0x0
	v_lshrrev_b32_e32 v56, 16, v0
	v_and_b32_e32 v0, 0xffff, v0
	s_delay_alu instid0(VALU_DEP_2) | instskip(NEXT) | instid1(VALU_DEP_2)
	v_mul_u32_u24_e32 v56, 0x10001, v56
	v_mul_u32_u24_e32 v0, 0x10001, v0
	s_delay_alu instid0(VALU_DEP_1) | instskip(NEXT) | instid1(VALU_DEP_3)
	v_pk_fma_f16 v8, v4, v0, v8
	v_pk_fma_f16 v4, v4, v56, v9
	v_lshrrev_b32_e32 v9, 16, v1
	v_and_b32_e32 v1, 0xffff, v1
	v_pk_fma_f16 v0, v5, v0, v10
	v_pk_fma_f16 v5, v5, v56, v11
	s_delay_alu instid0(VALU_DEP_4) | instskip(NEXT) | instid1(VALU_DEP_4)
	v_mul_u32_u24_e32 v9, 0x10001, v9
	v_mul_u32_u24_e32 v1, 0x10001, v1
	s_delay_alu instid0(VALU_DEP_2) | instskip(NEXT) | instid1(VALU_DEP_2)
	v_pk_fma_f16 v10, v6, v9, v4
	v_pk_fma_f16 v8, v6, v1, v8
	;; [unrolled: 1-line block ×4, first 2 shown]
	ds_load_2addr_b64 v[4:7], v55 offset0:192 offset1:224
	s_wait_dscnt 0x0
	s_barrier_signal -1
	s_barrier_wait -1
	s_load_b32 s15, s[6:7], 0x4
	v_lshrrev_b32_e32 v9, 16, v2
	v_and_b32_e32 v2, 0xffff, v2
	s_delay_alu instid0(VALU_DEP_1) | instskip(NEXT) | instid1(VALU_DEP_1)
	v_mul_u32_u24_e32 v2, 0x10001, v2
	v_pk_fma_f16 v8, v4, v2, v8
	v_pk_fma_f16 v0, v5, v2, v0
	v_lshrrev_b32_e32 v2, 16, v3
	v_mul_u32_u24_e32 v9, 0x10001, v9
	v_and_b32_e32 v3, 0xffff, v3
	s_wait_kmcnt 0x0
	s_lshl_b32 s15, s15, 6
	v_mul_u32_u24_e32 v2, 0x10001, v2
	v_pk_fma_f16 v4, v4, v9, v10
	v_pk_fma_f16 v1, v5, v9, v1
	v_mul_u32_u24_e32 v3, 0x10001, v3
	s_add_co_i32 s14, s15, s14
	s_delay_alu instid0(VALU_DEP_3) | instskip(NEXT) | instid1(VALU_DEP_3)
	v_pk_fma_f16 v55, v6, v2, v4
	v_pk_fma_f16 v57, v7, v2, v1
	s_delay_alu instid0(VALU_DEP_3)
	v_pk_fma_f16 v56, v6, v3, v8
	v_pk_fma_f16 v70, v7, v3, v0
	s_cmp_lt_i32 s14, s3
	s_cbranch_scc0 .LBB62_20
; %bb.18:                               ;   in Loop: Header=BB62_8 Depth=1
	v_dual_mov_b32 v8, v16 :: v_dual_mov_b32 v9, v17
	s_branch .LBB62_8
.LBB62_19:
	v_mov_b64_e32 v[16:17], 0xfefffffffeffffff
	v_dual_mov_b32 v56, 0 :: v_dual_mov_b32 v18, 0
	v_dual_mov_b32 v70, 0 :: v_dual_mov_b32 v55, 0
	v_mov_b32_e32 v57, 0
.LBB62_20:
	s_cmp_gt_i32 s2, s14
	s_cbranch_scc1 .LBB62_23
; %bb.21:
	v_mbcnt_lo_u32_b32 v0, -1, 0
	v_mov_b32_e32 v34, 32
	s_delay_alu instid0(VALU_DEP_2)
	v_xor_b32_e32 v11, 16, v0
	v_xor_b32_e32 v30, 8, v0
	v_xor_b32_e32 v31, 4, v0
	v_xor_b32_e32 v32, 2, v0
	v_xor_b32_e32 v33, 1, v0
	s_cbranch_execz .LBB62_24
; %bb.22:
	v_mov_b32_e32 v51, v0
	s_branch .LBB62_43
.LBB62_23:
                                        ; implicit-def: $vgpr0
                                        ; implicit-def: $vgpr34
                                        ; implicit-def: $vgpr11
                                        ; implicit-def: $vgpr30
                                        ; implicit-def: $vgpr31
                                        ; implicit-def: $vgpr32
                                        ; implicit-def: $vgpr33
.LBB62_24:
	v_lshl_add_u32 v21, v53, 2, v25
	s_ashr_i32 s15, s14, 31
	s_ashr_i32 s37, s36, 31
	s_mov_b32 s24, 0
	s_mul_u64 s[6:7], s[14:15], s[36:37]
	v_mul_lo_u32 v26, s36, v21
	s_lshl_b64 s[6:7], s[6:7], 2
	v_dual_mov_b32 v0, 0 :: v_dual_lshlrev_b32 v1, 20, v51
	s_add_nc_u64 s[40:41], s[4:5], s[6:7]
	s_mov_b32 s25, s24
	s_mov_b32 s26, s24
	v_dual_mov_b32 v9, 0 :: v_dual_mov_b32 v4, s24
	v_add_nc_u64_e32 v[10:11], src_flat_scratch_base_lo, v[0:1]
	s_sub_co_i32 s7, s2, s14
	s_delay_alu instid0(VALU_DEP_4) | instskip(SKIP_2) | instid1(VALU_DEP_3)
	v_dual_ashrrev_i32 v27, 31, v26 :: v_dual_lshlrev_b32 v8, 2, v24
	v_cmp_gt_i32_e64 s4, s7, v21
	v_dual_mov_b32 v5, s25 :: v_dual_mov_b32 v6, s26
	v_lshl_add_u64 v[2:3], v[26:27], 2, s[40:41]
	s_clause 0x1
	scratch_store_b32 off, v9, off
	scratch_store_b96 off, v[4:6], off offset:4
	s_lshl_b32 s3, s36, 4
	v_add_nc_u64_e32 v[28:29], v[2:3], v[8:9]
	v_dual_add_nc_u32 v26, s3, v26 :: v_dual_add_nc_u32 v7, 16, v21
	s_cmp_lg_u64 s[30:31], 0
	s_delay_alu instid0(VALU_DEP_1) | instskip(NEXT) | instid1(VALU_DEP_3)
	v_cmp_gt_i32_e32 vcc_lo, s7, v7
	v_dual_cndmask_b32 v1, v11, v29, s4 :: v_dual_cndmask_b32 v0, v10, v28, s4
	s_delay_alu instid0(VALU_DEP_3)
	v_ashrrev_i32_e32 v27, 31, v26
	v_mad_u32_u24 v7, 0x90, v21, v8
	v_add_nc_u64_e32 v[28:29], 0x80, v[28:29]
	flat_load_b128 v[0:3], v[0:1]
	v_lshl_add_u64 v[24:25], v[26:27], 2, s[40:41]
	s_clause 0x1
	scratch_store_b32 off, v9, off
	scratch_store_b96 off, v[4:6], off offset:4
	v_cndmask_b32_e64 v29, v11, v29, s4
	v_add_nc_u64_e32 v[24:25], v[24:25], v[8:9]
	s_delay_alu instid0(VALU_DEP_1) | instskip(SKIP_3) | instid1(VALU_DEP_2)
	v_dual_cndmask_b32 v31, v11, v25 :: v_dual_cndmask_b32 v30, v10, v24
	v_add_nc_u64_e32 v[24:25], 0x80, v[24:25]
	v_cndmask_b32_e64 v28, v10, v28, s4
	s_cselect_b32 s4, -1, 0
	v_cndmask_b32_e32 v25, v11, v25, vcc_lo
	s_wait_loadcnt_dscnt 0x0
	ds_store_b128 v7, v[0:3]
	flat_load_b128 v[0:3], v[30:31]
	s_wait_xcnt 0x0
	v_add_nc_u32_e32 v30, s3, v26
	s_clause 0x1
	scratch_store_b32 off, v9, off
	scratch_store_b96 off, v[4:6], off offset:4
	v_ashrrev_i32_e32 v31, 31, v30
	s_delay_alu instid0(VALU_DEP_1) | instskip(SKIP_1) | instid1(VALU_DEP_2)
	v_lshl_add_u64 v[26:27], v[30:31], 2, s[40:41]
	v_dual_add_nc_u32 v31, 32, v21 :: v_dual_add_nc_u32 v21, 48, v21
	v_add_nc_u64_e32 v[26:27], v[26:27], v[8:9]
	s_delay_alu instid0(VALU_DEP_2) | instskip(NEXT) | instid1(VALU_DEP_1)
	v_cmp_gt_i32_e64 s2, s7, v31
	v_dual_cndmask_b32 v24, v10, v24, vcc_lo :: v_dual_cndmask_b32 v33, v11, v27, s2
	s_delay_alu instid0(VALU_DEP_3) | instskip(SKIP_2) | instid1(VALU_DEP_2)
	v_cndmask_b32_e64 v32, v10, v26, s2
	v_add_nc_u32_e32 v30, s3, v30
	v_cmp_gt_i32_e64 s3, s7, v21
	v_ashrrev_i32_e32 v31, 31, v30
	s_delay_alu instid0(VALU_DEP_1) | instskip(NEXT) | instid1(VALU_DEP_1)
	v_lshl_add_u64 v[30:31], v[30:31], 2, s[40:41]
	v_add_nc_u64_e32 v[30:31], v[30:31], v[8:9]
	s_wait_loadcnt_dscnt 0x0
	ds_store_b128 v7, v[0:3] offset:2304
	flat_load_b128 v[0:3], v[32:33]
	s_wait_xcnt 0x0
	v_dual_cndmask_b32 v33, v11, v31, s3 :: v_dual_cndmask_b32 v32, v10, v30, s3
	s_clause 0x1
	scratch_store_b32 off, v9, off
	scratch_store_b96 off, v[4:6], off offset:4
	s_wait_loadcnt_dscnt 0x0
	ds_store_b128 v7, v[0:3] offset:4608
	flat_load_b128 v[0:3], v[32:33]
	s_wait_loadcnt_dscnt 0x0
	ds_store_b128 v7, v[0:3] offset:6912
	s_wait_storecnt_dscnt 0x0
	s_barrier_signal -1
	s_barrier_wait -1
	s_wait_xcnt 0x0
	ds_load_b128 v[32:35], v23
	ds_load_b128 v[36:39], v13 offset:9216
	ds_load_b128 v[40:43], v13 offset:9472
	;; [unrolled: 1-line block ×3, first 2 shown]
	v_dual_mov_b32 v0, v9 :: v_dual_mov_b32 v1, v9
	v_dual_mov_b32 v2, v9 :: v_dual_mov_b32 v3, v9
	s_wait_dscnt 0x2
	;;#ASMSTART
	v_dot2_f32_f16 v0, v32, v36, v0
	;;#ASMEND
	;;#ASMSTART
	v_dot2_f32_f16 v0, v33, v37, v0
	;;#ASMEND
	;;#ASMSTART
	v_dot2_f32_f16 v0, v34, v38, v0
	;;#ASMEND
	;;#ASMSTART
	v_dot2_f32_f16 v0, v35, v39, v0
	;;#ASMEND
	s_wait_dscnt 0x1
	;;#ASMSTART
	v_dot2_f32_f16 v1, v32, v40, v1
	;;#ASMEND
	;;#ASMSTART
	v_dot2_f32_f16 v1, v33, v41, v1
	;;#ASMEND
	;;#ASMSTART
	v_dot2_f32_f16 v1, v34, v42, v1
	;;#ASMEND
	;;#ASMSTART
	v_dot2_f32_f16 v1, v35, v43, v1
	;;#ASMEND
	s_wait_dscnt 0x0
	;;#ASMSTART
	v_dot2_f32_f16 v2, v58, v36, v2
	;;#ASMEND
	;;#ASMSTART
	v_dot2_f32_f16 v2, v59, v37, v2
	;;#ASMEND
	;;#ASMSTART
	v_dot2_f32_f16 v2, v60, v38, v2
	;;#ASMEND
	;;#ASMSTART
	v_dot2_f32_f16 v2, v61, v39, v2
	;;#ASMEND
	;;#ASMSTART
	v_dot2_f32_f16 v3, v58, v40, v3
	;;#ASMEND
	;;#ASMSTART
	v_dot2_f32_f16 v3, v59, v41, v3
	;;#ASMEND
	;;#ASMSTART
	v_dot2_f32_f16 v3, v60, v42, v3
	;;#ASMEND
	;;#ASMSTART
	v_dot2_f32_f16 v3, v61, v43, v3
	;;#ASMEND
	ds_load_b128 v[32:35], v23 offset:16
	ds_load_b128 v[36:39], v13 offset:9232
	ds_load_b128 v[40:43], v13 offset:9488
	ds_load_b128 v[58:61], v23 offset:4624
	s_wait_dscnt 0x2
	;;#ASMSTART
	v_dot2_f32_f16 v0, v32, v36, v0
	;;#ASMEND
	;;#ASMSTART
	v_dot2_f32_f16 v0, v33, v37, v0
	;;#ASMEND
	;;#ASMSTART
	v_dot2_f32_f16 v0, v34, v38, v0
	;;#ASMEND
	;;#ASMSTART
	v_dot2_f32_f16 v0, v35, v39, v0
	;;#ASMEND
	s_wait_dscnt 0x1
	;;#ASMSTART
	v_dot2_f32_f16 v1, v32, v40, v1
	;;#ASMEND
	;;#ASMSTART
	v_dot2_f32_f16 v1, v33, v41, v1
	;;#ASMEND
	;;#ASMSTART
	v_dot2_f32_f16 v1, v34, v42, v1
	;;#ASMEND
	;;#ASMSTART
	v_dot2_f32_f16 v1, v35, v43, v1
	;;#ASMEND
	s_wait_dscnt 0x0
	;;#ASMSTART
	v_dot2_f32_f16 v2, v58, v36, v2
	;;#ASMEND
	;;#ASMSTART
	v_dot2_f32_f16 v2, v59, v37, v2
	;;#ASMEND
	;;#ASMSTART
	v_dot2_f32_f16 v2, v60, v38, v2
	;;#ASMEND
	;;#ASMSTART
	v_dot2_f32_f16 v2, v61, v39, v2
	;;#ASMEND
	;;#ASMSTART
	v_dot2_f32_f16 v3, v58, v40, v3
	;;#ASMEND
	;;#ASMSTART
	v_dot2_f32_f16 v3, v59, v41, v3
	;;#ASMEND
	;;#ASMSTART
	v_dot2_f32_f16 v3, v60, v42, v3
	;;#ASMEND
	;;#ASMSTART
	v_dot2_f32_f16 v3, v61, v43, v3
	;;#ASMEND
	ds_load_b128 v[32:35], v23 offset:32
	ds_load_b128 v[36:39], v13 offset:9248
	ds_load_b128 v[40:43], v13 offset:9504
	ds_load_b128 v[58:61], v23 offset:4640
	;; [unrolled: 55-line block ×7, first 2 shown]
	s_wait_dscnt 0x2
	;;#ASMSTART
	v_dot2_f32_f16 v0, v32, v36, v0
	;;#ASMEND
	;;#ASMSTART
	v_dot2_f32_f16 v0, v33, v37, v0
	;;#ASMEND
	;;#ASMSTART
	v_dot2_f32_f16 v0, v34, v38, v0
	;;#ASMEND
	;;#ASMSTART
	v_dot2_f32_f16 v0, v35, v39, v0
	;;#ASMEND
	s_wait_dscnt 0x1
	;;#ASMSTART
	v_dot2_f32_f16 v1, v32, v40, v1
	;;#ASMEND
	;;#ASMSTART
	v_dot2_f32_f16 v1, v33, v41, v1
	;;#ASMEND
	;;#ASMSTART
	v_dot2_f32_f16 v1, v34, v42, v1
	;;#ASMEND
	;;#ASMSTART
	v_dot2_f32_f16 v1, v35, v43, v1
	;;#ASMEND
	s_wait_dscnt 0x0
	;;#ASMSTART
	v_dot2_f32_f16 v2, v58, v36, v2
	;;#ASMEND
	;;#ASMSTART
	v_dot2_f32_f16 v2, v59, v37, v2
	;;#ASMEND
	;;#ASMSTART
	v_dot2_f32_f16 v2, v60, v38, v2
	;;#ASMEND
	;;#ASMSTART
	v_dot2_f32_f16 v2, v61, v39, v2
	;;#ASMEND
	;;#ASMSTART
	v_dot2_f32_f16 v3, v58, v40, v3
	;;#ASMEND
	;;#ASMSTART
	v_dot2_f32_f16 v3, v59, v41, v3
	;;#ASMEND
	;; [unrolled: 3-line block ×4, first 2 shown]
	s_barrier_signal -1
	s_barrier_wait -1
	s_clause 0x1
	scratch_store_b32 off, v9, off
	scratch_store_b96 off, v[4:6], off offset:4
	flat_load_b128 v[32:35], v[28:29]
	s_clause 0x1
	scratch_store_b32 off, v9, off
	scratch_store_b96 off, v[4:6], off offset:4
	s_wait_xcnt 0x2
	v_add_nc_u64_e32 v[28:29], 0x80, v[30:31]
	s_wait_loadcnt_dscnt 0x0
	ds_store_b128 v7, v[32:35]
	flat_load_b128 v[32:35], v[24:25]
	s_wait_xcnt 0x0
	v_add_nc_u64_e32 v[24:25], 0x80, v[26:27]
	s_clause 0x1
	scratch_store_b32 off, v9, off
	scratch_store_b96 off, v[4:6], off offset:4
	v_dual_cndmask_b32 v25, v11, v25, s2 :: v_dual_cndmask_b32 v24, v10, v24, s2
	v_dual_cndmask_b32 v11, v11, v29, s3 :: v_dual_cndmask_b32 v10, v10, v28, s3
	v_cmp_gt_i32_e64 s2, s7, v12
	s_wait_loadcnt_dscnt 0x0
	ds_store_b128 v7, v[32:35] offset:2304
	flat_load_b128 v[24:27], v[24:25]
	s_clause 0x1
	scratch_store_b32 off, v9, off
	scratch_store_b96 off, v[4:6], off offset:4
	s_wait_loadcnt_dscnt 0x0
	ds_store_b128 v7, v[24:27] offset:4608
	flat_load_b128 v[24:27], v[10:11]
	s_wait_xcnt 0x0
	v_cndmask_b32_e64 v10, 0, 1, s4
	s_wait_loadcnt_dscnt 0x0
	ds_store_b128 v7, v[24:27] offset:6912
	s_wait_storecnt_dscnt 0x0
	s_barrier_signal -1
	s_barrier_wait -1
	ds_load_b128 v[4:7], v23
	ds_load_b128 v[24:27], v13 offset:9344
	ds_load_b128 v[28:31], v13 offset:9600
	ds_load_b128 v[32:35], v23 offset:4608
	s_wait_dscnt 0x2
	;;#ASMSTART
	v_dot2_f32_f16 v0, v4, v24, v0
	;;#ASMEND
	;;#ASMSTART
	v_dot2_f32_f16 v0, v5, v25, v0
	;;#ASMEND
	;;#ASMSTART
	v_dot2_f32_f16 v0, v6, v26, v0
	;;#ASMEND
	;;#ASMSTART
	v_dot2_f32_f16 v0, v7, v27, v0
	;;#ASMEND
	s_wait_dscnt 0x1
	;;#ASMSTART
	v_dot2_f32_f16 v1, v4, v28, v1
	;;#ASMEND
	;;#ASMSTART
	v_dot2_f32_f16 v1, v5, v29, v1
	;;#ASMEND
	;;#ASMSTART
	v_dot2_f32_f16 v1, v6, v30, v1
	;;#ASMEND
	;;#ASMSTART
	v_dot2_f32_f16 v1, v7, v31, v1
	;;#ASMEND
	s_wait_dscnt 0x0
	;;#ASMSTART
	v_dot2_f32_f16 v2, v32, v24, v2
	;;#ASMEND
	;;#ASMSTART
	v_dot2_f32_f16 v2, v33, v25, v2
	;;#ASMEND
	;;#ASMSTART
	v_dot2_f32_f16 v2, v34, v26, v2
	;;#ASMEND
	;;#ASMSTART
	v_dot2_f32_f16 v2, v35, v27, v2
	;;#ASMEND
	;;#ASMSTART
	v_dot2_f32_f16 v3, v32, v28, v3
	;;#ASMEND
	;;#ASMSTART
	v_dot2_f32_f16 v3, v33, v29, v3
	;;#ASMEND
	;;#ASMSTART
	v_dot2_f32_f16 v3, v34, v30, v3
	;;#ASMEND
	;;#ASMSTART
	v_dot2_f32_f16 v3, v35, v31, v3
	;;#ASMEND
	ds_load_b128 v[4:7], v23 offset:16
	ds_load_b128 v[24:27], v13 offset:9360
	ds_load_b128 v[28:31], v13 offset:9616
	ds_load_b128 v[32:35], v23 offset:4624
	s_wait_dscnt 0x2
	;;#ASMSTART
	v_dot2_f32_f16 v0, v4, v24, v0
	;;#ASMEND
	;;#ASMSTART
	v_dot2_f32_f16 v0, v5, v25, v0
	;;#ASMEND
	;;#ASMSTART
	v_dot2_f32_f16 v0, v6, v26, v0
	;;#ASMEND
	;;#ASMSTART
	v_dot2_f32_f16 v0, v7, v27, v0
	;;#ASMEND
	s_wait_dscnt 0x1
	;;#ASMSTART
	v_dot2_f32_f16 v1, v4, v28, v1
	;;#ASMEND
	;;#ASMSTART
	v_dot2_f32_f16 v1, v5, v29, v1
	;;#ASMEND
	;;#ASMSTART
	v_dot2_f32_f16 v1, v6, v30, v1
	;;#ASMEND
	;;#ASMSTART
	v_dot2_f32_f16 v1, v7, v31, v1
	;;#ASMEND
	s_wait_dscnt 0x0
	;;#ASMSTART
	v_dot2_f32_f16 v2, v32, v24, v2
	;;#ASMEND
	;;#ASMSTART
	v_dot2_f32_f16 v2, v33, v25, v2
	;;#ASMEND
	;;#ASMSTART
	v_dot2_f32_f16 v2, v34, v26, v2
	;;#ASMEND
	;;#ASMSTART
	v_dot2_f32_f16 v2, v35, v27, v2
	;;#ASMEND
	;;#ASMSTART
	v_dot2_f32_f16 v3, v32, v28, v3
	;;#ASMEND
	;;#ASMSTART
	v_dot2_f32_f16 v3, v33, v29, v3
	;;#ASMEND
	;;#ASMSTART
	v_dot2_f32_f16 v3, v34, v30, v3
	;;#ASMEND
	;;#ASMSTART
	v_dot2_f32_f16 v3, v35, v31, v3
	;;#ASMEND
	ds_load_b128 v[4:7], v23 offset:32
	;; [unrolled: 55-line block ×7, first 2 shown]
	ds_load_b128 v[28:31], v13 offset:9456
	ds_load_b128 v[32:35], v13 offset:9712
	ds_load_b128 v[36:39], v23 offset:4720
	s_wait_dscnt 0x2
	;;#ASMSTART
	v_dot2_f32_f16 v0, v24, v28, v0
	;;#ASMEND
	v_mad_u32 v6, v22, s39, s14
	;;#ASMSTART
	v_dot2_f32_f16 v0, v25, v29, v0
	;;#ASMEND
	;;#ASMSTART
	v_dot2_f32_f16 v0, v26, v30, v0
	;;#ASMEND
	;; [unrolled: 3-line block ×3, first 2 shown]
	s_wait_dscnt 0x1
	;;#ASMSTART
	v_dot2_f32_f16 v1, v24, v32, v1
	;;#ASMEND
	;;#ASMSTART
	v_dot2_f32_f16 v1, v25, v33, v1
	;;#ASMEND
	v_mov_b64_e32 v[4:5], v[16:17]
	;;#ASMSTART
	v_dot2_f32_f16 v1, v26, v34, v1
	;;#ASMEND
	;;#ASMSTART
	v_dot2_f32_f16 v1, v27, v35, v1
	;;#ASMEND
	s_wait_dscnt 0x0
	;;#ASMSTART
	v_dot2_f32_f16 v2, v36, v28, v2
	;;#ASMEND
	;;#ASMSTART
	v_dot2_f32_f16 v2, v37, v29, v2
	;;#ASMEND
	;; [unrolled: 3-line block ×8, first 2 shown]
	s_and_saveexec_b32 s3, s2
	s_cbranch_execz .LBB62_28
; %bb.25:
	s_and_not1_b32 vcc_lo, exec_lo, s4
	s_cbranch_vccnz .LBB62_27
; %bb.26:
	v_add_nc_u32_e32 v4, v6, v12
	global_load_u16 v4, v4, s[30:31] scale_offset
	s_wait_loadcnt 0x0
	v_cvt_f32_f16_e32 v4, v4
	s_delay_alu instid0(VALU_DEP_1)
	v_mul_f32_e32 v9, v54, v4
.LBB62_27:
	s_delay_alu instid0(VALU_DEP_1) | instskip(SKIP_1) | instid1(VALU_DEP_2)
	v_add_f32_e32 v0, v0, v9
	v_max_num_f32_e32 v4, v16, v16
	v_add_f32_e32 v5, 0x40051340, v0
	s_delay_alu instid0(VALU_DEP_1)
	v_dual_max_num_f32 v4, v4, v5 :: v_dual_mov_b32 v5, v17
.LBB62_28:
	s_or_b32 exec_lo, exec_lo, s3
	v_add_nc_u32_e32 v8, 32, v12
	s_delay_alu instid0(VALU_DEP_1)
	v_cmp_gt_i32_e64 s3, s7, v8
	s_and_saveexec_b32 s4, s3
	s_cbranch_execz .LBB62_33
; %bb.29:
	v_cmp_ne_u32_e32 vcc_lo, 1, v10
	s_cbranch_vccnz .LBB62_31
; %bb.30:
	v_dual_ashrrev_i32 v7, 31, v6 :: v_dual_mov_b32 v13, 0
	s_delay_alu instid0(VALU_DEP_1) | instskip(NEXT) | instid1(VALU_DEP_1)
	v_add_nc_u64_e32 v[6:7], v[6:7], v[12:13]
	v_lshl_add_u64 v[6:7], v[6:7], 1, s[30:31]
	global_load_u16 v6, v[6:7], off offset:64
	s_wait_loadcnt 0x0
	v_cvt_f32_f16_e32 v6, v6
	s_delay_alu instid0(VALU_DEP_1)
	v_mul_f32_e32 v6, v54, v6
	s_branch .LBB62_32
.LBB62_31:
	v_mov_b32_e32 v6, 0
.LBB62_32:
	s_delay_alu instid0(VALU_DEP_1) | instskip(NEXT) | instid1(VALU_DEP_1)
	v_dual_add_f32 v2, v2, v6 :: v_dual_max_num_f32 v4, v4, v4
	v_add_f32_e32 v6, 0x40051340, v2
	s_delay_alu instid0(VALU_DEP_1)
	v_max_num_f32_e32 v4, v4, v6
.LBB62_33:
	s_or_b32 exec_lo, exec_lo, s4
	v_xor_b32_e32 v11, 16, v51
	v_xor_b32_e32 v30, 8, v51
	;; [unrolled: 1-line block ×3, first 2 shown]
	v_dual_mov_b32 v21, 0 :: v_dual_bitop2_b32 v31, 4, v51 bitop3:0x14
	s_delay_alu instid0(VALU_DEP_4) | instskip(SKIP_3) | instid1(VALU_DEP_3)
	v_cmp_gt_i32_e32 vcc_lo, 32, v11
	v_dual_mov_b32 v34, 32 :: v_dual_cndmask_b32 v6, v51, v11, vcc_lo
	v_cmp_gt_i32_e32 vcc_lo, 32, v30
	v_cndmask_b32_e32 v7, v51, v30, vcc_lo
	v_dual_lshlrev_b32 v9, 2, v6 :: v_dual_max_num_f32 v13, v4, v4
	v_cmp_gt_i32_e32 vcc_lo, 32, v31
	ds_bpermute_b32 v6, v9, v4
	s_wait_dscnt 0x0
	v_dual_lshlrev_b32 v4, 2, v7 :: v_dual_max_num_f32 v6, v6, v6
	s_delay_alu instid0(VALU_DEP_1)
	v_dual_max_num_f32 v6, v13, v6 :: v_dual_cndmask_b32 v13, v51, v31
	v_cmp_gt_i32_e32 vcc_lo, 32, v32
	ds_bpermute_b32 v7, v4, v6
	v_dual_cndmask_b32 v22, v51, v32 :: v_dual_lshlrev_b32 v23, 2, v13
	s_wait_dscnt 0x0
	v_max_num_f32_e32 v7, v7, v7
	s_delay_alu instid0(VALU_DEP_1) | instskip(SKIP_4) | instid1(VALU_DEP_2)
	v_max_num_f32_e32 v13, v6, v7
	ds_bpermute_b32 v6, v23, v13
	s_wait_dscnt 0x0
	v_max_num_f32_e32 v25, v6, v6
	v_mul_u64_e32 v[6:7], s[34:35], v[20:21]
	v_dual_lshlrev_b32 v24, 2, v22 :: v_dual_max_num_f32 v6, v13, v25
	ds_bpermute_b32 v13, v24, v6
	s_wait_dscnt 0x0
	v_dual_max_num_f32 v13, v13, v13 :: v_dual_bitop2_b32 v33, 1, v51 bitop3:0x14
	s_delay_alu instid0(VALU_DEP_1) | instskip(NEXT) | instid1(VALU_DEP_2)
	v_cmp_gt_i32_e32 vcc_lo, 32, v33
	v_dual_add_nc_u32 v7, v20, v7 :: v_dual_max_num_f32 v13, v6, v13
	s_delay_alu instid0(VALU_DEP_1) | instskip(NEXT) | instid1(VALU_DEP_1)
	v_dual_cndmask_b32 v22, v51, v33, vcc_lo :: v_dual_lshrrev_b32 v6, s21, v7
	v_lshlrev_b32_e32 v25, 2, v22
	ds_bpermute_b32 v7, v25, v13
	s_wait_dscnt 0x0
	v_max_num_f32_e32 v7, v7, v7
	v_mul_lo_u32 v6, v6, s22
	s_delay_alu instid0(VALU_DEP_1) | instskip(NEXT) | instid1(VALU_DEP_1)
	v_dual_max_num_f32 v22, v13, v7 :: v_dual_sub_nc_u32 v6, v20, v6
	v_mad_u32 v6, v6, s39, s14
	s_and_saveexec_b32 s4, s2
	s_cbranch_execz .LBB62_37
; %bb.34:
	v_cmp_ne_u32_e32 vcc_lo, 1, v10
	s_cbranch_vccnz .LBB62_36
; %bb.35:
	s_delay_alu instid0(VALU_DEP_2) | instskip(SKIP_3) | instid1(VALU_DEP_1)
	v_add_nc_u32_e32 v7, v6, v12
	global_load_u16 v7, v7, s[30:31] scale_offset
	s_wait_loadcnt 0x0
	v_cvt_f32_f16_e32 v7, v7
	v_mul_f32_e32 v21, v54, v7
.LBB62_36:
	s_delay_alu instid0(VALU_DEP_1) | instskip(SKIP_1) | instid1(VALU_DEP_2)
	v_add_f32_e32 v1, v1, v21
	v_max_num_f32_e32 v5, v5, v5
	v_add_f32_e32 v7, 0x40051340, v1
	s_delay_alu instid0(VALU_DEP_1)
	v_max_num_f32_e32 v5, v5, v7
.LBB62_37:
	s_or_b32 exec_lo, exec_lo, s4
	s_and_saveexec_b32 s2, s3
	s_cbranch_execz .LBB62_42
; %bb.38:
	v_cmp_ne_u32_e32 vcc_lo, 1, v10
	s_cbranch_vccnz .LBB62_40
; %bb.39:
	s_delay_alu instid0(VALU_DEP_2) | instskip(NEXT) | instid1(VALU_DEP_1)
	v_dual_ashrrev_i32 v7, 31, v6 :: v_dual_mov_b32 v13, 0
	v_add_nc_u64_e32 v[6:7], v[6:7], v[12:13]
	s_delay_alu instid0(VALU_DEP_1) | instskip(SKIP_3) | instid1(VALU_DEP_1)
	v_lshl_add_u64 v[6:7], v[6:7], 1, s[30:31]
	global_load_u16 v6, v[6:7], off offset:64
	s_wait_loadcnt 0x0
	v_cvt_f32_f16_e32 v6, v6
	v_mul_f32_e32 v6, v54, v6
	s_branch .LBB62_41
.LBB62_40:
	v_mov_b32_e32 v6, 0
.LBB62_41:
	s_delay_alu instid0(VALU_DEP_1) | instskip(NEXT) | instid1(VALU_DEP_1)
	v_dual_add_f32 v3, v3, v6 :: v_dual_max_num_f32 v5, v5, v5
	v_add_f32_e32 v6, 0x40051340, v3
	s_delay_alu instid0(VALU_DEP_1)
	v_max_num_f32_e32 v5, v5, v6
.LBB62_42:
	s_or_b32 exec_lo, exec_lo, s2
	ds_bpermute_b32 v6, v9, v5
	v_sub_f32_e32 v0, v0, v22
	v_cmp_gt_u32_e32 vcc_lo, s7, v12
	v_lshlrev_b32_e32 v13, 8, v53
	s_wait_dscnt 0x0
	s_barrier_signal -1
	s_barrier_wait -1
	s_ashr_i32 s11, s10, 31
	s_mov_b32 s4, 0
	v_max_num_f32_e32 v5, v5, v5
	s_mov_b32 s6, s4
	s_mov_b32 s5, s4
	v_sub_f32_e32 v2, v2, v22
	v_dual_lshlrev_b32 v14, 2, v14 :: v_dual_add_nc_u32 v43, v15, v48
	v_mov_b32_e32 v15, 0
	s_delay_alu instid0(VALU_DEP_3) | instskip(NEXT) | instid1(VALU_DEP_3)
	v_cmp_ngt_f32_e64 s3, 0xc2ce8ed0, v2
	v_dual_max_num_f32 v6, v6, v6 :: v_dual_add_nc_u32 v41, 8, v43
	v_add_nc_u32_e32 v37, 24, v43
	v_lshl_or_b32 v40, v43, 8, v14
	s_delay_alu instid0(VALU_DEP_3) | instskip(NEXT) | instid1(VALU_DEP_4)
	v_dual_add_nc_u32 v39, 16, v43 :: v_dual_max_num_f32 v5, v5, v6
	v_lshl_or_b32 v38, v41, 8, v14
	s_delay_alu instid0(VALU_DEP_4) | instskip(NEXT) | instid1(VALU_DEP_3)
	v_lshl_or_b32 v35, v37, 8, v14
	v_lshl_or_b32 v36, v39, 8, v14
	ds_bpermute_b32 v4, v4, v5
	s_wait_dscnt 0x0
	v_max_num_f32_e32 v4, v4, v4
	s_delay_alu instid0(VALU_DEP_1) | instskip(SKIP_3) | instid1(VALU_DEP_1)
	v_max_num_f32_e32 v4, v5, v4
	ds_bpermute_b32 v5, v23, v4
	s_wait_dscnt 0x0
	v_max_num_f32_e32 v5, v5, v5
	v_max_num_f32_e32 v4, v4, v5
	ds_bpermute_b32 v5, v24, v4
	s_wait_dscnt 0x0
	v_max_num_f32_e32 v5, v5, v5
	s_delay_alu instid0(VALU_DEP_1) | instskip(SKIP_3) | instid1(VALU_DEP_1)
	v_max_num_f32_e32 v4, v4, v5
	ds_bpermute_b32 v5, v25, v4
	s_wait_dscnt 0x0
	v_max_num_f32_e32 v5, v5, v5
	v_max_num_f32_e32 v23, v4, v5
	v_dual_mul_f32 v5, 0x3fb8aa3b, v0 :: v_dual_sub_f32 v4, v16, v22
	s_delay_alu instid0(VALU_DEP_1) | instskip(SKIP_1) | instid1(VALU_DEP_1)
	v_fma_f32 v6, 0x3fb8aa3b, v0, -v5
	v_rndne_f32_e32 v7, v5
	v_dual_sub_f32 v5, v5, v7 :: v_dual_fmac_f32 v6, 0x32a5705f, v0
	v_cmp_ngt_f32_e64 s2, 0xc2ce8ed0, v0
	v_dual_sub_f32 v1, v1, v23 :: v_dual_sub_f32 v3, v3, v23
	s_delay_alu instid0(VALU_DEP_3) | instskip(SKIP_1) | instid1(VALU_DEP_2)
	v_add_f32_e32 v5, v5, v6
	v_cvt_i32_f32_e32 v6, v7
	v_exp_f32_e32 v5, v5
	v_nop
	s_delay_alu instid0(TRANS32_DEP_1) | instskip(NEXT) | instid1(VALU_DEP_1)
	v_ldexp_f32 v5, v5, v6
	v_cndmask_b32_e64 v5, 0, v5, s2
	v_cmp_nlt_f32_e64 s2, 0x42b17218, v0
	s_delay_alu instid0(VALU_DEP_1) | instskip(SKIP_1) | instid1(VALU_DEP_2)
	v_cndmask_b32_e64 v0, 0x7f800000, v5, s2
	v_cmp_gt_u32_e64 s2, s7, v8
	v_dual_cndmask_b32 v0, 0, v0 :: v_dual_mul_f32 v5, 0x3fb8aa3b, v2
	s_delay_alu instid0(VALU_DEP_1) | instskip(SKIP_1) | instid1(VALU_DEP_1)
	v_fma_f32 v6, 0x3fb8aa3b, v2, -v5
	v_rndne_f32_e32 v7, v5
	v_dual_fmac_f32 v6, 0x32a5705f, v2 :: v_dual_sub_f32 v5, v5, v7
	s_delay_alu instid0(VALU_DEP_1) | instskip(SKIP_1) | instid1(VALU_DEP_2)
	v_add_f32_e32 v5, v5, v6
	v_cvt_i32_f32_e32 v6, v7
	v_exp_f32_e32 v5, v5
	v_nop
	s_delay_alu instid0(TRANS32_DEP_1) | instskip(NEXT) | instid1(VALU_DEP_1)
	v_ldexp_f32 v5, v5, v6
	v_cndmask_b32_e64 v5, 0, v5, s3
	v_cmp_nlt_f32_e64 s3, 0x42b17218, v2
	s_delay_alu instid0(VALU_DEP_1) | instskip(SKIP_2) | instid1(VALU_DEP_3)
	v_cndmask_b32_e64 v2, 0x7f800000, v5, s3
	v_mul_f32_e32 v5, 0x3fb8aa3b, v4
	v_cmp_ngt_f32_e64 s3, 0xc2ce8ed0, v4
	v_cndmask_b32_e64 v2, 0, v2, s2
	s_delay_alu instid0(VALU_DEP_3) | instskip(SKIP_1) | instid1(VALU_DEP_3)
	v_fma_f32 v6, 0x3fb8aa3b, v4, -v5
	v_rndne_f32_e32 v7, v5
	v_add_f32_e32 v20, v0, v2
	s_delay_alu instid0(VALU_DEP_2) | instskip(NEXT) | instid1(VALU_DEP_1)
	v_dual_fmac_f32 v6, 0x32a5705f, v4 :: v_dual_sub_f32 v5, v5, v7
	v_add_f32_e32 v5, v5, v6
	v_cvt_i32_f32_e32 v6, v7
	s_delay_alu instid0(VALU_DEP_2) | instskip(SKIP_1) | instid1(TRANS32_DEP_1)
	v_exp_f32_e32 v5, v5
	v_nop
	v_ldexp_f32 v5, v5, v6
	s_delay_alu instid0(VALU_DEP_1) | instskip(SKIP_1) | instid1(VALU_DEP_1)
	v_cndmask_b32_e64 v5, 0, v5, s3
	v_cmp_nlt_f32_e64 s3, 0x42b17218, v4
	v_cndmask_b32_e64 v4, 0x7f800000, v5, s3
	v_mul_f32_e32 v5, 0x3fb8aa3b, v1
	v_cmp_ngt_f32_e64 s3, 0xc2ce8ed0, v1
	s_delay_alu instid0(VALU_DEP_3) | instskip(SKIP_1) | instid1(VALU_DEP_4)
	v_fmac_f32_e32 v20, v18, v4
	v_cvt_f16_f32_e32 v4, v4
	v_fma_f32 v6, 0x3fb8aa3b, v1, -v5
	v_rndne_f32_e32 v7, v5
	s_delay_alu instid0(VALU_DEP_3) | instskip(NEXT) | instid1(VALU_DEP_3)
	v_and_b32_e32 v4, 0xffff, v4
	v_fmac_f32_e32 v6, 0x32a5705f, v1
	s_delay_alu instid0(VALU_DEP_2) | instskip(SKIP_2) | instid1(VALU_DEP_3)
	v_mul_u32_u24_e32 v44, 0x10001, v4
	v_sub_f32_e32 v4, v17, v23
	v_sub_f32_e32 v5, v5, v7
	v_pk_mul_f16 v42, v70, v44
	s_delay_alu instid0(VALU_DEP_2) | instskip(SKIP_1) | instid1(VALU_DEP_2)
	v_add_f32_e32 v5, v5, v6
	v_cvt_i32_f32_e32 v6, v7
	v_exp_f32_e32 v5, v5
	v_nop
	s_delay_alu instid0(TRANS32_DEP_1) | instskip(NEXT) | instid1(VALU_DEP_1)
	v_ldexp_f32 v5, v5, v6
	v_cndmask_b32_e64 v5, 0, v5, s3
	v_cmp_nlt_f32_e64 s3, 0x42b17218, v1
	s_delay_alu instid0(VALU_DEP_1) | instskip(SKIP_1) | instid1(VALU_DEP_2)
	v_cndmask_b32_e64 v1, 0x7f800000, v5, s3
	v_mul_f32_e32 v5, 0x3fb8aa3b, v3
	v_cndmask_b32_e32 v1, 0, v1, vcc_lo
	s_delay_alu instid0(VALU_DEP_2) | instskip(SKIP_2) | instid1(VALU_DEP_4)
	v_fma_f32 v6, 0x3fb8aa3b, v3, -v5
	v_rndne_f32_e32 v7, v5
	v_cmp_ngt_f32_e32 vcc_lo, 0xc2ce8ed0, v3
	v_cvt_pk_f16_f32 v0, v0, v1
	s_delay_alu instid0(VALU_DEP_4) | instskip(NEXT) | instid1(VALU_DEP_4)
	v_fmac_f32_e32 v6, 0x32a5705f, v3
	v_sub_f32_e32 v5, v5, v7
	s_delay_alu instid0(VALU_DEP_1) | instskip(SKIP_1) | instid1(VALU_DEP_2)
	v_add_f32_e32 v5, v5, v6
	v_cvt_i32_f32_e32 v6, v7
	v_exp_f32_e32 v5, v5
	v_nop
	s_delay_alu instid0(TRANS32_DEP_1) | instskip(NEXT) | instid1(VALU_DEP_1)
	v_ldexp_f32 v5, v5, v6
	v_cndmask_b32_e32 v5, 0, v5, vcc_lo
	v_cmp_nlt_f32_e32 vcc_lo, 0x42b17218, v3
	s_delay_alu instid0(VALU_DEP_2) | instskip(SKIP_1) | instid1(VALU_DEP_2)
	v_cndmask_b32_e32 v3, 0x7f800000, v5, vcc_lo
	v_cmp_ngt_f32_e32 vcc_lo, 0xc2ce8ed0, v4
	v_cndmask_b32_e64 v3, 0, v3, s2
	s_lshl_b32 s2, s10, 3
	v_mul_f32_e32 v5, 0x3fb8aa3b, v4
	s_delay_alu instid0(VALU_DEP_2) | instskip(SKIP_1) | instid1(VALU_DEP_3)
	v_add_f32_e32 v21, v1, v3
	v_cvt_pk_f16_f32 v1, v2, v3
	v_fma_f32 v6, 0x3fb8aa3b, v4, -v5
	v_rndne_f32_e32 v7, v5
	s_delay_alu instid0(VALU_DEP_1) | instskip(NEXT) | instid1(VALU_DEP_1)
	v_dual_fmac_f32 v6, 0x32a5705f, v4 :: v_dual_sub_f32 v5, v5, v7
	v_add_f32_e32 v5, v5, v6
	v_cvt_i32_f32_e32 v6, v7
	s_delay_alu instid0(VALU_DEP_2) | instskip(SKIP_1) | instid1(TRANS32_DEP_1)
	v_exp_f32_e32 v5, v5
	v_nop
	v_ldexp_f32 v5, v5, v6
	v_mul_lo_u32 v6, s10, v43
	s_delay_alu instid0(VALU_DEP_2) | instskip(SKIP_1) | instid1(VALU_DEP_2)
	v_cndmask_b32_e32 v5, 0, v5, vcc_lo
	v_cmp_nlt_f32_e32 vcc_lo, 0x42b17218, v4
	v_dual_cndmask_b32 v4, 0x7f800000, v5 :: v_dual_ashrrev_i32 v7, 31, v6
	v_cmp_gt_i32_e32 vcc_lo, s7, v43
	s_delay_alu instid0(VALU_DEP_2) | instskip(SKIP_1) | instid1(VALU_DEP_4)
	v_fmac_f32_e32 v21, v19, v4
	v_cvt_f16_f32_e32 v4, v4
	v_lshlrev_b64_e32 v[18:19], 2, v[6:7]
	s_delay_alu instid0(VALU_DEP_2) | instskip(NEXT) | instid1(VALU_DEP_1)
	v_and_b32_e32 v4, 0xffff, v4
	v_mul_u32_u24_e32 v53, 0x10001, v4
	v_add_nc_u32_e32 v4, 0x2c00, v13
	s_delay_alu instid0(VALU_DEP_2) | instskip(NEXT) | instid1(VALU_DEP_2)
	v_pk_mul_f16 v45, v57, v53
	v_add_nc_u32_e32 v5, v4, v49
	ds_store_b32 v5, v0
	v_lshl_add_u32 v0, v8, 2, v4
	v_dual_add_nc_u32 v4, s2, v6 :: v_dual_mov_b32 v10, s6
	v_mov_b32_e32 v9, s5
	ds_store_b32 v0, v1
	v_mbcnt_lo_u32_b32 v0, -1, 0
	v_dual_add_nc_u32 v2, s2, v4 :: v_dual_ashrrev_i32 v5, 31, v4
	s_delay_alu instid0(VALU_DEP_2) | instskip(NEXT) | instid1(VALU_DEP_2)
	v_dual_mov_b32 v0, 0 :: v_dual_lshlrev_b32 v1, 20, v0
	v_ashrrev_i32_e32 v3, 31, v2
	s_delay_alu instid0(VALU_DEP_2) | instskip(SKIP_2) | instid1(VALU_DEP_3)
	v_add_nc_u64_e32 v[16:17], src_flat_scratch_base_lo, v[0:1]
	v_add_nc_u32_e32 v0, s2, v2
	s_mul_u64 s[2:3], s[14:15], s[10:11]
	v_lshlrev_b64_e32 v[28:29], 2, v[2:3]
	s_lshl_b64 s[2:3], s[2:3], 2
	s_delay_alu instid0(SALU_CYCLE_1) | instskip(SKIP_2) | instid1(VALU_DEP_3)
	s_add_nc_u64 s[2:3], s[8:9], s[2:3]
	v_ashrrev_i32_e32 v1, 31, v0
	v_add_nc_u64_e32 v[6:7], s[2:3], v[18:19]
	v_add_nc_u64_e32 v[2:3], s[2:3], v[28:29]
	s_delay_alu instid0(VALU_DEP_2) | instskip(SKIP_1) | instid1(VALU_DEP_3)
	v_add_nc_u64_e32 v[6:7], v[6:7], v[14:15]
	v_mov_b32_e32 v8, s4
	v_add_nc_u64_e32 v[2:3], v[2:3], v[14:15]
	s_sub_co_i32 s4, s7, 32
	s_delay_alu instid0(VALU_DEP_3)
	v_dual_cndmask_b32 v7, v17, v7 :: v_dual_cndmask_b32 v6, v16, v6
	s_clause 0x1
	scratch_store_b32 off, v15, off
	scratch_store_b96 off, v[8:10], off offset:4
	v_cmp_gt_i32_e32 vcc_lo, s7, v41
	flat_load_b128 v[24:27], v[6:7]
	s_wait_loadcnt_dscnt 0x0
	ds_store_b128 v40, v[24:27]
	v_lshlrev_b64_e32 v[26:27], 2, v[4:5]
	s_clause 0x1
	scratch_store_b32 off, v15, off
	scratch_store_b96 off, v[8:10], off offset:4
	v_lshlrev_b64_e32 v[24:25], 2, v[0:1]
	v_add_nc_u64_e32 v[4:5], s[2:3], v[26:27]
	s_delay_alu instid0(VALU_DEP_2) | instskip(SKIP_1) | instid1(SALU_CYCLE_1)
	v_add_nc_u64_e32 v[0:1], s[2:3], v[24:25]
	s_or_b32 s2, s14, 32
	s_ashr_i32 s3, s2, 31
	s_delay_alu instid0(VALU_DEP_2) | instskip(SKIP_1) | instid1(VALU_DEP_2)
	v_add_nc_u64_e32 v[4:5], v[4:5], v[14:15]
	s_mul_u64 s[2:3], s[2:3], s[10:11]
	v_add_nc_u64_e32 v[0:1], v[0:1], v[14:15]
	s_lshl_b64 s[2:3], s[2:3], 2
	s_delay_alu instid0(SALU_CYCLE_1) | instskip(NEXT) | instid1(VALU_DEP_2)
	s_add_nc_u64 s[2:3], s[8:9], s[2:3]
	v_dual_cndmask_b32 v5, v17, v5 :: v_dual_cndmask_b32 v4, v16, v4
	v_cmp_gt_i32_e32 vcc_lo, s7, v39
	v_cndmask_b32_e32 v3, v17, v3, vcc_lo
	flat_load_b128 v[4:7], v[4:5]
	v_cndmask_b32_e32 v2, v16, v2, vcc_lo
	v_cmp_gt_i32_e32 vcc_lo, s7, v37
	v_dual_cndmask_b32 v1, v17, v1 :: v_dual_cndmask_b32 v0, v16, v0
	v_cmp_gt_i32_e32 vcc_lo, s4, v43
	s_wait_loadcnt_dscnt 0x0
	ds_store_b128 v38, v[4:7]
	s_clause 0x1
	scratch_store_b32 off, v15, off
	scratch_store_b96 off, v[8:10], off offset:4
	flat_load_b128 v[2:5], v[2:3]
	s_wait_loadcnt_dscnt 0x0
	ds_store_b128 v36, v[2:5]
	s_clause 0x1
	scratch_store_b32 off, v15, off
	scratch_store_b96 off, v[8:10], off offset:4
	flat_load_b128 v[0:3], v[0:1]
	s_wait_loadcnt_dscnt 0x0
	ds_store_b128 v35, v[0:3]
	s_wait_storecnt_dscnt 0x0
	s_barrier_signal -1
	s_barrier_wait -1
	ds_load_2addr_b64 v[58:61], v52 offset1:32
	ds_load_b128 v[62:65], v13 offset:11264
	ds_load_b128 v[66:69], v13 offset:11280
	;; [unrolled: 1-line block ×3, first 2 shown]
	s_wait_xcnt 0x0
	ds_load_b128 v[0:3], v13 offset:11312
	s_wait_dscnt 0x3
	v_and_b32_e32 v57, 0xffff, v62
	v_lshrrev_b32_e32 v54, 16, v62
	s_delay_alu instid0(VALU_DEP_2) | instskip(NEXT) | instid1(VALU_DEP_2)
	v_mul_u32_u24_e32 v57, 0x10001, v57
	v_mul_u32_u24_e32 v54, 0x10001, v54
	s_delay_alu instid0(VALU_DEP_2) | instskip(NEXT) | instid1(VALU_DEP_2)
	v_pk_mul_f16 v62, v58, v57
	v_pk_fma_f16 v45, v59, v54, v45
	v_pk_fma_f16 v42, v59, v57, v42
	v_and_b32_e32 v59, 0xffff, v64
	s_delay_alu instid0(VALU_DEP_4) | instskip(SKIP_2) | instid1(VALU_DEP_4)
	v_pk_fma_f16 v44, v56, v44, v62
	v_pk_mul_f16 v56, v58, v54
	v_dual_lshrrev_b32 v54, 16, v63 :: v_dual_lshrrev_b32 v58, 16, v64
	v_mul_u32_u24_e32 v59, 0x10001, v59
	s_delay_alu instid0(VALU_DEP_3) | instskip(SKIP_1) | instid1(VALU_DEP_4)
	v_pk_fma_f16 v53, v55, v53, v56
	v_and_b32_e32 v55, 0xffff, v63
	v_mul_u32_u24_e32 v54, 0x10001, v54
	v_mul_u32_u24_e32 v58, 0x10001, v58
	s_delay_alu instid0(VALU_DEP_3) | instskip(NEXT) | instid1(VALU_DEP_3)
	v_mul_u32_u24_e32 v55, 0x10001, v55
	v_pk_fma_f16 v53, v60, v54, v53
	v_pk_fma_f16 v45, v61, v54, v45
	s_delay_alu instid0(VALU_DEP_3)
	v_pk_fma_f16 v44, v60, v55, v44
	v_pk_fma_f16 v42, v61, v55, v42
	ds_load_2addr_b64 v[54:57], v52 offset0:64 offset1:96
	s_wait_dscnt 0x0
	v_pk_fma_f16 v44, v54, v59, v44
	v_pk_fma_f16 v53, v54, v58, v53
	;; [unrolled: 1-line block ×4, first 2 shown]
	v_lshrrev_b32_e32 v54, 16, v65
	v_and_b32_e32 v55, 0xffff, v65
	v_lshrrev_b32_e32 v58, 16, v66
	v_and_b32_e32 v59, 0xffff, v66
	s_delay_alu instid0(VALU_DEP_4) | instskip(NEXT) | instid1(VALU_DEP_4)
	v_mul_u32_u24_e32 v54, 0x10001, v54
	v_mul_u32_u24_e32 v55, 0x10001, v55
	s_delay_alu instid0(VALU_DEP_4) | instskip(NEXT) | instid1(VALU_DEP_4)
	v_mul_u32_u24_e32 v58, 0x10001, v58
	v_mul_u32_u24_e32 v59, 0x10001, v59
	s_delay_alu instid0(VALU_DEP_4) | instskip(NEXT) | instid1(VALU_DEP_4)
	v_pk_fma_f16 v53, v56, v54, v53
	v_pk_fma_f16 v44, v56, v55, v44
	;; [unrolled: 1-line block ×4, first 2 shown]
	ds_load_2addr_b64 v[54:57], v52 offset0:128 offset1:160
	s_wait_dscnt 0x0
	v_pk_fma_f16 v44, v54, v59, v44
	v_pk_fma_f16 v53, v54, v58, v53
	;; [unrolled: 1-line block ×4, first 2 shown]
	v_lshrrev_b32_e32 v54, 16, v67
	v_and_b32_e32 v55, 0xffff, v67
	v_lshrrev_b32_e32 v58, 16, v68
	v_and_b32_e32 v59, 0xffff, v68
	s_delay_alu instid0(VALU_DEP_4) | instskip(NEXT) | instid1(VALU_DEP_4)
	v_mul_u32_u24_e32 v54, 0x10001, v54
	v_mul_u32_u24_e32 v55, 0x10001, v55
	s_delay_alu instid0(VALU_DEP_4) | instskip(NEXT) | instid1(VALU_DEP_4)
	v_mul_u32_u24_e32 v58, 0x10001, v58
	v_mul_u32_u24_e32 v59, 0x10001, v59
	s_delay_alu instid0(VALU_DEP_4) | instskip(NEXT) | instid1(VALU_DEP_4)
	v_pk_fma_f16 v53, v56, v54, v53
	v_pk_fma_f16 v44, v56, v55, v44
	;; [unrolled: 1-line block ×4, first 2 shown]
	ds_load_2addr_b64 v[54:57], v52 offset0:192 offset1:224
	s_wait_dscnt 0x0
	v_pk_fma_f16 v44, v54, v59, v44
	v_pk_fma_f16 v53, v54, v58, v53
	v_pk_fma_f16 v42, v55, v59, v42
	v_pk_fma_f16 v54, v55, v58, v45
	v_lshrrev_b32_e32 v45, 16, v69
	v_and_b32_e32 v55, 0xffff, v69
	s_delay_alu instid0(VALU_DEP_2) | instskip(NEXT) | instid1(VALU_DEP_2)
	v_mul_u32_u24_e32 v58, 0x10001, v45
	v_mul_u32_u24_e32 v55, 0x10001, v55
	s_delay_alu instid0(VALU_DEP_2) | instskip(NEXT) | instid1(VALU_DEP_2)
	v_pk_fma_f16 v45, v56, v58, v53
	v_pk_fma_f16 v53, v57, v55, v42
	v_add_nc_u32_e32 v42, 0x800, v52
	v_pk_fma_f16 v44, v56, v55, v44
	v_pk_fma_f16 v54, v57, v58, v54
	v_lshrrev_b32_e32 v55, 16, v4
	v_and_b32_e32 v4, 0xffff, v4
	ds_load_2addr_b64 v[56:59], v42 offset1:32
	v_mul_u32_u24_e32 v55, 0x10001, v55
	v_mul_u32_u24_e32 v4, 0x10001, v4
	s_wait_dscnt 0x0
	s_delay_alu instid0(VALU_DEP_1)
	v_pk_fma_f16 v44, v56, v4, v44
	v_pk_fma_f16 v4, v57, v4, v53
	;; [unrolled: 1-line block ×3, first 2 shown]
	v_lshrrev_b32_e32 v54, 16, v5
	v_and_b32_e32 v5, 0xffff, v5
	v_pk_fma_f16 v45, v56, v55, v45
	s_delay_alu instid0(VALU_DEP_3) | instskip(NEXT) | instid1(VALU_DEP_3)
	v_mul_u32_u24_e32 v54, 0x10001, v54
	v_mul_u32_u24_e32 v5, 0x10001, v5
	s_delay_alu instid0(VALU_DEP_2) | instskip(NEXT) | instid1(VALU_DEP_2)
	v_pk_fma_f16 v45, v58, v54, v45
	v_pk_fma_f16 v44, v58, v5, v44
	;; [unrolled: 1-line block ×4, first 2 shown]
	ds_load_2addr_b64 v[54:57], v42 offset0:64 offset1:96
	v_lshrrev_b32_e32 v53, 16, v6
	v_and_b32_e32 v6, 0xffff, v6
	s_delay_alu instid0(VALU_DEP_1) | instskip(SKIP_1) | instid1(VALU_DEP_1)
	v_mul_u32_u24_e32 v6, 0x10001, v6
	s_wait_dscnt 0x0
	v_pk_fma_f16 v44, v54, v6, v44
	v_pk_fma_f16 v4, v55, v6, v4
	v_lshrrev_b32_e32 v6, 16, v7
	v_mul_u32_u24_e32 v53, 0x10001, v53
	v_and_b32_e32 v7, 0xffff, v7
	s_delay_alu instid0(VALU_DEP_3) | instskip(NEXT) | instid1(VALU_DEP_3)
	v_mul_u32_u24_e32 v6, 0x10001, v6
	v_pk_fma_f16 v45, v54, v53, v45
	v_pk_fma_f16 v5, v55, v53, v5
	s_delay_alu instid0(VALU_DEP_4)
	v_mul_u32_u24_e32 v7, 0x10001, v7
	v_lshrrev_b32_e32 v55, 16, v0
	v_and_b32_e32 v0, 0xffff, v0
	v_pk_fma_f16 v45, v56, v6, v45
	v_pk_fma_f16 v54, v57, v6, v5
	;; [unrolled: 1-line block ×4, first 2 shown]
	ds_load_2addr_b64 v[4:7], v42 offset0:128 offset1:160
	v_mul_u32_u24_e32 v0, 0x10001, v0
	v_mul_u32_u24_e32 v55, 0x10001, v55
	s_wait_dscnt 0x0
	s_delay_alu instid0(VALU_DEP_2) | instskip(NEXT) | instid1(VALU_DEP_2)
	v_pk_fma_f16 v44, v4, v0, v44
	v_pk_fma_f16 v4, v4, v55, v45
	v_lshrrev_b32_e32 v45, 16, v1
	v_and_b32_e32 v1, 0xffff, v1
	v_pk_fma_f16 v0, v5, v0, v53
	v_pk_fma_f16 v5, v5, v55, v54
	s_delay_alu instid0(VALU_DEP_4) | instskip(NEXT) | instid1(VALU_DEP_4)
	v_mul_u32_u24_e32 v45, 0x10001, v45
	v_mul_u32_u24_e32 v1, 0x10001, v1
	s_delay_alu instid0(VALU_DEP_2) | instskip(NEXT) | instid1(VALU_DEP_2)
	v_pk_fma_f16 v53, v6, v45, v4
	v_pk_fma_f16 v44, v6, v1, v44
	;; [unrolled: 1-line block ×4, first 2 shown]
	ds_load_2addr_b64 v[4:7], v42 offset0:192 offset1:224
	v_lshrrev_b32_e32 v45, 16, v2
	v_and_b32_e32 v2, 0xffff, v2
	s_delay_alu instid0(VALU_DEP_1) | instskip(SKIP_1) | instid1(VALU_DEP_1)
	v_mul_u32_u24_e32 v2, 0x10001, v2
	s_wait_dscnt 0x0
	v_pk_fma_f16 v44, v4, v2, v44
	v_pk_fma_f16 v0, v5, v2, v0
	v_lshrrev_b32_e32 v2, 16, v3
	v_mul_u32_u24_e32 v45, 0x10001, v45
	v_and_b32_e32 v3, 0xffff, v3
	s_delay_alu instid0(VALU_DEP_3) | instskip(NEXT) | instid1(VALU_DEP_3)
	v_mul_u32_u24_e32 v2, 0x10001, v2
	v_pk_fma_f16 v4, v4, v45, v53
	s_delay_alu instid0(VALU_DEP_3) | instskip(SKIP_1) | instid1(VALU_DEP_2)
	v_mul_u32_u24_e32 v3, 0x10001, v3
	v_pk_fma_f16 v1, v5, v45, v1
	v_pk_fma_f16 v5, v6, v3, v44
	s_delay_alu instid0(VALU_DEP_4)
	v_pk_fma_f16 v6, v6, v2, v4
	v_add_nc_u32_e32 v4, 0x1000, v52
	v_pk_fma_f16 v44, v7, v3, v0
	v_pk_fma_f16 v7, v7, v2, v1
	ds_load_2addr_b64 v[0:3], v4 offset1:32
	ds_load_b128 v[54:57], v13 offset:11328
	s_wait_dscnt 0x0
	v_lshrrev_b32_e32 v45, 16, v54
	v_and_b32_e32 v53, 0xffff, v54
	s_delay_alu instid0(VALU_DEP_2) | instskip(NEXT) | instid1(VALU_DEP_2)
	v_mul_u32_u24_e32 v45, 0x10001, v45
	v_mul_u32_u24_e32 v53, 0x10001, v53
	s_delay_alu instid0(VALU_DEP_1) | instskip(NEXT) | instid1(VALU_DEP_3)
	v_pk_fma_f16 v5, v0, v53, v5
	v_pk_fma_f16 v0, v0, v45, v6
	;; [unrolled: 1-line block ×4, first 2 shown]
	v_lshrrev_b32_e32 v7, 16, v55
	v_and_b32_e32 v44, 0xffff, v55
	v_and_b32_e32 v53, 0xffff, v56
	s_delay_alu instid0(VALU_DEP_3) | instskip(NEXT) | instid1(VALU_DEP_3)
	v_mul_u32_u24_e32 v7, 0x10001, v7
	v_mul_u32_u24_e32 v44, 0x10001, v44
	s_delay_alu instid0(VALU_DEP_3) | instskip(NEXT) | instid1(VALU_DEP_3)
	v_mul_u32_u24_e32 v53, 0x10001, v53
	v_pk_fma_f16 v45, v2, v7, v0
	s_delay_alu instid0(VALU_DEP_3) | instskip(SKIP_4) | instid1(VALU_DEP_1)
	v_pk_fma_f16 v5, v2, v44, v5
	v_pk_fma_f16 v6, v3, v44, v6
	;; [unrolled: 1-line block ×3, first 2 shown]
	ds_load_2addr_b64 v[0:3], v4 offset0:64 offset1:96
	v_lshrrev_b32_e32 v44, 16, v56
	v_mul_u32_u24_e32 v44, 0x10001, v44
	s_wait_dscnt 0x0
	v_pk_fma_f16 v5, v0, v53, v5
	s_delay_alu instid0(VALU_DEP_2) | instskip(SKIP_4) | instid1(VALU_DEP_2)
	v_pk_fma_f16 v0, v0, v44, v45
	v_pk_fma_f16 v6, v1, v53, v6
	;; [unrolled: 1-line block ×3, first 2 shown]
	v_lshrrev_b32_e32 v7, 16, v57
	v_and_b32_e32 v44, 0xffff, v57
	v_mul_u32_u24_e32 v7, 0x10001, v7
	s_delay_alu instid0(VALU_DEP_2) | instskip(NEXT) | instid1(VALU_DEP_2)
	v_mul_u32_u24_e32 v44, 0x10001, v44
	v_pk_fma_f16 v45, v2, v7, v0
	s_delay_alu instid0(VALU_DEP_2)
	v_pk_fma_f16 v5, v2, v44, v5
	v_pk_fma_f16 v6, v3, v44, v6
	;; [unrolled: 1-line block ×3, first 2 shown]
	ds_load_2addr_b64 v[0:3], v4 offset0:128 offset1:160
	ds_load_b128 v[54:57], v13 offset:11344
	s_wait_dscnt 0x0
	v_lshrrev_b32_e32 v44, 16, v54
	v_and_b32_e32 v53, 0xffff, v54
	s_delay_alu instid0(VALU_DEP_2) | instskip(NEXT) | instid1(VALU_DEP_2)
	v_mul_u32_u24_e32 v44, 0x10001, v44
	v_mul_u32_u24_e32 v53, 0x10001, v53
	s_delay_alu instid0(VALU_DEP_1) | instskip(NEXT) | instid1(VALU_DEP_3)
	v_pk_fma_f16 v5, v0, v53, v5
	v_pk_fma_f16 v0, v0, v44, v45
	;; [unrolled: 1-line block ×4, first 2 shown]
	v_lshrrev_b32_e32 v7, 16, v55
	v_and_b32_e32 v44, 0xffff, v55
	v_and_b32_e32 v53, 0xffff, v56
	s_delay_alu instid0(VALU_DEP_3) | instskip(NEXT) | instid1(VALU_DEP_3)
	v_mul_u32_u24_e32 v7, 0x10001, v7
	v_mul_u32_u24_e32 v44, 0x10001, v44
	s_delay_alu instid0(VALU_DEP_3) | instskip(NEXT) | instid1(VALU_DEP_3)
	v_mul_u32_u24_e32 v53, 0x10001, v53
	v_pk_fma_f16 v45, v2, v7, v0
	s_delay_alu instid0(VALU_DEP_3) | instskip(SKIP_4) | instid1(VALU_DEP_1)
	v_pk_fma_f16 v5, v2, v44, v5
	v_pk_fma_f16 v6, v3, v44, v6
	;; [unrolled: 1-line block ×3, first 2 shown]
	ds_load_2addr_b64 v[0:3], v4 offset0:192 offset1:224
	v_lshrrev_b32_e32 v44, 16, v56
	v_mul_u32_u24_e32 v44, 0x10001, v44
	s_wait_dscnt 0x0
	v_pk_fma_f16 v5, v0, v53, v5
	s_delay_alu instid0(VALU_DEP_2) | instskip(SKIP_4) | instid1(VALU_DEP_2)
	v_pk_fma_f16 v0, v0, v44, v45
	v_pk_fma_f16 v6, v1, v53, v6
	;; [unrolled: 1-line block ×3, first 2 shown]
	v_and_b32_e32 v44, 0xffff, v57
	v_lshrrev_b32_e32 v7, 16, v57
	v_mul_u32_u24_e32 v44, 0x10001, v44
	s_delay_alu instid0(VALU_DEP_2) | instskip(NEXT) | instid1(VALU_DEP_2)
	v_mul_u32_u24_e32 v7, 0x10001, v7
	v_pk_fma_f16 v45, v2, v44, v5
	v_add_nc_u32_e32 v5, 0x1800, v52
	s_delay_alu instid0(VALU_DEP_3)
	v_pk_fma_f16 v53, v2, v7, v0
	v_pk_fma_f16 v6, v3, v44, v6
	v_pk_fma_f16 v7, v3, v7, v1
	ds_load_2addr_b64 v[0:3], v5 offset1:32
	ds_load_b128 v[54:57], v13 offset:11360
	s_wait_dscnt 0x0
	v_lshrrev_b32_e32 v44, 16, v54
	v_and_b32_e32 v54, 0xffff, v54
	s_delay_alu instid0(VALU_DEP_2) | instskip(NEXT) | instid1(VALU_DEP_2)
	v_mul_u32_u24_e32 v44, 0x10001, v44
	v_mul_u32_u24_e32 v54, 0x10001, v54
	s_delay_alu instid0(VALU_DEP_1) | instskip(NEXT) | instid1(VALU_DEP_3)
	v_pk_fma_f16 v45, v0, v54, v45
	v_pk_fma_f16 v0, v0, v44, v53
	;; [unrolled: 1-line block ×4, first 2 shown]
	v_lshrrev_b32_e32 v7, 16, v55
	v_and_b32_e32 v44, 0xffff, v55
	v_and_b32_e32 v54, 0xffff, v56
	s_delay_alu instid0(VALU_DEP_3) | instskip(NEXT) | instid1(VALU_DEP_3)
	v_mul_u32_u24_e32 v7, 0x10001, v7
	v_mul_u32_u24_e32 v44, 0x10001, v44
	s_delay_alu instid0(VALU_DEP_3) | instskip(NEXT) | instid1(VALU_DEP_3)
	v_mul_u32_u24_e32 v54, 0x10001, v54
	v_pk_fma_f16 v53, v2, v7, v0
	s_delay_alu instid0(VALU_DEP_3) | instskip(SKIP_4) | instid1(VALU_DEP_1)
	v_pk_fma_f16 v45, v2, v44, v45
	v_pk_fma_f16 v6, v3, v44, v6
	;; [unrolled: 1-line block ×3, first 2 shown]
	ds_load_2addr_b64 v[0:3], v5 offset0:64 offset1:96
	v_lshrrev_b32_e32 v44, 16, v56
	v_mul_u32_u24_e32 v44, 0x10001, v44
	s_wait_dscnt 0x0
	v_pk_fma_f16 v45, v0, v54, v45
	s_delay_alu instid0(VALU_DEP_2) | instskip(SKIP_4) | instid1(VALU_DEP_2)
	v_pk_fma_f16 v0, v0, v44, v53
	v_pk_fma_f16 v6, v1, v54, v6
	;; [unrolled: 1-line block ×3, first 2 shown]
	v_lshrrev_b32_e32 v7, 16, v57
	v_and_b32_e32 v44, 0xffff, v57
	v_mul_u32_u24_e32 v7, 0x10001, v7
	s_delay_alu instid0(VALU_DEP_2) | instskip(NEXT) | instid1(VALU_DEP_2)
	v_mul_u32_u24_e32 v44, 0x10001, v44
	v_pk_fma_f16 v53, v2, v7, v0
	s_delay_alu instid0(VALU_DEP_2)
	v_pk_fma_f16 v45, v2, v44, v45
	v_pk_fma_f16 v6, v3, v44, v6
	;; [unrolled: 1-line block ×3, first 2 shown]
	ds_load_2addr_b64 v[0:3], v5 offset0:128 offset1:160
	ds_load_b128 v[54:57], v13 offset:11376
	s_wait_dscnt 0x0
	v_lshrrev_b32_e32 v44, 16, v54
	v_and_b32_e32 v54, 0xffff, v54
	s_delay_alu instid0(VALU_DEP_2) | instskip(NEXT) | instid1(VALU_DEP_2)
	v_mul_u32_u24_e32 v44, 0x10001, v44
	v_mul_u32_u24_e32 v54, 0x10001, v54
	s_delay_alu instid0(VALU_DEP_1) | instskip(NEXT) | instid1(VALU_DEP_3)
	v_pk_fma_f16 v45, v0, v54, v45
	v_pk_fma_f16 v0, v0, v44, v53
	;; [unrolled: 1-line block ×4, first 2 shown]
	v_lshrrev_b32_e32 v7, 16, v55
	v_and_b32_e32 v44, 0xffff, v55
	v_and_b32_e32 v54, 0xffff, v56
	s_delay_alu instid0(VALU_DEP_3) | instskip(NEXT) | instid1(VALU_DEP_3)
	v_mul_u32_u24_e32 v7, 0x10001, v7
	v_mul_u32_u24_e32 v44, 0x10001, v44
	s_delay_alu instid0(VALU_DEP_3) | instskip(NEXT) | instid1(VALU_DEP_3)
	v_mul_u32_u24_e32 v54, 0x10001, v54
	v_pk_fma_f16 v53, v2, v7, v0
	s_delay_alu instid0(VALU_DEP_3)
	v_pk_fma_f16 v45, v2, v44, v45
	v_pk_fma_f16 v6, v3, v44, v6
	;; [unrolled: 1-line block ×3, first 2 shown]
	ds_load_2addr_b64 v[0:3], v5 offset0:192 offset1:224
	v_lshrrev_b32_e32 v44, 16, v56
	s_wait_dscnt 0x0
	s_barrier_signal -1
	s_barrier_wait -1
	s_delay_alu instid0(VALU_DEP_1)
	v_mul_u32_u24_e32 v44, 0x10001, v44
	s_clause 0x1
	scratch_store_b32 off, v15, off
	scratch_store_b96 off, v[8:10], off offset:4
	v_pk_fma_f16 v45, v0, v54, v45
	v_pk_fma_f16 v0, v0, v44, v53
	;; [unrolled: 1-line block ×4, first 2 shown]
	v_lshrrev_b32_e32 v6, 16, v57
	v_and_b32_e32 v7, 0xffff, v57
	s_delay_alu instid0(VALU_DEP_2) | instskip(NEXT) | instid1(VALU_DEP_2)
	v_mul_u32_u24_e32 v54, 0x10001, v6
	v_mul_u32_u24_e32 v44, 0x10001, v7
	s_delay_alu instid0(VALU_DEP_2) | instskip(NEXT) | instid1(VALU_DEP_2)
	v_pk_fma_f16 v7, v2, v54, v0
	v_pk_fma_f16 v6, v2, v44, v45
	;; [unrolled: 1-line block ×3, first 2 shown]
	v_add_nc_u64_e32 v[0:1], s[2:3], v[18:19]
	v_pk_fma_f16 v44, v3, v44, v53
	s_delay_alu instid0(VALU_DEP_2) | instskip(NEXT) | instid1(VALU_DEP_1)
	v_add_nc_u64_e32 v[0:1], v[0:1], v[14:15]
	v_dual_cndmask_b32 v1, v17, v1 :: v_dual_cndmask_b32 v0, v16, v0
	v_cmp_gt_i32_e32 vcc_lo, s4, v41
	flat_load_b128 v[0:3], v[0:1]
	s_wait_loadcnt_dscnt 0x0
	ds_store_b128 v40, v[0:3]
	s_wait_xcnt 0x0
	v_add_nc_u64_e32 v[0:1], s[2:3], v[26:27]
	s_clause 0x1
	scratch_store_b32 off, v15, off
	scratch_store_b96 off, v[8:10], off offset:4
	v_add_nc_u64_e32 v[0:1], v[0:1], v[14:15]
	s_delay_alu instid0(VALU_DEP_1)
	v_dual_cndmask_b32 v1, v17, v1 :: v_dual_cndmask_b32 v0, v16, v0
	v_cmp_gt_i32_e32 vcc_lo, s4, v39
	flat_load_b128 v[0:3], v[0:1]
	s_wait_loadcnt_dscnt 0x0
	ds_store_b128 v38, v[0:3]
	s_wait_xcnt 0x0
	v_add_nc_u64_e32 v[0:1], s[2:3], v[28:29]
	s_clause 0x1
	scratch_store_b32 off, v15, off
	scratch_store_b96 off, v[8:10], off offset:4
	v_add_nc_u64_e32 v[0:1], v[0:1], v[14:15]
	s_delay_alu instid0(VALU_DEP_1)
	;; [unrolled: 12-line block ×3, first 2 shown]
	v_dual_cndmask_b32 v1, v17, v1 :: v_dual_cndmask_b32 v0, v16, v0
	flat_load_b128 v[0:3], v[0:1]
	s_wait_loadcnt_dscnt 0x0
	ds_store_b128 v35, v[0:3]
	s_wait_storecnt_dscnt 0x0
	s_barrier_signal -1
	s_barrier_wait -1
	s_wait_xcnt 0x2
	ds_load_2addr_b64 v[14:17], v52 offset1:32
	ds_load_b128 v[24:27], v13 offset:11392
	ds_load_b128 v[36:39], v13 offset:11408
	;; [unrolled: 1-line block ×3, first 2 shown]
	s_wait_xcnt 0x0
	ds_load_b128 v[0:3], v13 offset:11440
	s_wait_dscnt 0x3
	v_lshrrev_b32_e32 v8, 16, v24
	v_and_b32_e32 v9, 0xffff, v24
	v_lshrrev_b32_e32 v10, 16, v25
	v_and_b32_e32 v18, 0xffff, v26
	s_delay_alu instid0(VALU_DEP_4) | instskip(NEXT) | instid1(VALU_DEP_4)
	v_mul_u32_u24_e32 v8, 0x10001, v8
	v_mul_u32_u24_e32 v9, 0x10001, v9
	s_delay_alu instid0(VALU_DEP_4) | instskip(NEXT) | instid1(VALU_DEP_4)
	v_mul_u32_u24_e32 v10, 0x10001, v10
	v_mul_u32_u24_e32 v18, 0x10001, v18
	s_delay_alu instid0(VALU_DEP_4) | instskip(NEXT) | instid1(VALU_DEP_4)
	v_pk_fma_f16 v7, v14, v8, v7
	v_pk_fma_f16 v6, v14, v9, v6
	v_and_b32_e32 v14, 0xffff, v25
	v_pk_fma_f16 v9, v15, v9, v44
	v_pk_fma_f16 v8, v15, v8, v45
	s_delay_alu instid0(VALU_DEP_3) | instskip(NEXT) | instid1(VALU_DEP_1)
	v_mul_u32_u24_e32 v14, 0x10001, v14
	v_pk_fma_f16 v15, v16, v14, v6
	v_pk_fma_f16 v16, v16, v10, v7
	;; [unrolled: 1-line block ×4, first 2 shown]
	ds_load_2addr_b64 v[6:9], v52 offset0:64 offset1:96
	v_lshrrev_b32_e32 v17, 16, v26
	s_delay_alu instid0(VALU_DEP_1) | instskip(SKIP_2) | instid1(VALU_DEP_2)
	v_mul_u32_u24_e32 v17, 0x10001, v17
	s_wait_dscnt 0x0
	v_pk_fma_f16 v15, v6, v18, v15
	v_pk_fma_f16 v6, v6, v17, v16
	;; [unrolled: 1-line block ×4, first 2 shown]
	v_lshrrev_b32_e32 v10, 16, v27
	v_and_b32_e32 v16, 0xffff, v27
	v_and_b32_e32 v18, 0xffff, v36
	s_delay_alu instid0(VALU_DEP_3) | instskip(NEXT) | instid1(VALU_DEP_3)
	v_mul_u32_u24_e32 v10, 0x10001, v10
	v_mul_u32_u24_e32 v16, 0x10001, v16
	s_delay_alu instid0(VALU_DEP_3) | instskip(NEXT) | instid1(VALU_DEP_3)
	v_mul_u32_u24_e32 v18, 0x10001, v18
	v_pk_fma_f16 v17, v8, v10, v6
	s_delay_alu instid0(VALU_DEP_3) | instskip(SKIP_4) | instid1(VALU_DEP_1)
	v_pk_fma_f16 v15, v8, v16, v15
	v_pk_fma_f16 v14, v9, v16, v14
	;; [unrolled: 1-line block ×3, first 2 shown]
	ds_load_2addr_b64 v[6:9], v52 offset0:128 offset1:160
	v_lshrrev_b32_e32 v16, 16, v36
	v_mul_u32_u24_e32 v16, 0x10001, v16
	s_wait_dscnt 0x0
	v_pk_fma_f16 v15, v6, v18, v15
	s_delay_alu instid0(VALU_DEP_2)
	v_pk_fma_f16 v6, v6, v16, v17
	v_pk_fma_f16 v14, v7, v18, v14
	;; [unrolled: 1-line block ×3, first 2 shown]
	v_lshrrev_b32_e32 v10, 16, v37
	v_and_b32_e32 v16, 0xffff, v37
	v_and_b32_e32 v18, 0xffff, v38
	s_delay_alu instid0(VALU_DEP_3) | instskip(NEXT) | instid1(VALU_DEP_3)
	v_mul_u32_u24_e32 v10, 0x10001, v10
	v_mul_u32_u24_e32 v16, 0x10001, v16
	s_delay_alu instid0(VALU_DEP_3) | instskip(NEXT) | instid1(VALU_DEP_3)
	v_mul_u32_u24_e32 v18, 0x10001, v18
	v_pk_fma_f16 v17, v8, v10, v6
	s_delay_alu instid0(VALU_DEP_3) | instskip(SKIP_4) | instid1(VALU_DEP_1)
	v_pk_fma_f16 v15, v8, v16, v15
	v_pk_fma_f16 v14, v9, v16, v14
	;; [unrolled: 1-line block ×3, first 2 shown]
	ds_load_2addr_b64 v[6:9], v52 offset0:192 offset1:224
	v_lshrrev_b32_e32 v16, 16, v38
	v_mul_u32_u24_e32 v16, 0x10001, v16
	s_wait_dscnt 0x0
	v_pk_fma_f16 v15, v6, v18, v15
	s_delay_alu instid0(VALU_DEP_2)
	v_pk_fma_f16 v6, v6, v16, v17
	v_pk_fma_f16 v14, v7, v18, v14
	;; [unrolled: 1-line block ×3, first 2 shown]
	v_lshrrev_b32_e32 v10, 16, v39
	v_and_b32_e32 v16, 0xffff, v39
	v_and_b32_e32 v18, 0xffff, v54
	s_delay_alu instid0(VALU_DEP_3) | instskip(NEXT) | instid1(VALU_DEP_3)
	v_mul_u32_u24_e32 v10, 0x10001, v10
	v_mul_u32_u24_e32 v16, 0x10001, v16
	s_delay_alu instid0(VALU_DEP_3) | instskip(NEXT) | instid1(VALU_DEP_3)
	v_mul_u32_u24_e32 v18, 0x10001, v18
	v_pk_fma_f16 v17, v8, v10, v6
	s_delay_alu instid0(VALU_DEP_3) | instskip(SKIP_4) | instid1(VALU_DEP_1)
	v_pk_fma_f16 v15, v8, v16, v15
	v_pk_fma_f16 v14, v9, v16, v14
	;; [unrolled: 1-line block ×3, first 2 shown]
	ds_load_2addr_b64 v[6:9], v42 offset1:32
	v_lshrrev_b32_e32 v16, 16, v54
	v_mul_u32_u24_e32 v16, 0x10001, v16
	s_wait_dscnt 0x0
	v_pk_fma_f16 v15, v6, v18, v15
	s_delay_alu instid0(VALU_DEP_2)
	v_pk_fma_f16 v6, v6, v16, v17
	v_pk_fma_f16 v14, v7, v18, v14
	;; [unrolled: 1-line block ×3, first 2 shown]
	v_lshrrev_b32_e32 v10, 16, v55
	v_and_b32_e32 v16, 0xffff, v55
	v_and_b32_e32 v18, 0xffff, v56
	s_delay_alu instid0(VALU_DEP_3) | instskip(NEXT) | instid1(VALU_DEP_3)
	v_mul_u32_u24_e32 v10, 0x10001, v10
	v_mul_u32_u24_e32 v16, 0x10001, v16
	s_delay_alu instid0(VALU_DEP_3) | instskip(NEXT) | instid1(VALU_DEP_3)
	v_mul_u32_u24_e32 v18, 0x10001, v18
	v_pk_fma_f16 v17, v8, v10, v6
	s_delay_alu instid0(VALU_DEP_3) | instskip(SKIP_4) | instid1(VALU_DEP_1)
	v_pk_fma_f16 v15, v8, v16, v15
	v_pk_fma_f16 v14, v9, v16, v14
	;; [unrolled: 1-line block ×3, first 2 shown]
	ds_load_2addr_b64 v[6:9], v42 offset0:64 offset1:96
	v_lshrrev_b32_e32 v16, 16, v56
	v_mul_u32_u24_e32 v16, 0x10001, v16
	s_wait_dscnt 0x0
	v_pk_fma_f16 v15, v6, v18, v15
	s_delay_alu instid0(VALU_DEP_2)
	v_pk_fma_f16 v6, v6, v16, v17
	v_pk_fma_f16 v14, v7, v18, v14
	;; [unrolled: 1-line block ×3, first 2 shown]
	v_lshrrev_b32_e32 v10, 16, v57
	v_and_b32_e32 v16, 0xffff, v57
	v_mov_b64_e32 v[18:19], v[20:21]
	s_delay_alu instid0(VALU_DEP_3) | instskip(NEXT) | instid1(VALU_DEP_3)
	v_mul_u32_u24_e32 v10, 0x10001, v10
	v_mul_u32_u24_e32 v16, 0x10001, v16
	s_delay_alu instid0(VALU_DEP_2) | instskip(NEXT) | instid1(VALU_DEP_2)
	v_pk_fma_f16 v17, v8, v10, v6
	v_pk_fma_f16 v15, v8, v16, v15
	;; [unrolled: 1-line block ×4, first 2 shown]
	ds_load_2addr_b64 v[6:9], v42 offset0:128 offset1:160
	v_lshrrev_b32_e32 v16, 16, v0
	v_and_b32_e32 v0, 0xffff, v0
	s_delay_alu instid0(VALU_DEP_2) | instskip(NEXT) | instid1(VALU_DEP_2)
	v_mul_u32_u24_e32 v16, 0x10001, v16
	v_mul_u32_u24_e32 v0, 0x10001, v0
	s_wait_dscnt 0x0
	s_delay_alu instid0(VALU_DEP_1)
	v_pk_fma_f16 v15, v6, v0, v15
	v_pk_fma_f16 v0, v7, v0, v14
	;; [unrolled: 1-line block ×3, first 2 shown]
	v_lshrrev_b32_e32 v10, 16, v1
	v_and_b32_e32 v1, 0xffff, v1
	v_pk_fma_f16 v6, v6, v16, v17
	s_delay_alu instid0(VALU_DEP_3) | instskip(NEXT) | instid1(VALU_DEP_3)
	v_mul_u32_u24_e32 v10, 0x10001, v10
	v_mul_u32_u24_e32 v1, 0x10001, v1
	s_delay_alu instid0(VALU_DEP_1) | instskip(NEXT) | instid1(VALU_DEP_3)
	v_pk_fma_f16 v14, v8, v1, v15
	v_pk_fma_f16 v15, v8, v10, v6
	;; [unrolled: 1-line block ×4, first 2 shown]
	ds_load_2addr_b64 v[6:9], v42 offset0:192 offset1:224
	v_lshrrev_b32_e32 v10, 16, v2
	v_and_b32_e32 v2, 0xffff, v2
	s_delay_alu instid0(VALU_DEP_1) | instskip(SKIP_1) | instid1(VALU_DEP_1)
	v_mul_u32_u24_e32 v2, 0x10001, v2
	s_wait_dscnt 0x0
	v_pk_fma_f16 v14, v6, v2, v14
	v_pk_fma_f16 v0, v7, v2, v0
	v_lshrrev_b32_e32 v2, 16, v3
	v_mul_u32_u24_e32 v10, 0x10001, v10
	v_and_b32_e32 v3, 0xffff, v3
	s_delay_alu instid0(VALU_DEP_3) | instskip(NEXT) | instid1(VALU_DEP_3)
	v_mul_u32_u24_e32 v2, 0x10001, v2
	v_pk_fma_f16 v6, v6, v10, v15
	v_pk_fma_f16 v1, v7, v10, v1
	s_delay_alu instid0(VALU_DEP_4) | instskip(NEXT) | instid1(VALU_DEP_2)
	v_mul_u32_u24_e32 v3, 0x10001, v3
	v_pk_fma_f16 v16, v9, v2, v1
	s_delay_alu instid0(VALU_DEP_2)
	v_pk_fma_f16 v10, v8, v3, v14
	v_pk_fma_f16 v14, v8, v2, v6
	;; [unrolled: 1-line block ×3, first 2 shown]
	ds_load_2addr_b64 v[0:3], v4 offset1:32
	ds_load_b128 v[6:9], v13 offset:11456
	s_wait_dscnt 0x0
	v_lshrrev_b32_e32 v17, 16, v6
	v_and_b32_e32 v6, 0xffff, v6
	s_delay_alu instid0(VALU_DEP_2) | instskip(NEXT) | instid1(VALU_DEP_2)
	v_mul_u32_u24_e32 v17, 0x10001, v17
	v_mul_u32_u24_e32 v6, 0x10001, v6
	s_delay_alu instid0(VALU_DEP_1) | instskip(NEXT) | instid1(VALU_DEP_3)
	v_pk_fma_f16 v10, v0, v6, v10
	v_pk_fma_f16 v0, v0, v17, v14
	v_lshrrev_b32_e32 v14, 16, v7
	v_and_b32_e32 v7, 0xffff, v7
	v_pk_fma_f16 v6, v1, v6, v15
	v_pk_fma_f16 v1, v1, v17, v16
	s_delay_alu instid0(VALU_DEP_4) | instskip(NEXT) | instid1(VALU_DEP_4)
	v_mul_u32_u24_e32 v14, 0x10001, v14
	v_mul_u32_u24_e32 v7, 0x10001, v7
	s_delay_alu instid0(VALU_DEP_2) | instskip(NEXT) | instid1(VALU_DEP_2)
	v_pk_fma_f16 v15, v2, v14, v0
	v_pk_fma_f16 v10, v2, v7, v10
	;; [unrolled: 1-line block ×4, first 2 shown]
	ds_load_2addr_b64 v[0:3], v4 offset0:64 offset1:96
	v_lshrrev_b32_e32 v14, 16, v8
	v_and_b32_e32 v8, 0xffff, v8
	s_delay_alu instid0(VALU_DEP_2) | instskip(NEXT) | instid1(VALU_DEP_2)
	v_mul_u32_u24_e32 v14, 0x10001, v14
	v_mul_u32_u24_e32 v8, 0x10001, v8
	s_wait_dscnt 0x0
	s_delay_alu instid0(VALU_DEP_1)
	v_pk_fma_f16 v10, v0, v8, v10
	v_pk_fma_f16 v6, v1, v8, v6
	v_pk_fma_f16 v1, v1, v14, v7
	v_lshrrev_b32_e32 v7, 16, v9
	v_and_b32_e32 v8, 0xffff, v9
	v_pk_fma_f16 v0, v0, v14, v15
	s_delay_alu instid0(VALU_DEP_3) | instskip(NEXT) | instid1(VALU_DEP_3)
	v_mul_u32_u24_e32 v7, 0x10001, v7
	v_mul_u32_u24_e32 v8, 0x10001, v8
	s_delay_alu instid0(VALU_DEP_2) | instskip(NEXT) | instid1(VALU_DEP_2)
	v_pk_fma_f16 v14, v2, v7, v0
	v_pk_fma_f16 v10, v2, v8, v10
	;; [unrolled: 1-line block ×4, first 2 shown]
	ds_load_2addr_b64 v[0:3], v4 offset0:128 offset1:160
	ds_load_b128 v[6:9], v13 offset:11472
	s_wait_dscnt 0x0
	v_lshrrev_b32_e32 v17, 16, v6
	v_and_b32_e32 v6, 0xffff, v6
	s_delay_alu instid0(VALU_DEP_2) | instskip(NEXT) | instid1(VALU_DEP_2)
	v_mul_u32_u24_e32 v17, 0x10001, v17
	v_mul_u32_u24_e32 v6, 0x10001, v6
	s_delay_alu instid0(VALU_DEP_1) | instskip(NEXT) | instid1(VALU_DEP_3)
	v_pk_fma_f16 v10, v0, v6, v10
	v_pk_fma_f16 v0, v0, v17, v14
	v_lshrrev_b32_e32 v14, 16, v7
	v_and_b32_e32 v7, 0xffff, v7
	v_pk_fma_f16 v6, v1, v6, v15
	v_pk_fma_f16 v1, v1, v17, v16
	s_delay_alu instid0(VALU_DEP_4) | instskip(NEXT) | instid1(VALU_DEP_4)
	v_mul_u32_u24_e32 v14, 0x10001, v14
	v_mul_u32_u24_e32 v7, 0x10001, v7
	s_delay_alu instid0(VALU_DEP_2) | instskip(NEXT) | instid1(VALU_DEP_2)
	v_pk_fma_f16 v15, v2, v14, v0
	v_pk_fma_f16 v10, v2, v7, v10
	;; [unrolled: 1-line block ×4, first 2 shown]
	ds_load_2addr_b64 v[0:3], v4 offset0:192 offset1:224
	v_lshrrev_b32_e32 v4, 16, v8
	v_and_b32_e32 v8, 0xffff, v8
	s_delay_alu instid0(VALU_DEP_2) | instskip(NEXT) | instid1(VALU_DEP_2)
	v_mul_u32_u24_e32 v4, 0x10001, v4
	v_mul_u32_u24_e32 v8, 0x10001, v8
	s_wait_dscnt 0x0
	s_delay_alu instid0(VALU_DEP_1) | instskip(NEXT) | instid1(VALU_DEP_3)
	v_pk_fma_f16 v10, v0, v8, v10
	v_pk_fma_f16 v0, v0, v4, v15
	;; [unrolled: 1-line block ×4, first 2 shown]
	v_lshrrev_b32_e32 v4, 16, v9
	v_and_b32_e32 v7, 0xffff, v9
	s_delay_alu instid0(VALU_DEP_2) | instskip(NEXT) | instid1(VALU_DEP_2)
	v_mul_u32_u24_e32 v4, 0x10001, v4
	v_mul_u32_u24_e32 v7, 0x10001, v7
	s_delay_alu instid0(VALU_DEP_2) | instskip(NEXT) | instid1(VALU_DEP_2)
	v_pk_fma_f16 v14, v2, v4, v0
	v_pk_fma_f16 v10, v2, v7, v10
	;; [unrolled: 1-line block ×4, first 2 shown]
	ds_load_2addr_b64 v[0:3], v5 offset1:32
	ds_load_b128 v[6:9], v13 offset:11488
	s_wait_dscnt 0x0
	v_lshrrev_b32_e32 v16, 16, v6
	v_and_b32_e32 v6, 0xffff, v6
	s_delay_alu instid0(VALU_DEP_2) | instskip(NEXT) | instid1(VALU_DEP_2)
	v_mul_u32_u24_e32 v16, 0x10001, v16
	v_mul_u32_u24_e32 v6, 0x10001, v6
	s_delay_alu instid0(VALU_DEP_1) | instskip(SKIP_1) | instid1(VALU_DEP_4)
	v_pk_fma_f16 v10, v0, v6, v10
	v_pk_fma_f16 v6, v1, v6, v15
	;; [unrolled: 1-line block ×3, first 2 shown]
	v_lshrrev_b32_e32 v4, 16, v7
	v_and_b32_e32 v7, 0xffff, v7
	v_pk_fma_f16 v0, v0, v16, v14
	v_mov_b64_e32 v[16:17], v[22:23]
	s_delay_alu instid0(VALU_DEP_4) | instskip(NEXT) | instid1(VALU_DEP_4)
	v_mul_u32_u24_e32 v4, 0x10001, v4
	v_mul_u32_u24_e32 v7, 0x10001, v7
	s_delay_alu instid0(VALU_DEP_2) | instskip(NEXT) | instid1(VALU_DEP_2)
	v_pk_fma_f16 v14, v2, v4, v0
	v_pk_fma_f16 v10, v2, v7, v10
	;; [unrolled: 1-line block ×4, first 2 shown]
	ds_load_2addr_b64 v[0:3], v5 offset0:64 offset1:96
	v_lshrrev_b32_e32 v7, 16, v8
	v_and_b32_e32 v8, 0xffff, v8
	s_delay_alu instid0(VALU_DEP_2) | instskip(NEXT) | instid1(VALU_DEP_2)
	v_mul_u32_u24_e32 v7, 0x10001, v7
	v_mul_u32_u24_e32 v8, 0x10001, v8
	s_wait_dscnt 0x0
	s_delay_alu instid0(VALU_DEP_1) | instskip(NEXT) | instid1(VALU_DEP_3)
	v_pk_fma_f16 v10, v0, v8, v10
	v_pk_fma_f16 v0, v0, v7, v14
	;; [unrolled: 1-line block ×4, first 2 shown]
	v_lshrrev_b32_e32 v4, 16, v9
	v_and_b32_e32 v7, 0xffff, v9
	s_delay_alu instid0(VALU_DEP_2) | instskip(NEXT) | instid1(VALU_DEP_2)
	v_mul_u32_u24_e32 v4, 0x10001, v4
	v_mul_u32_u24_e32 v7, 0x10001, v7
	s_delay_alu instid0(VALU_DEP_2) | instskip(NEXT) | instid1(VALU_DEP_2)
	v_pk_fma_f16 v14, v2, v4, v0
	v_pk_fma_f16 v10, v2, v7, v10
	;; [unrolled: 1-line block ×4, first 2 shown]
	ds_load_2addr_b64 v[0:3], v5 offset0:128 offset1:160
	ds_load_b128 v[6:9], v13 offset:11504
	s_wait_dscnt 0x0
	v_lshrrev_b32_e32 v13, 16, v6
	v_and_b32_e32 v6, 0xffff, v6
	s_delay_alu instid0(VALU_DEP_2) | instskip(NEXT) | instid1(VALU_DEP_2)
	v_mul_u32_u24_e32 v13, 0x10001, v13
	v_mul_u32_u24_e32 v6, 0x10001, v6
	s_delay_alu instid0(VALU_DEP_1) | instskip(SKIP_1) | instid1(VALU_DEP_4)
	v_pk_fma_f16 v10, v0, v6, v10
	v_pk_fma_f16 v6, v1, v6, v15
	;; [unrolled: 1-line block ×3, first 2 shown]
	v_lshrrev_b32_e32 v4, 16, v7
	v_and_b32_e32 v7, 0xffff, v7
	v_pk_fma_f16 v0, v0, v13, v14
	s_delay_alu instid0(VALU_DEP_3) | instskip(NEXT) | instid1(VALU_DEP_3)
	v_mul_u32_u24_e32 v4, 0x10001, v4
	v_mul_u32_u24_e32 v7, 0x10001, v7
	s_delay_alu instid0(VALU_DEP_2) | instskip(NEXT) | instid1(VALU_DEP_2)
	v_pk_fma_f16 v13, v2, v4, v0
	v_pk_fma_f16 v10, v2, v7, v10
	;; [unrolled: 1-line block ×4, first 2 shown]
	ds_load_2addr_b64 v[0:3], v5 offset0:192 offset1:224
	v_lshrrev_b32_e32 v5, 16, v8
	v_and_b32_e32 v7, 0xffff, v8
	s_wait_dscnt 0x0
	s_barrier_signal -1
	s_barrier_wait -1
	v_mul_u32_u24_e32 v5, 0x10001, v5
	v_mul_u32_u24_e32 v7, 0x10001, v7
	s_delay_alu instid0(VALU_DEP_1) | instskip(NEXT) | instid1(VALU_DEP_3)
	v_pk_fma_f16 v8, v0, v7, v10
	v_pk_fma_f16 v0, v0, v5, v13
	;; [unrolled: 1-line block ×4, first 2 shown]
	v_lshrrev_b32_e32 v4, 16, v9
	v_and_b32_e32 v5, 0xffff, v9
	s_delay_alu instid0(VALU_DEP_2) | instskip(NEXT) | instid1(VALU_DEP_2)
	v_mul_u32_u24_e32 v4, 0x10001, v4
	v_mul_u32_u24_e32 v5, 0x10001, v5
	s_delay_alu instid0(VALU_DEP_2) | instskip(NEXT) | instid1(VALU_DEP_2)
	v_pk_fma_f16 v55, v2, v4, v0
	v_pk_fma_f16 v56, v2, v5, v8
	;; [unrolled: 1-line block ×4, first 2 shown]
.LBB62_43:
	v_cmp_lt_i32_e32 vcc_lo, v11, v34
	s_cmp_eq_u64 s[12:13], 0
	s_cselect_b32 s2, -1, 0
	s_cmp_lg_u32 s20, 0
	v_cndmask_b32_e32 v0, v51, v11, vcc_lo
	v_cmp_lt_i32_e32 vcc_lo, v30, v34
	s_cselect_b32 s3, -1, 0
	s_delay_alu instid0(SALU_CYCLE_1) | instskip(NEXT) | instid1(VALU_DEP_2)
	s_or_b32 s2, s3, s2
	v_dual_cndmask_b32 v2, v51, v30 :: v_dual_lshlrev_b32 v1, 2, v0
	v_cmp_lt_i32_e32 vcc_lo, v31, v34
	s_delay_alu instid0(VALU_DEP_2) | instskip(SKIP_4) | instid1(VALU_DEP_2)
	v_lshlrev_b32_e32 v3, 2, v2
	ds_bpermute_b32 v0, v1, v18
	ds_bpermute_b32 v1, v1, v19
	v_cndmask_b32_e32 v4, v51, v31, vcc_lo
	v_cmp_lt_i32_e32 vcc_lo, v32, v34
	v_lshlrev_b32_e32 v4, 2, v4
	s_wait_dscnt 0x0
	v_pk_add_f32 v[0:1], v[18:19], v[0:1]
	ds_bpermute_b32 v2, v3, v0
	ds_bpermute_b32 v3, v3, v1
	s_wait_dscnt 0x0
	v_pk_add_f32 v[0:1], v[0:1], v[2:3]
	ds_bpermute_b32 v2, v4, v0
	ds_bpermute_b32 v3, v4, v1
	v_cndmask_b32_e32 v4, v51, v32, vcc_lo
	v_cmp_lt_i32_e32 vcc_lo, v33, v34
	s_delay_alu instid0(VALU_DEP_2)
	v_lshlrev_b32_e32 v4, 2, v4
	s_wait_dscnt 0x0
	v_pk_add_f32 v[0:1], v[0:1], v[2:3]
	ds_bpermute_b32 v2, v4, v0
	ds_bpermute_b32 v3, v4, v1
	v_cndmask_b32_e32 v4, v51, v33, vcc_lo
	s_and_b32 vcc_lo, exec_lo, s2
	s_delay_alu instid0(VALU_DEP_1)
	v_lshlrev_b32_e32 v4, 2, v4
	s_wait_dscnt 0x0
	v_pk_add_f32 v[0:1], v[0:1], v[2:3]
	ds_bpermute_b32 v2, v4, v0
	ds_bpermute_b32 v3, v4, v1
	s_wait_dscnt 0x0
	v_pk_add_f32 v[0:1], v[0:1], v[2:3]
	s_cbranch_vccnz .LBB62_45
; %bb.44:
	v_dual_mov_b32 v2, s33 :: v_dual_max_num_f32 v5, v17, v17
	global_load_b32 v4, v2, s[12:13] scale_offset
	s_wait_xcnt 0x0
	v_max_num_f32_e32 v2, v16, v16
	s_wait_loadcnt 0x0
	v_max_num_f32_e32 v3, v4, v4
	s_delay_alu instid0(VALU_DEP_1) | instskip(NEXT) | instid1(VALU_DEP_1)
	v_dual_max_num_f32 v2, v2, v3 :: v_dual_max_num_f32 v3, v5, v3
	v_dual_sub_f32 v5, v16, v2 :: v_dual_sub_f32 v7, v17, v3
	v_dual_sub_f32 v6, v4, v2 :: v_dual_sub_f32 v8, v4, v3
	s_delay_alu instid0(VALU_DEP_2) | instskip(NEXT) | instid1(VALU_DEP_2)
	v_mul_f32_e32 v4, 0x3fb8aa3b, v5
	v_dual_mul_f32 v10, 0x3fb8aa3b, v7 :: v_dual_mul_f32 v9, 0x3fb8aa3b, v6
	s_delay_alu instid0(VALU_DEP_3) | instskip(SKIP_1) | instid1(VALU_DEP_4)
	v_mul_f32_e32 v11, 0x3fb8aa3b, v8
	v_cmp_ngt_f32_e32 vcc_lo, 0xc2ce8ed0, v5
	v_fma_f32 v13, 0x3fb8aa3b, v5, -v4
	v_rndne_f32_e32 v14, v4
	v_fma_f32 v15, 0x3fb8aa3b, v6, -v9
	v_rndne_f32_e32 v16, v9
	;; [unrolled: 2-line block ×3, first 2 shown]
	v_dual_fmac_f32 v13, 0x32a5705f, v5 :: v_dual_sub_f32 v4, v4, v14
	v_rndne_f32_e32 v20, v11
	s_delay_alu instid0(VALU_DEP_3) | instskip(NEXT) | instid1(VALU_DEP_3)
	v_dual_fmac_f32 v17, 0x32a5705f, v7 :: v_dual_sub_f32 v10, v10, v18
	v_dual_fmac_f32 v15, 0x32a5705f, v6 :: v_dual_add_f32 v4, v4, v13
	v_sub_f32_e32 v9, v9, v16
	v_fma_f32 v19, 0x3fb8aa3b, v8, -v11
	s_delay_alu instid0(VALU_DEP_4) | instskip(NEXT) | instid1(VALU_DEP_4)
	v_dual_add_f32 v10, v10, v17 :: v_dual_sub_f32 v11, v11, v20
	v_exp_f32_e32 v4, v4
	s_delay_alu instid0(VALU_DEP_3) | instskip(SKIP_1) | instid1(VALU_DEP_3)
	v_add_f32_e32 v9, v9, v15
	v_cvt_i32_f32_e32 v14, v14
	v_exp_f32_e32 v10, v10
	v_cvt_i32_f32_e32 v13, v16
	v_cvt_i32_f32_e32 v15, v18
	v_exp_f32_e32 v9, v9
	v_ldexp_f32 v4, v4, v14
	v_cvt_i32_f32_e32 v16, v20
	s_delay_alu instid0(TRANS32_DEP_2) | instid1(VALU_DEP_3)
	v_ldexp_f32 v10, v10, v15
	s_delay_alu instid0(TRANS32_DEP_1) | instskip(NEXT) | instid1(VALU_DEP_4)
	v_ldexp_f32 v9, v9, v13
	v_cndmask_b32_e32 v4, 0, v4, vcc_lo
	v_cmp_ngt_f32_e32 vcc_lo, 0xc2ce8ed0, v7
	s_delay_alu instid0(VALU_DEP_4) | instskip(SKIP_1) | instid1(VALU_DEP_2)
	v_dual_fmac_f32 v19, 0x32a5705f, v8 :: v_dual_cndmask_b32 v10, 0, v10
	v_cmp_nlt_f32_e32 vcc_lo, 0x42b17218, v5
	v_dual_add_f32 v11, v11, v19 :: v_dual_cndmask_b32 v4, 0x7f800000, v4
	v_cmp_nlt_f32_e32 vcc_lo, 0x42b17218, v7
	s_delay_alu instid0(VALU_DEP_2) | instskip(SKIP_3) | instid1(TRANS32_DEP_1)
	v_exp_f32_e32 v11, v11
	v_cndmask_b32_e32 v5, 0x7f800000, v10, vcc_lo
	v_cmp_ngt_f32_e32 vcc_lo, 0xc2ce8ed0, v6
	v_cvt_f16_f32_e32 v10, v4
	v_ldexp_f32 v7, v11, v16
	v_mov_b64_e32 v[16:17], v[2:3]
	v_cvt_f16_f32_e32 v11, v5
	v_cndmask_b32_e32 v9, 0, v9, vcc_lo
	v_cmp_ngt_f32_e32 vcc_lo, 0xc2ce8ed0, v8
	v_and_b32_e32 v10, 0xffff, v10
	v_cndmask_b32_e32 v7, 0, v7, vcc_lo
	v_cmp_nlt_f32_e32 vcc_lo, 0x42b17218, v6
	v_cndmask_b32_e32 v6, 0x7f800000, v9, vcc_lo
	v_and_b32_e32 v9, 0xffff, v11
	v_cmp_nlt_f32_e32 vcc_lo, 0x42b17218, v8
	v_mul_u32_u24_e32 v8, 0x10001, v10
	s_delay_alu instid0(VALU_DEP_3) | instskip(SKIP_1) | instid1(VALU_DEP_3)
	v_mul_u32_u24_e32 v9, 0x10001, v9
	v_cndmask_b32_e32 v7, 0x7f800000, v7, vcc_lo
	v_pk_mul_f16 v56, v56, v8
	v_pk_mul_f16 v70, v70, v8
	s_delay_alu instid0(VALU_DEP_4) | instskip(NEXT) | instid1(VALU_DEP_4)
	v_pk_mul_f16 v55, v55, v9
	v_pk_fma_f32 v[0:1], v[0:1], v[4:5], v[6:7]
	v_pk_mul_f16 v57, v57, v9
.LBB62_45:
	s_mov_b32 s2, exec_lo
	v_cmpx_gt_i32_e64 s22, v50
	s_cbranch_execz .LBB62_55
; %bb.46:
	s_load_b32 s0, s[0:1], 0xd4
	v_mov_b32_e32 v2, 1.0
	s_wait_kmcnt 0x0
	s_cmp_lg_u32 s0, 1
	s_cselect_b32 s3, -1, 0
	s_cmp_eq_u32 s0, 1
	s_cselect_b32 s1, -1, 0
	s_and_b32 vcc_lo, exec_lo, s3
	s_cbranch_vccnz .LBB62_48
; %bb.47:
	v_div_scale_f32 v2, null, v0, v0, 1.0
	s_delay_alu instid0(VALU_DEP_1) | instskip(SKIP_1) | instid1(TRANS32_DEP_1)
	v_rcp_f32_e32 v3, v2
	v_nop
	v_fma_f32 v4, -v2, v3, 1.0
	s_delay_alu instid0(VALU_DEP_1) | instskip(SKIP_1) | instid1(VALU_DEP_1)
	v_fmac_f32_e32 v3, v4, v3
	v_div_scale_f32 v4, vcc_lo, 1.0, v0, 1.0
	v_mul_f32_e32 v5, v4, v3
	s_delay_alu instid0(VALU_DEP_1) | instskip(NEXT) | instid1(VALU_DEP_1)
	v_fma_f32 v6, -v2, v5, v4
	v_fmac_f32_e32 v5, v6, v3
	s_delay_alu instid0(VALU_DEP_1) | instskip(NEXT) | instid1(VALU_DEP_1)
	v_fma_f32 v2, -v2, v5, v4
	v_div_fmas_f32 v2, v2, v3, v5
	s_delay_alu instid0(VALU_DEP_1)
	v_div_fixup_f32 v2, v2, v0, 1.0
.LBB62_48:
	s_mul_i32 s2, s28, s22
	v_dual_lshrrev_b32 v5, 16, v56 :: v_dual_lshrrev_b32 v9, 16, v70
	s_add_co_i32 s2, s2, s38
	s_delay_alu instid0(SALU_CYCLE_1)
	v_dual_mov_b32 v7, 0 :: v_dual_add_nc_u32 v3, s2, v48
	v_cvt_f32_f16_e32 v4, v56
	v_cvt_f32_f16_e32 v8, v70
	;; [unrolled: 1-line block ×4, first 2 shown]
	v_mad_u32 v3, v3, s23, s33
	v_cmp_eq_u32_e32 vcc_lo, 0, v12
	s_and_b32 s3, vcc_lo, s3
	s_delay_alu instid0(VALU_DEP_2) | instskip(NEXT) | instid1(VALU_DEP_1)
	v_mad_u32 v3, s0, v3, s20
	v_lshl_add_u32 v6, v3, 7, v49
	v_pk_mul_f32 v[4:5], v[2:3], v[4:5] op_sel_hi:[0,1]
	s_delay_alu instid0(VALU_DEP_2)
	v_lshl_add_u64 v[10:11], v[6:7], 2, s[16:17]
	v_pk_mul_f32 v[6:7], v[2:3], v[8:9] op_sel_hi:[0,1]
	global_store_b128 v[10:11], v[4:7], off
	s_wait_xcnt 0x0
	s_and_saveexec_b32 s4, s3
	s_cbranch_execz .LBB62_50
; %bb.49:
	v_dual_mov_b32 v4, v16 :: v_dual_mov_b32 v5, v0
	global_store_b64 v3, v[4:5], s[18:19] scale_offset
.LBB62_50:
	s_wait_xcnt 0x0
	s_or_b32 exec_lo, exec_lo, s4
	v_cmp_gt_i32_e32 vcc_lo, s22, v47
	s_and_b32 exec_lo, exec_lo, vcc_lo
	s_cbranch_execz .LBB62_55
; %bb.51:
	v_mov_b32_e32 v0, 1.0
	s_and_not1_b32 vcc_lo, exec_lo, s1
	s_cbranch_vccnz .LBB62_53
; %bb.52:
	v_div_scale_f32 v0, null, v1, v1, 1.0
	s_delay_alu instid0(VALU_DEP_1) | instskip(SKIP_1) | instid1(TRANS32_DEP_1)
	v_rcp_f32_e32 v2, v0
	v_nop
	v_fma_f32 v3, -v0, v2, 1.0
	s_delay_alu instid0(VALU_DEP_1) | instskip(SKIP_1) | instid1(VALU_DEP_1)
	v_fmac_f32_e32 v2, v3, v2
	v_div_scale_f32 v3, vcc_lo, 1.0, v1, 1.0
	v_mul_f32_e32 v4, v3, v2
	s_delay_alu instid0(VALU_DEP_1) | instskip(NEXT) | instid1(VALU_DEP_1)
	v_fma_f32 v5, -v0, v4, v3
	v_fmac_f32_e32 v4, v5, v2
	s_delay_alu instid0(VALU_DEP_1) | instskip(NEXT) | instid1(VALU_DEP_1)
	v_fma_f32 v0, -v0, v4, v3
	v_div_fmas_f32 v0, v0, v2, v4
	s_delay_alu instid0(VALU_DEP_1)
	v_div_fixup_f32 v0, v0, v1, 1.0
.LBB62_53:
	v_dual_add_nc_u32 v2, s2, v46 :: v_dual_lshrrev_b32 v3, 16, v55
	v_dual_mov_b32 v7, 0 :: v_dual_lshrrev_b32 v9, 16, v57
	v_cvt_f32_f16_e32 v4, v55
	s_delay_alu instid0(VALU_DEP_3) | instskip(SKIP_3) | instid1(VALU_DEP_2)
	v_mad_u32 v2, v2, s23, s33
	v_cvt_f32_f16_e32 v8, v57
	v_cvt_f32_f16_e32 v5, v3
	;; [unrolled: 1-line block ×3, first 2 shown]
	v_pk_mul_f32 v[4:5], v[0:1], v[4:5] op_sel_hi:[0,1]
	v_mad_u32 v2, s0, v2, s20
	s_delay_alu instid0(VALU_DEP_1) | instskip(NEXT) | instid1(VALU_DEP_1)
	v_lshl_add_u32 v6, v2, 7, v49
	v_lshl_add_u64 v[10:11], v[6:7], 2, s[16:17]
	v_pk_mul_f32 v[6:7], v[0:1], v[8:9] op_sel_hi:[0,1]
	global_store_b128 v[10:11], v[4:7], off
	s_wait_xcnt 0x0
	s_and_b32 exec_lo, exec_lo, s3
	s_cbranch_execz .LBB62_55
; %bb.54:
	v_mov_b32_e32 v0, v17
	global_store_b64 v2, v[0:1], s[18:19] scale_offset
.LBB62_55:
	s_sendmsg sendmsg(MSG_DEALLOC_VGPRS)
	s_endpgm
	.section	.rodata,"a",@progbits
	.p2align	6, 0x0
	.amdhsa_kernel _ZL15flash_attn_tileILi128ELi128ELi8ELi1ELb0EEvPKcS1_S1_S1_S1_PKiPfP15HIP_vector_typeIfLj2EEffffjfiS5_IjLj3EEiiiiiiiiiiiliiliiiiil
		.amdhsa_group_segment_fixed_size 12288
		.amdhsa_private_segment_fixed_size 32
		.amdhsa_kernarg_size 464
		.amdhsa_user_sgpr_count 2
		.amdhsa_user_sgpr_dispatch_ptr 0
		.amdhsa_user_sgpr_queue_ptr 0
		.amdhsa_user_sgpr_kernarg_segment_ptr 1
		.amdhsa_user_sgpr_dispatch_id 0
		.amdhsa_user_sgpr_kernarg_preload_length 0
		.amdhsa_user_sgpr_kernarg_preload_offset 0
		.amdhsa_user_sgpr_private_segment_size 0
		.amdhsa_wavefront_size32 1
		.amdhsa_uses_dynamic_stack 0
		.amdhsa_enable_private_segment 1
		.amdhsa_system_sgpr_workgroup_id_x 1
		.amdhsa_system_sgpr_workgroup_id_y 1
		.amdhsa_system_sgpr_workgroup_id_z 1
		.amdhsa_system_sgpr_workgroup_info 0
		.amdhsa_system_vgpr_workitem_id 1
		.amdhsa_next_free_vgpr 88
		.amdhsa_next_free_sgpr 47
		.amdhsa_named_barrier_count 0
		.amdhsa_reserve_vcc 1
		.amdhsa_float_round_mode_32 0
		.amdhsa_float_round_mode_16_64 0
		.amdhsa_float_denorm_mode_32 3
		.amdhsa_float_denorm_mode_16_64 3
		.amdhsa_fp16_overflow 0
		.amdhsa_memory_ordered 1
		.amdhsa_forward_progress 1
		.amdhsa_inst_pref_size 169
		.amdhsa_round_robin_scheduling 0
		.amdhsa_exception_fp_ieee_invalid_op 0
		.amdhsa_exception_fp_denorm_src 0
		.amdhsa_exception_fp_ieee_div_zero 0
		.amdhsa_exception_fp_ieee_overflow 0
		.amdhsa_exception_fp_ieee_underflow 0
		.amdhsa_exception_fp_ieee_inexact 0
		.amdhsa_exception_int_div_zero 0
	.end_amdhsa_kernel
	.section	.text._ZL15flash_attn_tileILi128ELi128ELi8ELi1ELb0EEvPKcS1_S1_S1_S1_PKiPfP15HIP_vector_typeIfLj2EEffffjfiS5_IjLj3EEiiiiiiiiiiiliiliiiiil,"axG",@progbits,_ZL15flash_attn_tileILi128ELi128ELi8ELi1ELb0EEvPKcS1_S1_S1_S1_PKiPfP15HIP_vector_typeIfLj2EEffffjfiS5_IjLj3EEiiiiiiiiiiiliiliiiiil,comdat
.Lfunc_end62:
	.size	_ZL15flash_attn_tileILi128ELi128ELi8ELi1ELb0EEvPKcS1_S1_S1_S1_PKiPfP15HIP_vector_typeIfLj2EEffffjfiS5_IjLj3EEiiiiiiiiiiiliiliiiiil, .Lfunc_end62-_ZL15flash_attn_tileILi128ELi128ELi8ELi1ELb0EEvPKcS1_S1_S1_S1_PKiPfP15HIP_vector_typeIfLj2EEffffjfiS5_IjLj3EEiiiiiiiiiiiliiliiiiil
                                        ; -- End function
	.set _ZL15flash_attn_tileILi128ELi128ELi8ELi1ELb0EEvPKcS1_S1_S1_S1_PKiPfP15HIP_vector_typeIfLj2EEffffjfiS5_IjLj3EEiiiiiiiiiiiliiliiiiil.num_vgpr, 88
	.set _ZL15flash_attn_tileILi128ELi128ELi8ELi1ELb0EEvPKcS1_S1_S1_S1_PKiPfP15HIP_vector_typeIfLj2EEffffjfiS5_IjLj3EEiiiiiiiiiiiliiliiiiil.num_agpr, 0
	.set _ZL15flash_attn_tileILi128ELi128ELi8ELi1ELb0EEvPKcS1_S1_S1_S1_PKiPfP15HIP_vector_typeIfLj2EEffffjfiS5_IjLj3EEiiiiiiiiiiiliiliiiiil.numbered_sgpr, 47
	.set _ZL15flash_attn_tileILi128ELi128ELi8ELi1ELb0EEvPKcS1_S1_S1_S1_PKiPfP15HIP_vector_typeIfLj2EEffffjfiS5_IjLj3EEiiiiiiiiiiiliiliiiiil.num_named_barrier, 0
	.set _ZL15flash_attn_tileILi128ELi128ELi8ELi1ELb0EEvPKcS1_S1_S1_S1_PKiPfP15HIP_vector_typeIfLj2EEffffjfiS5_IjLj3EEiiiiiiiiiiiliiliiiiil.private_seg_size, 32
	.set _ZL15flash_attn_tileILi128ELi128ELi8ELi1ELb0EEvPKcS1_S1_S1_S1_PKiPfP15HIP_vector_typeIfLj2EEffffjfiS5_IjLj3EEiiiiiiiiiiiliiliiiiil.uses_vcc, 1
	.set _ZL15flash_attn_tileILi128ELi128ELi8ELi1ELb0EEvPKcS1_S1_S1_S1_PKiPfP15HIP_vector_typeIfLj2EEffffjfiS5_IjLj3EEiiiiiiiiiiiliiliiiiil.uses_flat_scratch, 1
	.set _ZL15flash_attn_tileILi128ELi128ELi8ELi1ELb0EEvPKcS1_S1_S1_S1_PKiPfP15HIP_vector_typeIfLj2EEffffjfiS5_IjLj3EEiiiiiiiiiiiliiliiiiil.has_dyn_sized_stack, 0
	.set _ZL15flash_attn_tileILi128ELi128ELi8ELi1ELb0EEvPKcS1_S1_S1_S1_PKiPfP15HIP_vector_typeIfLj2EEffffjfiS5_IjLj3EEiiiiiiiiiiiliiliiiiil.has_recursion, 0
	.set _ZL15flash_attn_tileILi128ELi128ELi8ELi1ELb0EEvPKcS1_S1_S1_S1_PKiPfP15HIP_vector_typeIfLj2EEffffjfiS5_IjLj3EEiiiiiiiiiiiliiliiiiil.has_indirect_call, 0
	.section	.AMDGPU.csdata,"",@progbits
; Kernel info:
; codeLenInByte = 21556
; TotalNumSgprs: 49
; NumVgprs: 88
; ScratchSize: 32
; MemoryBound: 0
; FloatMode: 240
; IeeeMode: 1
; LDSByteSize: 12288 bytes/workgroup (compile time only)
; SGPRBlocks: 0
; VGPRBlocks: 5
; NumSGPRsForWavesPerEU: 49
; NumVGPRsForWavesPerEU: 88
; NamedBarCnt: 0
; Occupancy: 10
; WaveLimiterHint : 1
; COMPUTE_PGM_RSRC2:SCRATCH_EN: 1
; COMPUTE_PGM_RSRC2:USER_SGPR: 2
; COMPUTE_PGM_RSRC2:TRAP_HANDLER: 0
; COMPUTE_PGM_RSRC2:TGID_X_EN: 1
; COMPUTE_PGM_RSRC2:TGID_Y_EN: 1
; COMPUTE_PGM_RSRC2:TGID_Z_EN: 1
; COMPUTE_PGM_RSRC2:TIDIG_COMP_CNT: 1
	.section	.text._ZL33flash_attn_stream_k_fixup_uniformILi128ELi8ELi1EEvPfPK15HIP_vector_typeIfLj2EEiiiiiiS1_IjLj3EES5_S5_,"axG",@progbits,_ZL33flash_attn_stream_k_fixup_uniformILi128ELi8ELi1EEvPfPK15HIP_vector_typeIfLj2EEiiiiiiS1_IjLj3EES5_S5_,comdat
	.globl	_ZL33flash_attn_stream_k_fixup_uniformILi128ELi8ELi1EEvPfPK15HIP_vector_typeIfLj2EEiiiiiiS1_IjLj3EES5_S5_ ; -- Begin function _ZL33flash_attn_stream_k_fixup_uniformILi128ELi8ELi1EEvPfPK15HIP_vector_typeIfLj2EEiiiiiiS1_IjLj3EES5_S5_
	.p2align	8
	.type	_ZL33flash_attn_stream_k_fixup_uniformILi128ELi8ELi1EEvPfPK15HIP_vector_typeIfLj2EEiiiiiiS1_IjLj3EES5_S5_,@function
_ZL33flash_attn_stream_k_fixup_uniformILi128ELi8ELi1EEvPfPK15HIP_vector_typeIfLj2EEiiiiiiS1_IjLj3EES5_S5_: ; @_ZL33flash_attn_stream_k_fixup_uniformILi128ELi8ELi1EEvPfPK15HIP_vector_typeIfLj2EEiiiiiiS1_IjLj3EES5_S5_
; %bb.0:
	s_load_b256 s[4:11], s[0:1], 0x1c
	s_bfe_u32 s2, ttmp6, 0x40014
	s_lshr_b32 s3, ttmp7, 16
	s_add_co_i32 s2, s2, 1
	s_bfe_u32 s13, ttmp6, 0x40010
	s_mul_i32 s2, s3, s2
	s_bfe_u32 s12, ttmp6, 0x40008
	s_and_b32 s14, ttmp7, 0xffff
	s_add_co_i32 s13, s13, 1
	s_bfe_u32 s15, ttmp6, 0x4000c
	s_add_co_i32 s2, s12, s2
	s_mul_i32 s12, s14, s13
	s_bfe_u32 s13, ttmp6, 0x40004
	s_add_co_i32 s15, s15, 1
	s_add_co_i32 s13, s13, s12
	s_and_b32 s12, ttmp6, 15
	s_mul_i32 s15, ttmp9, s15
	s_getreg_b32 s20, hwreg(HW_REG_IB_STS2, 6, 4)
	s_add_co_i32 s12, s12, s15
	s_load_b128 s[16:19], s[0:1], 0x3c
	s_cmp_eq_u32 s20, 0
	s_cselect_b32 s12, ttmp9, s12
	s_cselect_b32 s13, s14, s13
	s_wait_kmcnt 0x0
	s_mul_hi_u32 s7, s7, s12
	s_cselect_b32 s14, s3, s2
	s_add_co_i32 s2, s12, s7
	s_delay_alu instid0(SALU_CYCLE_1) | instskip(NEXT) | instid1(SALU_CYCLE_1)
	s_lshr_b32 s7, s2, s8
	s_mul_i32 s2, s7, s9
	s_delay_alu instid0(SALU_CYCLE_1) | instskip(NEXT) | instid1(SALU_CYCLE_1)
	s_sub_co_i32 s8, s12, s2
	s_mul_hi_u32 s2, s8, s10
	s_delay_alu instid0(SALU_CYCLE_1) | instskip(SKIP_2) | instid1(SALU_CYCLE_1)
	s_add_co_i32 s9, s8, s2
	s_load_b64 s[2:3], s[0:1], 0x10
	s_lshr_b32 s15, s9, s11
	s_mul_i32 s9, s15, s16
	s_delay_alu instid0(SALU_CYCLE_1) | instskip(NEXT) | instid1(SALU_CYCLE_1)
	s_sub_co_i32 s8, s8, s9
	s_mul_hi_u32 s9, s8, s17
	s_delay_alu instid0(SALU_CYCLE_1) | instskip(NEXT) | instid1(SALU_CYCLE_1)
	s_add_co_i32 s9, s8, s9
	s_lshr_b32 s16, s9, s18
	s_delay_alu instid0(SALU_CYCLE_1) | instskip(NEXT) | instid1(SALU_CYCLE_1)
	s_mul_i32 s9, s16, s19
	s_sub_co_i32 s17, s8, s9
	s_delay_alu instid0(SALU_CYCLE_1) | instskip(NEXT) | instid1(SALU_CYCLE_1)
	s_lshl_b32 s8, s17, 3
	s_add_co_i32 s8, s8, s13
	s_wait_kmcnt 0x0
	s_cmp_lt_i32 s8, s2
	s_cselect_b32 s8, -1, 0
	s_add_co_i32 s9, s16, s14
	s_delay_alu instid0(SALU_CYCLE_1) | instskip(SKIP_1) | instid1(SALU_CYCLE_1)
	s_cmp_lt_i32 s9, s5
	s_cselect_b32 s9, -1, 0
	s_and_b32 s8, s8, s9
	s_delay_alu instid0(SALU_CYCLE_1)
	s_and_not1_b32 vcc_lo, exec_lo, s8
	s_cbranch_vccnz .LBB63_6
; %bb.1:
	s_mul_i32 s2, s7, s2
	s_load_b128 s[8:11], s[0:1], 0x0
	s_wait_xcnt 0x0
	s_add_co_i32 s0, s2, s13
	s_mul_i32 s15, s15, s5
	s_mul_i32 s0, s0, s3
	;; [unrolled: 1-line block ×3, first 2 shown]
	s_add_co_i32 s0, s0, s14
	s_lshl_b32 s1, s1, 10
	s_add_co_i32 s0, s0, s15
	s_mul_i32 s7, s6, s12
	s_add_co_i32 s0, s0, s16
	s_add_co_i32 s5, s7, s6
	s_lshl_b32 s0, s0, 7
	s_add_co_i32 s13, s13, s14
	s_add_co_i32 s1, s1, s0
	s_lshl_b32 s0, s5, 3
	v_or_b32_e32 v4, s1, v0
	s_add_co_i32 s0, s13, s0
	s_add_co_i32 s2, s5, -2
	s_add_co_i32 s0, s0, -8
	s_delay_alu instid0(SALU_CYCLE_1)
	s_ashr_i32 s1, s0, 31
	s_wait_kmcnt 0x0
	global_load_b32 v3, v4, s[8:9] scale_offset
	s_lshl_b64 s[0:1], s[0:1], 3
	v_ashrrev_i32_e32 v5, 31, v4
	s_add_nc_u64 s[0:1], s[10:11], s[0:1]
	s_cmp_lt_i32 s2, s7
	s_load_b32 s14, s[0:1], 0x4
	s_cbranch_scc1 .LBB63_4
; %bb.2:
	s_wait_xcnt 0x0
	s_load_b32 s0, s[0:1], 0x0
	s_add_co_i32 s12, s12, 1
	s_lshl_b32 s3, s13, 7
	s_wait_xcnt 0x0
	s_mul_i32 s1, s6, s12
	s_lshl_b32 s2, s4, 5
	s_lshl_b32 s6, s1, 10
	s_lshl_b32 s1, s1, 3
	s_add_co_i32 s6, s3, s6
	s_ashr_i32 s3, s2, 31
	s_wait_kmcnt 0x0
	v_dual_mov_b32 v2, s14 :: v_dual_bitop2_b32 v0, s6, v0 bitop3:0x54
	s_add_co_i32 s1, s13, s1
	s_lshl_b32 s4, s4, 3
	s_lshl_b64 s[2:3], s[2:3], 2
	s_delay_alu instid0(VALU_DEP_1)
	v_add_nc_u32_e32 v0, 0xfffff800, v0
	s_add_co_i32 s4, s1, s4
	s_add_nc_u64 s[2:3], s[10:11], s[2:3]
	s_add_co_i32 s1, s5, -1
	s_add_co_i32 s4, s4, -16
.LBB63_3:                               ; =>This Inner Loop Header: Depth=1
	global_load_b32 v7, v0, s[2:3] scale_offset
	s_ashr_i32 s5, s4, 31
	v_max_num_f32_e64 v1, s0, s0
	s_lshl_b64 s[12:13], s[4:5], 3
	s_delay_alu instid0(SALU_CYCLE_1) | instskip(SKIP_1) | instid1(VALU_DEP_1)
	s_add_nc_u64 s[12:13], s[10:11], s[12:13]
	s_load_b64 s[12:13], s[12:13], 0x0
	v_readfirstlane_b32 s5, v1
	v_add_nc_u32_e32 v0, 0xfffffc00, v0
	s_wait_kmcnt 0x0
	v_max_num_f32_e64 v1, s12, s12
	s_delay_alu instid0(VALU_DEP_1) | instskip(SKIP_1) | instid1(SALU_CYCLE_3)
	v_readfirstlane_b32 s6, v1
	s_max_num_f32 s5, s5, s6
	s_sub_f32 s0, s0, s5
	s_sub_f32 s6, s12, s5
	s_delay_alu instid0(SALU_CYCLE_2) | instskip(NEXT) | instid1(SALU_CYCLE_2)
	s_mul_f32 s12, s0, 0x3fb8aa3b
	s_mul_f32 s14, s6, 0x3fb8aa3b
	s_delay_alu instid0(SALU_CYCLE_2)
	s_xor_b32 s15, s12, 0x80000000
	s_rndne_f32 s16, s12
	s_fmamk_f32 s15, s0, 0x3fb8aa3b, s15
	s_cmp_nlt_f32 s0, 0xc2ce8ed0
	s_rndne_f32 s17, s14
	s_sub_f32 s12, s12, s16
	s_fmamk_f32 s15, s0, 0x32a5705f, s15
	s_cselect_b32 vcc_lo, -1, 0
	s_cmp_ngt_f32 s0, 0x42b17218
	s_delay_alu instid0(SALU_CYCLE_1) | instskip(SKIP_2) | instid1(SALU_CYCLE_1)
	s_add_f32 s12, s12, s15
	s_cvt_i32_f32 s15, s16
	s_sub_f32 s16, s14, s17
	v_s_exp_f32 s12, s12
	v_nop
	s_delay_alu instid0(TRANS32_DEP_1) | instskip(SKIP_1) | instid1(VALU_DEP_1)
	v_ldexp_f32 v1, s12, s15
	s_cvt_i32_f32 s12, s17
	v_cndmask_b32_e32 v1, 0, v1, vcc_lo
	s_cselect_b32 vcc_lo, -1, 0
	s_cmp_ge_f32 s0, 0xc1a00000
	s_delay_alu instid0(VALU_DEP_1)
	v_cndmask_b32_e32 v1, 0x7f800000, v1, vcc_lo
	s_cselect_b32 vcc_lo, -1, 0
	s_xor_b32 s0, s14, 0x80000000
	s_cmp_nlt_f32 s6, 0xc2ce8ed0
	s_fmamk_f32 s0, s6, 0x3fb8aa3b, s0
	v_cndmask_b32_e32 v10, 0, v1, vcc_lo
	s_delay_alu instid0(SALU_CYCLE_2) | instskip(NEXT) | instid1(SALU_CYCLE_3)
	s_fmamk_f32 s0, s6, 0x32a5705f, s0
	s_add_f32 s0, s16, s0
	s_delay_alu instid0(SALU_CYCLE_3) | instskip(SKIP_1) | instid1(TRANS32_DEP_1)
	v_s_exp_f32 s0, s0
	v_nop
	v_ldexp_f32 v6, s0, s12
	s_cselect_b32 s0, -1, 0
	s_cmp_ngt_f32 s6, 0x42b17218
	s_delay_alu instid0(VALU_DEP_1) | instskip(SKIP_2) | instid1(VALU_DEP_1)
	v_cndmask_b32_e64 v6, 0, v6, s0
	s_cselect_b32 s0, -1, 0
	s_cmp_ge_f32 s6, 0xc1a00000
	v_cndmask_b32_e64 v8, 0x7f800000, v6, s0
	s_cselect_b32 s0, -1, 0
	v_mov_b32_e32 v6, s13
	s_add_co_i32 s1, s1, -1
	s_add_co_i32 s4, s4, -8
	v_cndmask_b32_e64 v8, 0, v8, s0
	s_cmp_le_i32 s1, s7
	s_mov_b32 s0, s5
	s_wait_loadcnt 0x0
	s_delay_alu instid0(VALU_DEP_1) | instskip(NEXT) | instid1(VALU_DEP_1)
	v_pk_mul_f32 v[6:7], v[6:7], v[8:9] op_sel_hi:[1,0]
	v_pk_fma_f32 v[2:3], v[2:3], v[10:11], v[6:7] op_sel_hi:[1,0,1]
	s_cbranch_scc0 .LBB63_3
	s_branch .LBB63_5
.LBB63_4:
	s_wait_kmcnt 0x0
	v_mov_b32_e32 v2, s14
.LBB63_5:
	v_lshl_add_u64 v[0:1], v[4:5], 2, s[8:9]
	s_wait_loadcnt 0x0
	s_delay_alu instid0(VALU_DEP_2) | instskip(NEXT) | instid1(VALU_DEP_1)
	v_div_scale_f32 v4, null, v2, v2, v3
	v_rcp_f32_e32 v5, v4
	v_nop
	s_delay_alu instid0(TRANS32_DEP_1) | instskip(NEXT) | instid1(VALU_DEP_1)
	v_fma_f32 v6, -v4, v5, 1.0
	v_fmac_f32_e32 v5, v6, v5
	v_div_scale_f32 v6, vcc_lo, v3, v2, v3
	s_delay_alu instid0(VALU_DEP_1) | instskip(NEXT) | instid1(VALU_DEP_1)
	v_mul_f32_e32 v7, v6, v5
	v_fma_f32 v8, -v4, v7, v6
	s_delay_alu instid0(VALU_DEP_1) | instskip(NEXT) | instid1(VALU_DEP_1)
	v_fmac_f32_e32 v7, v8, v5
	v_fma_f32 v4, -v4, v7, v6
	s_delay_alu instid0(VALU_DEP_1) | instskip(NEXT) | instid1(VALU_DEP_1)
	v_div_fmas_f32 v4, v4, v5, v7
	v_div_fixup_f32 v2, v4, v2, v3
	global_store_b32 v[0:1], v2, off
.LBB63_6:
	s_endpgm
	.section	.rodata,"a",@progbits
	.p2align	6, 0x0
	.amdhsa_kernel _ZL33flash_attn_stream_k_fixup_uniformILi128ELi8ELi1EEvPfPK15HIP_vector_typeIfLj2EEiiiiiiS1_IjLj3EES5_S5_
		.amdhsa_group_segment_fixed_size 0
		.amdhsa_private_segment_fixed_size 0
		.amdhsa_kernarg_size 76
		.amdhsa_user_sgpr_count 2
		.amdhsa_user_sgpr_dispatch_ptr 0
		.amdhsa_user_sgpr_queue_ptr 0
		.amdhsa_user_sgpr_kernarg_segment_ptr 1
		.amdhsa_user_sgpr_dispatch_id 0
		.amdhsa_user_sgpr_kernarg_preload_length 0
		.amdhsa_user_sgpr_kernarg_preload_offset 0
		.amdhsa_user_sgpr_private_segment_size 0
		.amdhsa_wavefront_size32 1
		.amdhsa_uses_dynamic_stack 0
		.amdhsa_enable_private_segment 0
		.amdhsa_system_sgpr_workgroup_id_x 1
		.amdhsa_system_sgpr_workgroup_id_y 1
		.amdhsa_system_sgpr_workgroup_id_z 1
		.amdhsa_system_sgpr_workgroup_info 0
		.amdhsa_system_vgpr_workitem_id 0
		.amdhsa_next_free_vgpr 12
		.amdhsa_next_free_sgpr 21
		.amdhsa_named_barrier_count 0
		.amdhsa_reserve_vcc 1
		.amdhsa_float_round_mode_32 0
		.amdhsa_float_round_mode_16_64 0
		.amdhsa_float_denorm_mode_32 3
		.amdhsa_float_denorm_mode_16_64 3
		.amdhsa_fp16_overflow 0
		.amdhsa_memory_ordered 1
		.amdhsa_forward_progress 1
		.amdhsa_inst_pref_size 9
		.amdhsa_round_robin_scheduling 0
		.amdhsa_exception_fp_ieee_invalid_op 0
		.amdhsa_exception_fp_denorm_src 0
		.amdhsa_exception_fp_ieee_div_zero 0
		.amdhsa_exception_fp_ieee_overflow 0
		.amdhsa_exception_fp_ieee_underflow 0
		.amdhsa_exception_fp_ieee_inexact 0
		.amdhsa_exception_int_div_zero 0
	.end_amdhsa_kernel
	.section	.text._ZL33flash_attn_stream_k_fixup_uniformILi128ELi8ELi1EEvPfPK15HIP_vector_typeIfLj2EEiiiiiiS1_IjLj3EES5_S5_,"axG",@progbits,_ZL33flash_attn_stream_k_fixup_uniformILi128ELi8ELi1EEvPfPK15HIP_vector_typeIfLj2EEiiiiiiS1_IjLj3EES5_S5_,comdat
.Lfunc_end63:
	.size	_ZL33flash_attn_stream_k_fixup_uniformILi128ELi8ELi1EEvPfPK15HIP_vector_typeIfLj2EEiiiiiiS1_IjLj3EES5_S5_, .Lfunc_end63-_ZL33flash_attn_stream_k_fixup_uniformILi128ELi8ELi1EEvPfPK15HIP_vector_typeIfLj2EEiiiiiiS1_IjLj3EES5_S5_
                                        ; -- End function
	.set _ZL33flash_attn_stream_k_fixup_uniformILi128ELi8ELi1EEvPfPK15HIP_vector_typeIfLj2EEiiiiiiS1_IjLj3EES5_S5_.num_vgpr, 12
	.set _ZL33flash_attn_stream_k_fixup_uniformILi128ELi8ELi1EEvPfPK15HIP_vector_typeIfLj2EEiiiiiiS1_IjLj3EES5_S5_.num_agpr, 0
	.set _ZL33flash_attn_stream_k_fixup_uniformILi128ELi8ELi1EEvPfPK15HIP_vector_typeIfLj2EEiiiiiiS1_IjLj3EES5_S5_.numbered_sgpr, 21
	.set _ZL33flash_attn_stream_k_fixup_uniformILi128ELi8ELi1EEvPfPK15HIP_vector_typeIfLj2EEiiiiiiS1_IjLj3EES5_S5_.num_named_barrier, 0
	.set _ZL33flash_attn_stream_k_fixup_uniformILi128ELi8ELi1EEvPfPK15HIP_vector_typeIfLj2EEiiiiiiS1_IjLj3EES5_S5_.private_seg_size, 0
	.set _ZL33flash_attn_stream_k_fixup_uniformILi128ELi8ELi1EEvPfPK15HIP_vector_typeIfLj2EEiiiiiiS1_IjLj3EES5_S5_.uses_vcc, 1
	.set _ZL33flash_attn_stream_k_fixup_uniformILi128ELi8ELi1EEvPfPK15HIP_vector_typeIfLj2EEiiiiiiS1_IjLj3EES5_S5_.uses_flat_scratch, 0
	.set _ZL33flash_attn_stream_k_fixup_uniformILi128ELi8ELi1EEvPfPK15HIP_vector_typeIfLj2EEiiiiiiS1_IjLj3EES5_S5_.has_dyn_sized_stack, 0
	.set _ZL33flash_attn_stream_k_fixup_uniformILi128ELi8ELi1EEvPfPK15HIP_vector_typeIfLj2EEiiiiiiS1_IjLj3EES5_S5_.has_recursion, 0
	.set _ZL33flash_attn_stream_k_fixup_uniformILi128ELi8ELi1EEvPfPK15HIP_vector_typeIfLj2EEiiiiiiS1_IjLj3EES5_S5_.has_indirect_call, 0
	.section	.AMDGPU.csdata,"",@progbits
; Kernel info:
; codeLenInByte = 1080
; TotalNumSgprs: 23
; NumVgprs: 12
; ScratchSize: 0
; MemoryBound: 0
; FloatMode: 240
; IeeeMode: 1
; LDSByteSize: 0 bytes/workgroup (compile time only)
; SGPRBlocks: 0
; VGPRBlocks: 0
; NumSGPRsForWavesPerEU: 23
; NumVGPRsForWavesPerEU: 12
; NamedBarCnt: 0
; Occupancy: 16
; WaveLimiterHint : 0
; COMPUTE_PGM_RSRC2:SCRATCH_EN: 0
; COMPUTE_PGM_RSRC2:USER_SGPR: 2
; COMPUTE_PGM_RSRC2:TRAP_HANDLER: 0
; COMPUTE_PGM_RSRC2:TGID_X_EN: 1
; COMPUTE_PGM_RSRC2:TGID_Y_EN: 1
; COMPUTE_PGM_RSRC2:TGID_Z_EN: 1
; COMPUTE_PGM_RSRC2:TIDIG_COMP_CNT: 0
	.section	.text._ZL33flash_attn_stream_k_fixup_generalILi128ELi8ELi1EEvPfPK15HIP_vector_typeIfLj2EEiiiiS1_IjLj3EES5_S5_S5_,"axG",@progbits,_ZL33flash_attn_stream_k_fixup_generalILi128ELi8ELi1EEvPfPK15HIP_vector_typeIfLj2EEiiiiS1_IjLj3EES5_S5_S5_,comdat
	.globl	_ZL33flash_attn_stream_k_fixup_generalILi128ELi8ELi1EEvPfPK15HIP_vector_typeIfLj2EEiiiiS1_IjLj3EES5_S5_S5_ ; -- Begin function _ZL33flash_attn_stream_k_fixup_generalILi128ELi8ELi1EEvPfPK15HIP_vector_typeIfLj2EEiiiiS1_IjLj3EES5_S5_S5_
	.p2align	8
	.type	_ZL33flash_attn_stream_k_fixup_generalILi128ELi8ELi1EEvPfPK15HIP_vector_typeIfLj2EEiiiiS1_IjLj3EES5_S5_S5_,@function
_ZL33flash_attn_stream_k_fixup_generalILi128ELi8ELi1EEvPfPK15HIP_vector_typeIfLj2EEiiiiS1_IjLj3EES5_S5_S5_: ; @_ZL33flash_attn_stream_k_fixup_generalILi128ELi8ELi1EEvPfPK15HIP_vector_typeIfLj2EEiiiiS1_IjLj3EES5_S5_S5_
; %bb.0:
	s_clause 0x1
	s_load_b128 s[4:7], s[0:1], 0x10
	s_load_b32 s16, s[0:1], 0x50
	s_bfe_u32 s2, ttmp6, 0x4000c
	s_and_b32 s3, ttmp6, 15
	s_add_co_i32 s2, s2, 1
	s_getreg_b32 s15, hwreg(HW_REG_IB_STS2, 6, 4)
	s_mul_i32 s2, ttmp9, s2
	s_mov_b32 s17, 0
	s_add_co_i32 s3, s3, s2
	s_cmp_eq_u32 s15, 0
	s_cselect_b32 s2, ttmp9, s3
	s_delay_alu instid0(SALU_CYCLE_1) | instskip(SKIP_3) | instid1(SALU_CYCLE_1)
	s_ashr_i32 s3, s2, 31
	s_wait_kmcnt 0x0
	s_ashr_i32 s19, s7, 31
	s_mov_b32 s18, s7
	s_mul_u64 s[8:9], s[18:19], s[2:3]
	s_delay_alu instid0(SALU_CYCLE_1) | instskip(NEXT) | instid1(SALU_CYCLE_1)
	s_and_b64 s[10:11], s[8:9], 0xffffffff00000000
	s_cmp_lg_u64 s[10:11], 0
	s_cbranch_scc0 .LBB64_21
; %bb.1:
	s_add_nc_u64 s[10:11], s[16:17], 0
	s_mov_b32 s23, s17
	s_xor_b64 s[10:11], s[10:11], 0
	s_mov_b32 s27, s17
	s_cvt_f32_u32 s3, s10
	s_cvt_f32_u32 s7, s11
	s_sub_nc_u64 s[20:21], 0, s[10:11]
	s_delay_alu instid0(SALU_CYCLE_2) | instskip(NEXT) | instid1(SALU_CYCLE_3)
	s_fmamk_f32 s3, s7, 0x4f800000, s3
	v_s_rcp_f32 s3, s3
	s_delay_alu instid0(TRANS32_DEP_1) | instskip(NEXT) | instid1(SALU_CYCLE_3)
	s_mul_f32 s3, s3, 0x5f7ffffc
	s_mul_f32 s7, s3, 0x2f800000
	s_delay_alu instid0(SALU_CYCLE_3) | instskip(NEXT) | instid1(SALU_CYCLE_3)
	s_trunc_f32 s7, s7
	s_fmamk_f32 s3, s7, 0xcf800000, s3
	s_cvt_u32_f32 s13, s7
	s_delay_alu instid0(SALU_CYCLE_2) | instskip(NEXT) | instid1(SALU_CYCLE_3)
	s_cvt_u32_f32 s12, s3
	s_mul_u64 s[24:25], s[20:21], s[12:13]
	s_delay_alu instid0(SALU_CYCLE_1)
	s_mul_hi_u32 s29, s12, s25
	s_mul_i32 s28, s12, s25
	s_mul_hi_u32 s22, s12, s24
	s_mul_i32 s7, s13, s24
	s_add_nc_u64 s[22:23], s[22:23], s[28:29]
	s_mul_hi_u32 s3, s13, s24
	s_mul_hi_u32 s14, s13, s25
	s_add_co_u32 s7, s22, s7
	s_add_co_ci_u32 s26, s23, s3
	s_mul_i32 s24, s13, s25
	s_add_co_ci_u32 s25, s14, 0
	s_delay_alu instid0(SALU_CYCLE_1) | instskip(SKIP_3) | instid1(SALU_CYCLE_1)
	s_add_nc_u64 s[22:23], s[26:27], s[24:25]
	s_mov_b32 s25, s17
	s_add_co_u32 s12, s12, s22
	s_cselect_b32 s3, -1, 0
	s_cmp_lg_u32 s3, 0
	s_add_co_ci_u32 s13, s13, s23
	s_mov_b32 s23, s17
	s_mul_u64 s[20:21], s[20:21], s[12:13]
	s_delay_alu instid0(SALU_CYCLE_1)
	s_mul_hi_u32 s27, s12, s21
	s_mul_i32 s26, s12, s21
	s_mul_hi_u32 s22, s12, s20
	s_mul_i32 s7, s13, s20
	s_add_nc_u64 s[22:23], s[22:23], s[26:27]
	s_mul_hi_u32 s3, s13, s20
	s_mul_hi_u32 s14, s13, s21
	s_add_co_u32 s7, s22, s7
	s_add_co_ci_u32 s24, s23, s3
	s_mul_i32 s20, s13, s21
	s_add_co_ci_u32 s21, s14, 0
	s_mov_b32 s23, s17
	s_add_nc_u64 s[20:21], s[24:25], s[20:21]
	s_delay_alu instid0(SALU_CYCLE_1) | instskip(SKIP_1) | instid1(SALU_CYCLE_1)
	s_add_co_u32 s3, s12, s20
	s_cselect_b32 s7, -1, 0
	s_cmp_lg_u32 s7, 0
	s_add_co_ci_u32 s7, s13, s21
	s_ashr_i32 s12, s9, 31
	s_delay_alu instid0(SALU_CYCLE_1) | instskip(NEXT) | instid1(SALU_CYCLE_1)
	s_mov_b32 s13, s12
	s_add_nc_u64 s[20:21], s[8:9], s[12:13]
	s_delay_alu instid0(SALU_CYCLE_1) | instskip(NEXT) | instid1(SALU_CYCLE_1)
	s_xor_b64 s[20:21], s[20:21], s[12:13]
	s_mul_hi_u32 s27, s20, s7
	s_mul_i32 s26, s20, s7
	s_mul_hi_u32 s22, s20, s3
	s_mul_hi_u32 s14, s21, s3
	s_mul_i32 s3, s21, s3
	s_add_nc_u64 s[22:23], s[22:23], s[26:27]
	s_mul_hi_u32 s9, s21, s7
	s_add_co_u32 s3, s22, s3
	s_add_co_ci_u32 s24, s23, s14
	s_mul_i32 s26, s21, s7
	s_add_co_ci_u32 s27, s9, 0
	s_delay_alu instid0(SALU_CYCLE_1) | instskip(NEXT) | instid1(SALU_CYCLE_1)
	s_add_nc_u64 s[22:23], s[24:25], s[26:27]
	s_and_b64 s[24:25], s[22:23], 0xffffffff00000000
	s_delay_alu instid0(SALU_CYCLE_1) | instskip(NEXT) | instid1(SALU_CYCLE_1)
	s_or_b32 s24, s24, s22
	s_mul_u64 s[22:23], s[10:11], s[24:25]
	s_add_nc_u64 s[26:27], s[24:25], 1
	s_sub_co_u32 s3, s20, s22
	s_cselect_b32 s7, -1, 0
	s_sub_co_i32 s9, s21, s23
	s_cmp_lg_u32 s7, 0
	s_add_nc_u64 s[28:29], s[24:25], 2
	s_sub_co_ci_u32 s9, s9, s11
	s_sub_co_u32 s14, s3, s10
	s_cselect_b32 s20, -1, 0
	s_delay_alu instid0(SALU_CYCLE_1) | instskip(SKIP_1) | instid1(SALU_CYCLE_1)
	s_cmp_lg_u32 s20, 0
	s_sub_co_ci_u32 s9, s9, 0
	s_cmp_ge_u32 s9, s11
	s_cselect_b32 s20, -1, 0
	s_cmp_ge_u32 s14, s10
	s_cselect_b32 s14, -1, 0
	s_cmp_eq_u32 s9, s11
	s_cselect_b32 s9, s14, s20
	s_delay_alu instid0(SALU_CYCLE_1) | instskip(SKIP_4) | instid1(SALU_CYCLE_1)
	s_cmp_lg_u32 s9, 0
	s_cselect_b32 s9, s28, s26
	s_cselect_b32 s14, s29, s27
	s_cmp_lg_u32 s7, 0
	s_sub_co_ci_u32 s7, s21, s23
	s_cmp_ge_u32 s7, s11
	s_cselect_b32 s20, -1, 0
	s_cmp_ge_u32 s3, s10
	s_cselect_b32 s3, -1, 0
	s_cmp_eq_u32 s7, s11
	s_cselect_b32 s3, s3, s20
	s_delay_alu instid0(SALU_CYCLE_1) | instskip(SKIP_4) | instid1(SALU_CYCLE_1)
	s_cmp_lg_u32 s3, 0
	s_mov_b32 s3, s17
	s_cselect_b32 s11, s14, s25
	s_cselect_b32 s10, s9, s24
	s_xor_b64 s[12:13], s[12:13], 0
	s_xor_b64 s[10:11], s[10:11], s[12:13]
	s_delay_alu instid0(SALU_CYCLE_1)
	s_sub_nc_u64 s[20:21], s[10:11], s[12:13]
	s_and_not1_b32 vcc_lo, exec_lo, s3
	s_cbranch_vccnz .LBB64_3
.LBB64_2:
	v_cvt_f32_u32_e32 v1, s16
	s_sub_co_i32 s7, 0, s16
	s_mov_b32 s21, 0
	s_delay_alu instid0(VALU_DEP_1) | instskip(SKIP_1) | instid1(TRANS32_DEP_1)
	v_rcp_iflag_f32_e32 v1, v1
	v_nop
	v_mul_f32_e32 v1, 0x4f7ffffe, v1
	s_delay_alu instid0(VALU_DEP_1) | instskip(NEXT) | instid1(VALU_DEP_1)
	v_cvt_u32_f32_e32 v1, v1
	v_readfirstlane_b32 s3, v1
	s_mul_i32 s7, s7, s3
	s_delay_alu instid0(SALU_CYCLE_1) | instskip(NEXT) | instid1(SALU_CYCLE_1)
	s_mul_hi_u32 s7, s3, s7
	s_add_co_i32 s3, s3, s7
	s_delay_alu instid0(SALU_CYCLE_1) | instskip(NEXT) | instid1(SALU_CYCLE_1)
	s_mul_hi_u32 s3, s8, s3
	s_mul_i32 s7, s3, s16
	s_delay_alu instid0(SALU_CYCLE_1)
	s_sub_co_i32 s7, s8, s7
	s_add_co_i32 s8, s3, 1
	s_sub_co_i32 s9, s7, s16
	s_cmp_ge_u32 s7, s16
	s_cselect_b32 s3, s8, s3
	s_cselect_b32 s7, s9, s7
	s_add_co_i32 s8, s3, 1
	s_cmp_ge_u32 s7, s16
	s_cselect_b32 s20, s8, s3
.LBB64_3:
	s_add_co_i32 s8, s2, 1
	s_delay_alu instid0(SALU_CYCLE_1) | instskip(NEXT) | instid1(SALU_CYCLE_1)
	s_ashr_i32 s9, s8, 31
	s_mul_u64 s[8:9], s[18:19], s[8:9]
	s_delay_alu instid0(SALU_CYCLE_1) | instskip(NEXT) | instid1(SALU_CYCLE_1)
	s_and_b64 s[10:11], s[8:9], 0xffffffff00000000
	s_cmp_lg_u64 s[10:11], 0
	s_cbranch_scc0 .LBB64_22
; %bb.4:
	s_add_nc_u64 s[10:11], s[16:17], 0
	s_delay_alu instid0(SALU_CYCLE_1) | instskip(SKIP_4) | instid1(SALU_CYCLE_2)
	s_xor_b64 s[12:13], s[10:11], 0
	s_mov_b32 s11, 0
	s_cvt_f32_u32 s3, s12
	s_cvt_f32_u32 s7, s13
	s_sub_nc_u64 s[24:25], 0, s[12:13]
	s_fmamk_f32 s3, s7, 0x4f800000, s3
	s_delay_alu instid0(SALU_CYCLE_3) | instskip(NEXT) | instid1(TRANS32_DEP_1)
	v_s_rcp_f32 s3, s3
	s_mul_f32 s3, s3, 0x5f7ffffc
	s_delay_alu instid0(SALU_CYCLE_3) | instskip(NEXT) | instid1(SALU_CYCLE_3)
	s_mul_f32 s7, s3, 0x2f800000
	s_trunc_f32 s7, s7
	s_delay_alu instid0(SALU_CYCLE_3) | instskip(SKIP_1) | instid1(SALU_CYCLE_2)
	s_fmamk_f32 s3, s7, 0xcf800000, s3
	s_cvt_u32_f32 s23, s7
	s_cvt_u32_f32 s22, s3
	s_delay_alu instid0(SALU_CYCLE_3) | instskip(NEXT) | instid1(SALU_CYCLE_1)
	s_mul_u64 s[26:27], s[24:25], s[22:23]
	s_mul_hi_u32 s29, s22, s27
	s_mul_i32 s28, s22, s27
	s_mul_hi_u32 s10, s22, s26
	s_mul_i32 s7, s23, s26
	s_add_nc_u64 s[28:29], s[10:11], s[28:29]
	s_mul_hi_u32 s3, s23, s26
	s_mul_hi_u32 s14, s23, s27
	s_add_co_u32 s7, s28, s7
	s_add_co_ci_u32 s10, s29, s3
	s_mul_i32 s26, s23, s27
	s_add_co_ci_u32 s27, s14, 0
	s_delay_alu instid0(SALU_CYCLE_1) | instskip(NEXT) | instid1(SALU_CYCLE_1)
	s_add_nc_u64 s[26:27], s[10:11], s[26:27]
	s_add_co_u32 s22, s22, s26
	s_cselect_b32 s3, -1, 0
	s_delay_alu instid0(SALU_CYCLE_1) | instskip(SKIP_1) | instid1(SALU_CYCLE_1)
	s_cmp_lg_u32 s3, 0
	s_add_co_ci_u32 s23, s23, s27
	s_mul_u64 s[24:25], s[24:25], s[22:23]
	s_delay_alu instid0(SALU_CYCLE_1)
	s_mul_hi_u32 s27, s22, s25
	s_mul_i32 s26, s22, s25
	s_mul_hi_u32 s10, s22, s24
	s_mul_i32 s7, s23, s24
	s_add_nc_u64 s[26:27], s[10:11], s[26:27]
	s_mul_hi_u32 s3, s23, s24
	s_mul_hi_u32 s14, s23, s25
	s_add_co_u32 s7, s26, s7
	s_add_co_ci_u32 s10, s27, s3
	s_mul_i32 s24, s23, s25
	s_add_co_ci_u32 s25, s14, 0
	s_delay_alu instid0(SALU_CYCLE_1) | instskip(NEXT) | instid1(SALU_CYCLE_1)
	s_add_nc_u64 s[24:25], s[10:11], s[24:25]
	s_add_co_u32 s3, s22, s24
	s_cselect_b32 s7, -1, 0
	s_delay_alu instid0(SALU_CYCLE_1) | instskip(SKIP_2) | instid1(SALU_CYCLE_1)
	s_cmp_lg_u32 s7, 0
	s_add_co_ci_u32 s7, s23, s25
	s_ashr_i32 s22, s9, 31
	s_mov_b32 s23, s22
	s_delay_alu instid0(SALU_CYCLE_1) | instskip(NEXT) | instid1(SALU_CYCLE_1)
	s_add_nc_u64 s[24:25], s[8:9], s[22:23]
	s_xor_b64 s[24:25], s[24:25], s[22:23]
	s_delay_alu instid0(SALU_CYCLE_1)
	s_mul_hi_u32 s27, s24, s7
	s_mul_i32 s26, s24, s7
	s_mul_hi_u32 s10, s24, s3
	s_mul_hi_u32 s14, s25, s3
	s_mul_i32 s3, s25, s3
	s_add_nc_u64 s[26:27], s[10:11], s[26:27]
	s_mul_hi_u32 s9, s25, s7
	s_add_co_u32 s3, s26, s3
	s_add_co_ci_u32 s10, s27, s14
	s_mul_i32 s28, s25, s7
	s_add_co_ci_u32 s29, s9, 0
	s_delay_alu instid0(SALU_CYCLE_1) | instskip(NEXT) | instid1(SALU_CYCLE_1)
	s_add_nc_u64 s[26:27], s[10:11], s[28:29]
	s_and_b64 s[28:29], s[26:27], 0xffffffff00000000
	s_delay_alu instid0(SALU_CYCLE_1) | instskip(NEXT) | instid1(SALU_CYCLE_1)
	s_or_b32 s28, s28, s26
	s_mul_u64 s[26:27], s[12:13], s[28:29]
	s_add_nc_u64 s[30:31], s[28:29], 1
	s_sub_co_u32 s3, s24, s26
	s_cselect_b32 s7, -1, 0
	s_sub_co_i32 s9, s25, s27
	s_cmp_lg_u32 s7, 0
	s_add_nc_u64 s[34:35], s[28:29], 2
	s_sub_co_ci_u32 s9, s9, s13
	s_sub_co_u32 s10, s3, s12
	s_cselect_b32 s14, -1, 0
	s_delay_alu instid0(SALU_CYCLE_1) | instskip(SKIP_1) | instid1(SALU_CYCLE_1)
	s_cmp_lg_u32 s14, 0
	s_sub_co_ci_u32 s9, s9, 0
	s_cmp_ge_u32 s9, s13
	s_cselect_b32 s14, -1, 0
	s_cmp_ge_u32 s10, s12
	s_cselect_b32 s10, -1, 0
	s_cmp_eq_u32 s9, s13
	s_cselect_b32 s9, s10, s14
	s_delay_alu instid0(SALU_CYCLE_1) | instskip(SKIP_4) | instid1(SALU_CYCLE_1)
	s_cmp_lg_u32 s9, 0
	s_cselect_b32 s9, s34, s30
	s_cselect_b32 s10, s35, s31
	s_cmp_lg_u32 s7, 0
	s_sub_co_ci_u32 s7, s25, s27
	s_cmp_ge_u32 s7, s13
	s_cselect_b32 s14, -1, 0
	s_cmp_ge_u32 s3, s12
	s_cselect_b32 s3, -1, 0
	s_cmp_eq_u32 s7, s13
	s_cselect_b32 s3, s3, s14
	s_delay_alu instid0(SALU_CYCLE_1) | instskip(SKIP_3) | instid1(SALU_CYCLE_1)
	s_cmp_lg_u32 s3, 0
	s_cselect_b32 s13, s10, s29
	s_cselect_b32 s12, s9, s28
	s_xor_b64 s[22:23], s[22:23], 0
	s_xor_b64 s[12:13], s[12:13], s[22:23]
	s_delay_alu instid0(SALU_CYCLE_1)
	s_sub_nc_u64 s[24:25], s[12:13], s[22:23]
	s_load_b96 s[12:14], s[0:1], 0x44
	s_cbranch_execnz .LBB64_6
.LBB64_5:
	v_cvt_f32_u32_e32 v1, s16
	s_sub_co_i32 s7, 0, s16
	s_delay_alu instid0(VALU_DEP_1) | instskip(SKIP_1) | instid1(TRANS32_DEP_1)
	v_rcp_iflag_f32_e32 v1, v1
	v_nop
	v_mul_f32_e32 v1, 0x4f7ffffe, v1
	s_delay_alu instid0(VALU_DEP_1) | instskip(NEXT) | instid1(VALU_DEP_1)
	v_cvt_u32_f32_e32 v1, v1
	v_readfirstlane_b32 s3, v1
	s_mul_i32 s7, s7, s3
	s_delay_alu instid0(SALU_CYCLE_1) | instskip(NEXT) | instid1(SALU_CYCLE_1)
	s_mul_hi_u32 s7, s3, s7
	s_add_co_i32 s3, s3, s7
	s_delay_alu instid0(SALU_CYCLE_1) | instskip(NEXT) | instid1(SALU_CYCLE_1)
	s_mul_hi_u32 s3, s8, s3
	s_mul_i32 s7, s3, s16
	s_delay_alu instid0(SALU_CYCLE_1)
	s_sub_co_i32 s7, s8, s7
	s_add_co_i32 s8, s3, 1
	s_sub_co_i32 s9, s7, s16
	s_cmp_ge_u32 s7, s16
	s_cselect_b32 s3, s8, s3
	s_cselect_b32 s7, s9, s7
	s_add_co_i32 s8, s3, 1
	s_cmp_ge_u32 s7, s16
	s_cselect_b32 s24, s8, s3
.LBB64_6:
	s_delay_alu instid0(SALU_CYCLE_1)
	s_cmp_eq_u32 s20, s24
	s_mov_b64 s[8:9], 0xffffffff
	s_cselect_b32 s3, -1, 0
	s_and_b64 s[8:9], s[20:21], s[8:9]
	s_mov_b32 s23, 0
	s_wait_kmcnt 0x0
	s_mov_b32 s22, s12
	s_mov_b32 s25, s23
	s_mul_u64 s[10:11], s[8:9], s[22:23]
	s_delay_alu instid0(SALU_CYCLE_1) | instskip(SKIP_2) | instid1(SALU_CYCLE_1)
	s_add_co_i32 s7, s11, s20
	s_mul_u64 s[10:11], s[24:25], s[22:23]
	s_lshr_b32 s12, s7, s13
	s_mul_i32 s7, s12, s14
	s_delay_alu instid0(SALU_CYCLE_1) | instskip(SKIP_2) | instid1(SALU_CYCLE_1)
	s_cmp_eq_u32 s7, s20
	s_cselect_b32 s7, -1, 0
	s_add_co_i32 s10, s11, s24
	s_lshr_b32 s10, s10, s13
	s_delay_alu instid0(SALU_CYCLE_1)
	s_cmp_eq_u32 s12, s10
	s_mul_i32 s10, s10, s14
	s_cselect_b32 s11, -1, 0
	s_cmp_lg_u32 s10, s24
	s_cselect_b32 s10, -1, 0
	s_or_b32 s3, s3, s7
	s_and_b32 s10, s11, s10
	s_delay_alu instid0(SALU_CYCLE_1) | instskip(NEXT) | instid1(SALU_CYCLE_1)
	s_or_b32 s3, s3, s10
	s_and_b32 vcc_lo, exec_lo, s3
	s_cbranch_vccnz .LBB64_24
; %bb.7:
	s_load_b256 s[24:31], s[0:1], 0x20
	s_bfe_u32 s7, ttmp6, 0x40014
	s_bfe_u32 s33, ttmp6, 0x40010
	s_lshr_b32 s3, ttmp7, 16
	s_add_co_i32 s7, s7, 1
	s_and_b32 s21, ttmp7, 0xffff
	s_add_co_i32 s33, s33, 1
	s_bfe_u32 s10, ttmp6, 0x40008
	s_mul_i32 s7, s3, s7
	s_bfe_u32 s34, ttmp6, 0x40004
	s_mul_i32 s33, s21, s33
	s_mov_b32 s11, s23
	s_add_co_i32 s7, s10, s7
	s_add_co_i32 s34, s34, s33
	s_cmp_eq_u32 s15, 0
	s_cselect_b32 s15, s21, s34
	s_cselect_b32 s3, s3, s7
	s_wait_kmcnt 0x0
	s_mov_b32 s10, s24
	s_delay_alu instid0(SALU_CYCLE_1) | instskip(SKIP_2) | instid1(SALU_CYCLE_1)
	s_mul_u64 s[8:9], s[8:9], s[10:11]
	s_load_b32 s8, s[0:1], 0x40
	s_add_co_i32 s7, s9, s20
	s_lshr_b32 s7, s7, s25
	s_delay_alu instid0(SALU_CYCLE_1) | instskip(NEXT) | instid1(SALU_CYCLE_1)
	s_mul_i32 s9, s7, s26
	s_sub_co_i32 s9, s20, s9
	s_delay_alu instid0(SALU_CYCLE_1) | instskip(NEXT) | instid1(SALU_CYCLE_1)
	s_mul_hi_u32 s10, s9, s27
	s_add_co_i32 s10, s9, s10
	s_delay_alu instid0(SALU_CYCLE_1) | instskip(NEXT) | instid1(SALU_CYCLE_1)
	s_lshr_b32 s21, s10, s28
	s_mul_i32 s10, s21, s29
	s_delay_alu instid0(SALU_CYCLE_1) | instskip(NEXT) | instid1(SALU_CYCLE_1)
	s_sub_co_i32 s10, s9, s10
	s_mul_hi_u32 s9, s10, s30
	s_delay_alu instid0(SALU_CYCLE_1) | instskip(NEXT) | instid1(SALU_CYCLE_1)
	s_add_co_i32 s9, s10, s9
	s_lshr_b32 s24, s9, s31
	s_mov_b32 s9, s23
	s_wait_kmcnt 0x0
	s_mul_i32 s8, s24, s8
	s_delay_alu instid0(SALU_CYCLE_1) | instskip(NEXT) | instid1(SALU_CYCLE_1)
	s_sub_co_i32 s8, s10, s8
	s_mul_u64 s[10:11], s[8:9], s[22:23]
	s_delay_alu instid0(SALU_CYCLE_1) | instskip(NEXT) | instid1(SALU_CYCLE_1)
	s_add_co_i32 s8, s8, s11
	s_lshr_b32 s25, s8, s13
	s_delay_alu instid0(SALU_CYCLE_1) | instskip(NEXT) | instid1(SALU_CYCLE_1)
	s_lshl_b32 s8, s25, 3
	s_add_co_i32 s8, s8, s15
	s_delay_alu instid0(SALU_CYCLE_1) | instskip(SKIP_2) | instid1(SALU_CYCLE_1)
	s_cmp_lt_i32 s8, s4
	s_cselect_b32 s8, -1, 0
	s_add_co_i32 s9, s24, s3
	s_cmp_lt_i32 s9, s6
	s_cselect_b32 s9, -1, 0
	s_delay_alu instid0(SALU_CYCLE_1) | instskip(NEXT) | instid1(SALU_CYCLE_1)
	s_and_b32 s8, s8, s9
	s_and_not1_b32 vcc_lo, exec_lo, s8
	s_cbranch_vccnz .LBB64_24
; %bb.8:
	s_mul_i32 s4, s7, s4
	s_load_b128 s[8:11], s[0:1], 0x0
	s_wait_xcnt 0x0
	s_add_co_i32 s0, s4, s15
	s_mul_i32 s21, s21, s6
	s_mul_i32 s0, s0, s5
	;; [unrolled: 1-line block ×3, first 2 shown]
	s_add_co_i32 s0, s0, s3
	s_lshl_b32 s1, s1, 10
	s_add_co_i32 s0, s0, s21
	s_add_co_i32 s15, s15, s3
	;; [unrolled: 1-line block ×3, first 2 shown]
	v_lshl_or_b32 v6, s15, 7, v0
	s_lshl_b32 s0, s0, 7
	v_cvt_f32_u32_e32 v4, s16
	s_add_co_i32 s1, s1, s0
	s_lshl_b32 s24, s16, 5
	v_or_b32_e32 v2, s1, v0
	s_add_nc_u64 s[0:1], s[16:17], 0
	v_rcp_iflag_f32_e32 v4, v4
	s_xor_b64 s[6:7], s[0:1], 0
	s_lshl_b32 s0, s2, 3
	s_cvt_f32_u32 s3, s6
	s_add_co_i32 s0, s0, s15
	s_cvt_f32_u32 s4, s7
	s_ashr_i32 s1, s0, 31
	s_mov_b32 s25, 0
	s_lshl_b64 s[0:1], s[0:1], 3
	s_fmamk_f32 s3, s4, 0x4f800000, s3
	s_wait_kmcnt 0x0
	s_add_nc_u64 s[0:1], s[10:11], s[0:1]
	s_add_co_i32 s36, s2, -1
	s_load_b64 s[28:29], s[0:1], 0x0
	v_s_rcp_f32 s3, s3
	s_wait_xcnt 0x0
	s_lshl_b64 s[0:1], s[24:25], 2
	s_sub_nc_u64 s[34:35], 0, s[6:7]
	s_add_nc_u64 s[26:27], s[10:11], s[0:1]
	v_mul_f32_e32 v4, 0x4f7ffffe, v4
	s_delay_alu instid0(TRANS32_DEP_1) | instskip(NEXT) | instid1(VALU_DEP_1)
	s_mul_f32 s3, s3, 0x5f7ffffc
	v_cvt_u32_f32_e32 v7, v4
	s_delay_alu instid0(SALU_CYCLE_2) | instskip(NEXT) | instid1(SALU_CYCLE_3)
	s_mul_f32 s4, s3, 0x2f800000
	s_trunc_f32 s4, s4
	s_wait_kmcnt 0x0
	v_mov_b32_e32 v0, s29
	global_load_b32 v1, v2, s[8:9] scale_offset
	v_ashrrev_i32_e32 v3, 31, v2
	s_fmamk_f32 s0, s4, 0xcf800000, s3
	s_cvt_u32_f32 s31, s4
	s_wait_xcnt 0x0
	s_delay_alu instid0(VALU_DEP_1)
	v_lshl_add_u64 v[2:3], v[2:3], 2, s[8:9]
	s_cvt_u32_f32 s30, s0
	s_mov_b64 s[8:9], 0xffffffff
.LBB64_9:                               ; =>This Inner Loop Header: Depth=1
	s_ashr_i32 s37, s36, 31
                                        ; implicit-def: $sgpr40_sgpr41
	s_delay_alu instid0(SALU_CYCLE_1) | instskip(NEXT) | instid1(SALU_CYCLE_1)
	s_mul_u64 s[0:1], s[36:37], s[18:19]
	s_and_b64 s[2:3], s[0:1], 0xffffffff00000000
	s_delay_alu instid0(SALU_CYCLE_1)
	s_cmp_lg_u64 s[2:3], 0
	s_mov_b32 s2, -1
	s_cbranch_scc0 .LBB64_11
; %bb.10:                               ;   in Loop: Header=BB64_9 Depth=1
	s_mul_u64 s[2:3], s[34:35], s[30:31]
	s_delay_alu instid0(SALU_CYCLE_1)
	s_mul_hi_u32 s5, s30, s3
	s_mul_i32 s4, s30, s3
	s_mul_hi_u32 s24, s30, s2
	s_mul_hi_u32 s17, s31, s2
	s_add_nc_u64 s[4:5], s[24:25], s[4:5]
	s_mul_i32 s2, s31, s2
	s_mul_hi_u32 s21, s31, s3
	s_add_co_u32 s2, s4, s2
	s_add_co_ci_u32 s24, s5, s17
	s_add_co_ci_u32 s5, s21, 0
	s_mul_i32 s4, s31, s3
	s_delay_alu instid0(SALU_CYCLE_1) | instskip(NEXT) | instid1(SALU_CYCLE_1)
	s_add_nc_u64 s[2:3], s[24:25], s[4:5]
	s_add_co_u32 s2, s30, s2
	s_cselect_b32 s4, -1, 0
	s_delay_alu instid0(SALU_CYCLE_1) | instskip(SKIP_1) | instid1(SALU_CYCLE_1)
	s_cmp_lg_u32 s4, 0
	s_add_co_ci_u32 s3, s31, s3
	s_mul_u64 s[4:5], s[34:35], s[2:3]
	s_delay_alu instid0(SALU_CYCLE_1)
	s_mul_hi_u32 s39, s2, s5
	s_mul_i32 s38, s2, s5
	s_mul_hi_u32 s24, s2, s4
	s_mul_hi_u32 s17, s3, s4
	s_mul_i32 s4, s3, s4
	s_add_nc_u64 s[38:39], s[24:25], s[38:39]
	s_mul_hi_u32 s21, s3, s5
	s_add_co_u32 s4, s38, s4
	s_add_co_ci_u32 s24, s39, s17
	s_mul_i32 s4, s3, s5
	s_add_co_ci_u32 s5, s21, 0
	s_delay_alu instid0(SALU_CYCLE_1) | instskip(NEXT) | instid1(SALU_CYCLE_1)
	s_add_nc_u64 s[4:5], s[24:25], s[4:5]
	s_add_co_u32 s17, s2, s4
	s_cselect_b32 s2, -1, 0
	s_delay_alu instid0(SALU_CYCLE_1) | instskip(SKIP_2) | instid1(SALU_CYCLE_1)
	s_cmp_lg_u32 s2, 0
	s_add_co_ci_u32 s21, s3, s5
	s_ashr_i32 s2, s1, 31
	s_mov_b32 s3, s2
	s_delay_alu instid0(SALU_CYCLE_1) | instskip(NEXT) | instid1(SALU_CYCLE_1)
	s_add_nc_u64 s[4:5], s[0:1], s[2:3]
	s_xor_b64 s[4:5], s[4:5], s[2:3]
	s_delay_alu instid0(SALU_CYCLE_1)
	s_mul_hi_u32 s39, s4, s21
	s_mul_i32 s38, s4, s21
	s_mul_hi_u32 s24, s4, s17
	s_mul_hi_u32 s29, s5, s17
	s_mul_i32 s17, s5, s17
	s_add_nc_u64 s[38:39], s[24:25], s[38:39]
	s_mul_hi_u32 s1, s5, s21
	s_add_co_u32 s17, s38, s17
	s_add_co_ci_u32 s24, s39, s29
	s_mul_i32 s40, s5, s21
	s_add_co_ci_u32 s41, s1, 0
	s_delay_alu instid0(SALU_CYCLE_1) | instskip(NEXT) | instid1(SALU_CYCLE_1)
	s_add_nc_u64 s[38:39], s[24:25], s[40:41]
	s_and_b64 s[40:41], s[38:39], 0xffffffff00000000
	s_delay_alu instid0(SALU_CYCLE_1) | instskip(NEXT) | instid1(SALU_CYCLE_1)
	s_or_b32 s40, s40, s38
	s_mul_u64 s[38:39], s[6:7], s[40:41]
	s_add_nc_u64 s[42:43], s[40:41], 1
	s_sub_co_u32 s1, s4, s38
	s_cselect_b32 s4, -1, 0
	s_sub_co_i32 s17, s5, s39
	s_cmp_lg_u32 s4, 0
	s_add_nc_u64 s[44:45], s[40:41], 2
	s_sub_co_ci_u32 s17, s17, s7
	s_sub_co_u32 s21, s1, s6
	s_cselect_b32 s24, -1, 0
	s_delay_alu instid0(SALU_CYCLE_1) | instskip(SKIP_1) | instid1(SALU_CYCLE_1)
	s_cmp_lg_u32 s24, 0
	s_sub_co_ci_u32 s17, s17, 0
	s_cmp_ge_u32 s17, s7
	s_cselect_b32 s24, -1, 0
	s_cmp_ge_u32 s21, s6
	s_cselect_b32 s21, -1, 0
	s_cmp_eq_u32 s17, s7
	s_cselect_b32 s17, s21, s24
	s_delay_alu instid0(SALU_CYCLE_1) | instskip(SKIP_4) | instid1(SALU_CYCLE_1)
	s_cmp_lg_u32 s17, 0
	s_cselect_b32 s17, s44, s42
	s_cselect_b32 s21, s45, s43
	s_cmp_lg_u32 s4, 0
	s_sub_co_ci_u32 s4, s5, s39
	s_cmp_ge_u32 s4, s7
	s_cselect_b32 s5, -1, 0
	s_cmp_ge_u32 s1, s6
	s_cselect_b32 s1, -1, 0
	s_cmp_eq_u32 s4, s7
	s_cselect_b32 s1, s1, s5
	s_delay_alu instid0(SALU_CYCLE_1) | instskip(SKIP_3) | instid1(SALU_CYCLE_1)
	s_cmp_lg_u32 s1, 0
	s_cselect_b32 s5, s21, s41
	s_cselect_b32 s4, s17, s40
	s_xor_b64 s[2:3], s[2:3], 0
	s_xor_b64 s[4:5], s[4:5], s[2:3]
	s_delay_alu instid0(SALU_CYCLE_1)
	s_sub_nc_u64 s[40:41], s[4:5], s[2:3]
	s_mov_b32 s2, 0
.LBB64_11:                              ;   in Loop: Header=BB64_9 Depth=1
	s_delay_alu instid0(SALU_CYCLE_1)
	s_and_not1_b32 vcc_lo, exec_lo, s2
	s_cbranch_vccnz .LBB64_13
; %bb.12:                               ;   in Loop: Header=BB64_9 Depth=1
	v_readfirstlane_b32 s1, v7
	s_sub_co_i32 s2, 0, s16
	s_delay_alu instid0(SALU_CYCLE_1) | instskip(NEXT) | instid1(SALU_CYCLE_1)
	s_mul_i32 s2, s2, s1
	s_mul_hi_u32 s2, s1, s2
	s_delay_alu instid0(SALU_CYCLE_1) | instskip(NEXT) | instid1(SALU_CYCLE_1)
	s_add_co_i32 s1, s1, s2
	s_mul_hi_u32 s1, s0, s1
	s_delay_alu instid0(SALU_CYCLE_1) | instskip(NEXT) | instid1(SALU_CYCLE_1)
	s_mul_i32 s2, s1, s16
	s_sub_co_i32 s0, s0, s2
	s_add_co_i32 s2, s1, 1
	s_sub_co_i32 s3, s0, s16
	s_cmp_ge_u32 s0, s16
	s_cselect_b32 s1, s2, s1
	s_cselect_b32 s0, s3, s0
	s_add_co_i32 s2, s1, 1
	s_cmp_ge_u32 s0, s16
	s_cselect_b32 s24, s2, s1
	s_delay_alu instid0(SALU_CYCLE_1)
	s_mov_b64 s[40:41], s[24:25]
.LBB64_13:                              ;   in Loop: Header=BB64_9 Depth=1
	s_delay_alu instid0(SALU_CYCLE_1)
	s_cmp_lg_u32 s20, s40
	s_mov_b32 s0, -1
                                        ; implicit-def: $vgpr4_vgpr5
                                        ; implicit-def: $sgpr24
                                        ; implicit-def: $sgpr17
                                        ; implicit-def: $sgpr21
                                        ; implicit-def: $sgpr29
	s_cbranch_scc0 .LBB64_18
; %bb.14:                               ;   in Loop: Header=BB64_9 Depth=1
	s_add_co_i32 s0, s36, s16
	v_max_num_f32_e64 v4, s28, s28
	s_lshl_b32 s0, s0, 3
	s_mov_b32 s29, s20
	s_add_co_i32 s0, s0, s15
	s_load_b64 s[38:39], s[10:11], s0 offset:0x0 scale_offset
	s_wait_xcnt 0x0
	v_readfirstlane_b32 s0, v4
	s_wait_kmcnt 0x0
	v_max_num_f32_e64 v5, s38, s38
	s_delay_alu instid0(VALU_DEP_1) | instskip(SKIP_1) | instid1(SALU_CYCLE_3)
	v_readfirstlane_b32 s1, v5
	s_max_num_f32 s17, s0, s1
	s_sub_f32 s33, s28, s17
	s_sub_f32 s37, s38, s17
	s_delay_alu instid0(SALU_CYCLE_2)
	s_cmp_nlt_f32 s33, 0xc2ce8ed0
	s_cselect_b32 s1, -1, 0
	s_cmp_ngt_f32 s33, 0x42b17218
	s_cselect_b32 s2, -1, 0
	s_cmp_ge_f32 s33, 0xc1a00000
	s_cselect_b32 s0, -1, 0
	s_cmp_nlt_f32 s37, 0xc2ce8ed0
	s_cselect_b32 s3, -1, 0
	s_cmp_ngt_f32 s37, 0x42b17218
	s_cselect_b32 s4, -1, 0
	s_cmp_ge_f32 s37, 0xc1a00000
	s_cselect_b32 s5, -1, 0
	s_and_b64 s[42:43], s[40:41], s[8:9]
	s_delay_alu instid0(SALU_CYCLE_1) | instskip(NEXT) | instid1(SALU_CYCLE_1)
	s_mul_u64 s[42:43], s[42:43], s[22:23]
	s_add_co_i32 s21, s43, s40
	s_delay_alu instid0(SALU_CYCLE_1) | instskip(NEXT) | instid1(SALU_CYCLE_1)
	s_lshr_b32 s21, s21, s13
	s_mul_i32 s24, s21, s14
	s_delay_alu instid0(SALU_CYCLE_1) | instskip(SKIP_3) | instid1(SALU_CYCLE_1)
	s_cmp_eq_u32 s24, s40
	s_cselect_b32 s24, -1, 0
	s_cmp_lt_u32 s21, s12
	s_cselect_b32 s21, -1, 0
	s_or_b32 s21, s21, s24
	s_mov_b32 s24, -1
	s_and_b32 vcc_lo, exec_lo, s21
	s_mov_b32 s21, s36
	s_cbranch_vccnz .LBB64_16
; %bb.15:                               ;   in Loop: Header=BB64_9 Depth=1
	s_add_co_i32 s21, s36, -1
	s_mov_b32 s24, 0
	s_mov_b32 s29, s40
.LBB64_16:                              ;   in Loop: Header=BB64_9 Depth=1
	v_lshl_add_u32 v4, s36, 10, v6
	s_mul_f32 s40, s33, 0x3fb8aa3b
	s_mul_f32 s38, s37, 0x3fb8aa3b
	s_delay_alu instid0(SALU_CYCLE_2)
	s_xor_b32 s42, s40, 0x80000000
	global_load_b32 v5, v4, s[26:27] scale_offset
	s_fmamk_f32 s42, s33, 0x3fb8aa3b, s42
	s_rndne_f32 s44, s40
	s_xor_b32 s41, s38, 0x80000000
	s_rndne_f32 s43, s38
	s_fmamk_f32 s33, s33, 0x32a5705f, s42
	s_sub_f32 s40, s40, s44
	s_fmamk_f32 s41, s37, 0x3fb8aa3b, s41
	s_sub_f32 s38, s38, s43
	s_delay_alu instid0(SALU_CYCLE_1) | instskip(NEXT) | instid1(SALU_CYCLE_1)
	s_add_f32 s33, s40, s33
	s_fmamk_f32 s37, s37, 0x32a5705f, s41
	s_cvt_i32_f32 s40, s44
	s_delay_alu instid0(SALU_CYCLE_1) | instskip(NEXT) | instid1(SALU_CYCLE_1)
	v_s_exp_f32 s33, s33
	s_add_f32 s37, s38, s37
	s_cvt_i32_f32 s38, s43
	s_delay_alu instid0(SALU_CYCLE_2) | instskip(NEXT) | instid1(TRANS32_DEP_2)
	v_s_exp_f32 s37, s37
	v_ldexp_f32 v8, s33, s40
	s_wait_xcnt 0x0
	s_delay_alu instid0(TRANS32_DEP_1) | instskip(NEXT) | instid1(VALU_DEP_2)
	v_ldexp_f32 v4, s37, s38
	v_cndmask_b32_e64 v8, 0, v8, s1
	s_delay_alu instid0(VALU_DEP_1) | instskip(NEXT) | instid1(VALU_DEP_1)
	v_cndmask_b32_e64 v9, 0x7f800000, v8, s2
	v_dual_cndmask_b32 v4, 0, v4, s3 :: v_dual_cndmask_b32 v10, 0, v9, s0
	s_delay_alu instid0(VALU_DEP_1) | instskip(NEXT) | instid1(VALU_DEP_1)
	v_cndmask_b32_e64 v4, 0x7f800000, v4, s4
	v_dual_cndmask_b32 v8, 0, v4, s5 :: v_dual_mov_b32 v4, s39
	s_wait_loadcnt 0x0
	s_delay_alu instid0(VALU_DEP_1) | instskip(NEXT) | instid1(VALU_DEP_1)
	v_pk_mul_f32 v[4:5], v[4:5], v[8:9] op_sel_hi:[1,0]
	v_pk_fma_f32 v[4:5], v[0:1], v[10:11], v[4:5] op_sel_hi:[1,0,1]
	s_cbranch_execz .LBB64_19
.LBB64_17:                              ;   in Loop: Header=BB64_9 Depth=1
	s_and_not1_b32 vcc_lo, exec_lo, s24
	s_cbranch_vccnz .LBB64_20
	s_branch .LBB64_23
.LBB64_18:                              ;   in Loop: Header=BB64_9 Depth=1
	s_and_not1_b32 vcc_lo, exec_lo, s0
	s_cbranch_vccnz .LBB64_17
.LBB64_19:                              ;   in Loop: Header=BB64_9 Depth=1
	s_wait_loadcnt 0x0
	v_mov_b64_e32 v[4:5], v[0:1]
	s_add_co_i32 s21, s36, -1
	s_mov_b32 s29, s20
	s_mov_b32 s17, s28
	s_cbranch_execz .LBB64_23
.LBB64_20:                              ;   in Loop: Header=BB64_9 Depth=1
	s_wait_loadcnt 0x0
	s_delay_alu instid0(VALU_DEP_1)
	v_mov_b64_e32 v[0:1], v[4:5]
	s_mov_b32 s20, s29
	s_mov_b32 s36, s21
	s_mov_b32 s28, s17
	s_branch .LBB64_9
.LBB64_21:
                                        ; implicit-def: $sgpr20_sgpr21
	s_branch .LBB64_2
.LBB64_22:
                                        ; implicit-def: $sgpr24_sgpr25
	s_load_b96 s[12:14], s[0:1], 0x44
	s_branch .LBB64_5
.LBB64_23:
	s_delay_alu instid0(VALU_DEP_1) | instskip(SKIP_1) | instid1(VALU_DEP_1)
	v_div_scale_f32 v0, null, v4, v4, v5
	s_wait_loadcnt 0x0
	v_rcp_f32_e32 v1, v0
	v_nop
	s_delay_alu instid0(TRANS32_DEP_1) | instskip(NEXT) | instid1(VALU_DEP_1)
	v_fma_f32 v6, -v0, v1, 1.0
	v_fmac_f32_e32 v1, v6, v1
	v_div_scale_f32 v6, vcc_lo, v5, v4, v5
	s_delay_alu instid0(VALU_DEP_1) | instskip(NEXT) | instid1(VALU_DEP_1)
	v_mul_f32_e32 v7, v6, v1
	v_fma_f32 v8, -v0, v7, v6
	s_delay_alu instid0(VALU_DEP_1) | instskip(NEXT) | instid1(VALU_DEP_1)
	v_fmac_f32_e32 v7, v8, v1
	v_fma_f32 v0, -v0, v7, v6
	s_delay_alu instid0(VALU_DEP_1) | instskip(NEXT) | instid1(VALU_DEP_1)
	v_div_fmas_f32 v0, v0, v1, v7
	v_div_fixup_f32 v0, v0, v4, v5
	global_store_b32 v[2:3], v0, off
.LBB64_24:
	s_endpgm
	.section	.rodata,"a",@progbits
	.p2align	6, 0x0
	.amdhsa_kernel _ZL33flash_attn_stream_k_fixup_generalILi128ELi8ELi1EEvPfPK15HIP_vector_typeIfLj2EEiiiiS1_IjLj3EES5_S5_S5_
		.amdhsa_group_segment_fixed_size 0
		.amdhsa_private_segment_fixed_size 0
		.amdhsa_kernarg_size 336
		.amdhsa_user_sgpr_count 2
		.amdhsa_user_sgpr_dispatch_ptr 0
		.amdhsa_user_sgpr_queue_ptr 0
		.amdhsa_user_sgpr_kernarg_segment_ptr 1
		.amdhsa_user_sgpr_dispatch_id 0
		.amdhsa_user_sgpr_kernarg_preload_length 0
		.amdhsa_user_sgpr_kernarg_preload_offset 0
		.amdhsa_user_sgpr_private_segment_size 0
		.amdhsa_wavefront_size32 1
		.amdhsa_uses_dynamic_stack 0
		.amdhsa_enable_private_segment 0
		.amdhsa_system_sgpr_workgroup_id_x 1
		.amdhsa_system_sgpr_workgroup_id_y 1
		.amdhsa_system_sgpr_workgroup_id_z 1
		.amdhsa_system_sgpr_workgroup_info 0
		.amdhsa_system_vgpr_workitem_id 0
		.amdhsa_next_free_vgpr 12
		.amdhsa_next_free_sgpr 46
		.amdhsa_named_barrier_count 0
		.amdhsa_reserve_vcc 1
		.amdhsa_float_round_mode_32 0
		.amdhsa_float_round_mode_16_64 0
		.amdhsa_float_denorm_mode_32 3
		.amdhsa_float_denorm_mode_16_64 3
		.amdhsa_fp16_overflow 0
		.amdhsa_memory_ordered 1
		.amdhsa_forward_progress 1
		.amdhsa_inst_pref_size 27
		.amdhsa_round_robin_scheduling 0
		.amdhsa_exception_fp_ieee_invalid_op 0
		.amdhsa_exception_fp_denorm_src 0
		.amdhsa_exception_fp_ieee_div_zero 0
		.amdhsa_exception_fp_ieee_overflow 0
		.amdhsa_exception_fp_ieee_underflow 0
		.amdhsa_exception_fp_ieee_inexact 0
		.amdhsa_exception_int_div_zero 0
	.end_amdhsa_kernel
	.section	.text._ZL33flash_attn_stream_k_fixup_generalILi128ELi8ELi1EEvPfPK15HIP_vector_typeIfLj2EEiiiiS1_IjLj3EES5_S5_S5_,"axG",@progbits,_ZL33flash_attn_stream_k_fixup_generalILi128ELi8ELi1EEvPfPK15HIP_vector_typeIfLj2EEiiiiS1_IjLj3EES5_S5_S5_,comdat
.Lfunc_end64:
	.size	_ZL33flash_attn_stream_k_fixup_generalILi128ELi8ELi1EEvPfPK15HIP_vector_typeIfLj2EEiiiiS1_IjLj3EES5_S5_S5_, .Lfunc_end64-_ZL33flash_attn_stream_k_fixup_generalILi128ELi8ELi1EEvPfPK15HIP_vector_typeIfLj2EEiiiiS1_IjLj3EES5_S5_S5_
                                        ; -- End function
	.set _ZL33flash_attn_stream_k_fixup_generalILi128ELi8ELi1EEvPfPK15HIP_vector_typeIfLj2EEiiiiS1_IjLj3EES5_S5_S5_.num_vgpr, 12
	.set _ZL33flash_attn_stream_k_fixup_generalILi128ELi8ELi1EEvPfPK15HIP_vector_typeIfLj2EEiiiiS1_IjLj3EES5_S5_S5_.num_agpr, 0
	.set _ZL33flash_attn_stream_k_fixup_generalILi128ELi8ELi1EEvPfPK15HIP_vector_typeIfLj2EEiiiiS1_IjLj3EES5_S5_S5_.numbered_sgpr, 46
	.set _ZL33flash_attn_stream_k_fixup_generalILi128ELi8ELi1EEvPfPK15HIP_vector_typeIfLj2EEiiiiS1_IjLj3EES5_S5_S5_.num_named_barrier, 0
	.set _ZL33flash_attn_stream_k_fixup_generalILi128ELi8ELi1EEvPfPK15HIP_vector_typeIfLj2EEiiiiS1_IjLj3EES5_S5_S5_.private_seg_size, 0
	.set _ZL33flash_attn_stream_k_fixup_generalILi128ELi8ELi1EEvPfPK15HIP_vector_typeIfLj2EEiiiiS1_IjLj3EES5_S5_S5_.uses_vcc, 1
	.set _ZL33flash_attn_stream_k_fixup_generalILi128ELi8ELi1EEvPfPK15HIP_vector_typeIfLj2EEiiiiS1_IjLj3EES5_S5_S5_.uses_flat_scratch, 0
	.set _ZL33flash_attn_stream_k_fixup_generalILi128ELi8ELi1EEvPfPK15HIP_vector_typeIfLj2EEiiiiS1_IjLj3EES5_S5_S5_.has_dyn_sized_stack, 0
	.set _ZL33flash_attn_stream_k_fixup_generalILi128ELi8ELi1EEvPfPK15HIP_vector_typeIfLj2EEiiiiS1_IjLj3EES5_S5_S5_.has_recursion, 0
	.set _ZL33flash_attn_stream_k_fixup_generalILi128ELi8ELi1EEvPfPK15HIP_vector_typeIfLj2EEiiiiS1_IjLj3EES5_S5_S5_.has_indirect_call, 0
	.section	.AMDGPU.csdata,"",@progbits
; Kernel info:
; codeLenInByte = 3352
; TotalNumSgprs: 48
; NumVgprs: 12
; ScratchSize: 0
; MemoryBound: 0
; FloatMode: 240
; IeeeMode: 1
; LDSByteSize: 0 bytes/workgroup (compile time only)
; SGPRBlocks: 0
; VGPRBlocks: 0
; NumSGPRsForWavesPerEU: 48
; NumVGPRsForWavesPerEU: 12
; NamedBarCnt: 0
; Occupancy: 16
; WaveLimiterHint : 0
; COMPUTE_PGM_RSRC2:SCRATCH_EN: 0
; COMPUTE_PGM_RSRC2:USER_SGPR: 2
; COMPUTE_PGM_RSRC2:TRAP_HANDLER: 0
; COMPUTE_PGM_RSRC2:TGID_X_EN: 1
; COMPUTE_PGM_RSRC2:TGID_Y_EN: 1
; COMPUTE_PGM_RSRC2:TGID_Z_EN: 1
; COMPUTE_PGM_RSRC2:TIDIG_COMP_CNT: 0
	.section	.text._ZL15flash_attn_tileILi128ELi128ELi4ELi1ELb0EEvPKcS1_S1_S1_S1_PKiPfP15HIP_vector_typeIfLj2EEffffjfiS5_IjLj3EEiiiiiiiiiiiliiliiiiil,"axG",@progbits,_ZL15flash_attn_tileILi128ELi128ELi4ELi1ELb0EEvPKcS1_S1_S1_S1_PKiPfP15HIP_vector_typeIfLj2EEffffjfiS5_IjLj3EEiiiiiiiiiiiliiliiiiil,comdat
	.globl	_ZL15flash_attn_tileILi128ELi128ELi4ELi1ELb0EEvPKcS1_S1_S1_S1_PKiPfP15HIP_vector_typeIfLj2EEffffjfiS5_IjLj3EEiiiiiiiiiiiliiliiiiil ; -- Begin function _ZL15flash_attn_tileILi128ELi128ELi4ELi1ELb0EEvPKcS1_S1_S1_S1_PKiPfP15HIP_vector_typeIfLj2EEffffjfiS5_IjLj3EEiiiiiiiiiiiliiliiiiil
	.p2align	8
	.type	_ZL15flash_attn_tileILi128ELi128ELi4ELi1ELb0EEvPKcS1_S1_S1_S1_PKiPfP15HIP_vector_typeIfLj2EEffffjfiS5_IjLj3EEiiiiiiiiiiiliiliiiiil,@function
_ZL15flash_attn_tileILi128ELi128ELi4ELi1ELb0EEvPKcS1_S1_S1_S1_PKiPfP15HIP_vector_typeIfLj2EEffffjfiS5_IjLj3EEiiiiiiiiiiiliiliiiiil: ; @_ZL15flash_attn_tileILi128ELi128ELi4ELi1ELb0EEvPKcS1_S1_S1_S1_PKiPfP15HIP_vector_typeIfLj2EEffffjfiS5_IjLj3EEiiiiiiiiiiiliiliiiiil
; %bb.0:
	s_clause 0x1
	s_load_b128 s[20:23], s[0:1], 0x5c
	s_load_b64 s[2:3], s[0:1], 0x80
	s_bfe_u32 s6, ttmp6, 0x40014
	s_lshr_b32 s5, ttmp7, 16
	s_add_co_i32 s6, s6, 1
	s_bfe_u32 s7, ttmp6, 0x40008
	s_mul_i32 s6, s5, s6
	s_getreg_b32 s40, hwreg(HW_REG_IB_STS2, 6, 4)
	s_add_co_i32 s7, s7, s6
	s_load_b64 s[36:37], s[0:1], 0xb8
	s_mov_b32 s35, 0
	s_mov_b64 s[30:31], 0
	s_wait_kmcnt 0x0
	s_cvt_f32_u32 s4, s23
	s_sub_co_i32 s8, 0, s23
	s_delay_alu instid0(SALU_CYCLE_2) | instskip(SKIP_1) | instid1(TRANS32_DEP_1)
	v_rcp_iflag_f32_e32 v1, s4
	v_nop
	v_readfirstlane_b32 s4, v1
	s_mul_f32 s4, s4, 0x4f7ffffe
	s_delay_alu instid0(SALU_CYCLE_3) | instskip(NEXT) | instid1(SALU_CYCLE_3)
	s_cvt_u32_f32 s4, s4
	s_mul_i32 s8, s8, s4
	s_delay_alu instid0(SALU_CYCLE_1) | instskip(NEXT) | instid1(SALU_CYCLE_1)
	s_mul_hi_u32 s8, s4, s8
	s_add_co_i32 s4, s4, s8
	s_cmp_eq_u32 s40, 0
	s_cselect_b32 s5, s5, s7
	s_delay_alu instid0(SALU_CYCLE_1) | instskip(NEXT) | instid1(SALU_CYCLE_1)
	s_mul_hi_u32 s4, s5, s4
	s_mul_i32 s6, s4, s23
	s_add_co_i32 s7, s4, 1
	s_sub_co_i32 s6, s5, s6
	s_delay_alu instid0(SALU_CYCLE_1)
	s_sub_co_i32 s8, s6, s23
	s_cmp_ge_u32 s6, s23
	s_cselect_b32 s4, s7, s4
	s_cselect_b32 s6, s8, s6
	s_add_co_i32 s7, s4, 1
	s_cmp_ge_u32 s6, s23
	s_cselect_b32 s28, s7, s4
	s_abs_i32 s4, s3
	s_mul_i32 s8, s28, s23
	s_cvt_f32_u32 s6, s4
	s_sub_co_i32 s7, 0, s4
	s_abs_i32 s9, s23
	s_sub_co_i32 s33, s5, s8
	v_rcp_iflag_f32_e32 v1, s6
	s_xor_b32 s3, s23, s3
	s_delay_alu instid0(SALU_CYCLE_1) | instskip(SKIP_1) | instid1(TRANS32_DEP_1)
	s_ashr_i32 s3, s3, 31
	v_nop
	v_readfirstlane_b32 s6, v1
	s_mul_f32 s6, s6, 0x4f7ffffe
	s_delay_alu instid0(SALU_CYCLE_3) | instskip(NEXT) | instid1(SALU_CYCLE_3)
	s_cvt_u32_f32 s6, s6
	s_mul_i32 s7, s7, s6
	s_delay_alu instid0(SALU_CYCLE_1) | instskip(NEXT) | instid1(SALU_CYCLE_1)
	s_mul_hi_u32 s7, s6, s7
	s_add_co_i32 s6, s6, s7
	s_delay_alu instid0(SALU_CYCLE_1) | instskip(NEXT) | instid1(SALU_CYCLE_1)
	s_mul_hi_u32 s5, s9, s6
	s_mul_i32 s6, s5, s4
	s_add_co_i32 s7, s5, 1
	s_sub_co_i32 s6, s9, s6
	s_delay_alu instid0(SALU_CYCLE_1)
	s_sub_co_i32 s8, s6, s4
	s_cmp_ge_u32 s6, s4
	s_cselect_b32 s5, s7, s5
	s_cselect_b32 s6, s8, s6
	s_add_co_i32 s7, s5, 1
	s_cmp_ge_u32 s6, s4
	s_cselect_b32 s4, s7, s5
	s_abs_i32 s34, s33
	s_xor_b32 s4, s4, s3
	s_delay_alu instid0(SALU_CYCLE_1) | instskip(NEXT) | instid1(SALU_CYCLE_1)
	s_sub_co_i32 s29, s4, s3
	s_abs_i32 s3, s29
	s_delay_alu instid0(SALU_CYCLE_1) | instskip(SKIP_1) | instid1(SALU_CYCLE_2)
	s_cvt_f32_u32 s4, s3
	s_sub_co_i32 s25, 0, s3
	v_rcp_iflag_f32_e32 v1, s4
	s_load_b512 s[4:19], s[0:1], 0x0
	v_nop
	s_delay_alu instid0(TRANS32_DEP_1) | instskip(SKIP_1) | instid1(SALU_CYCLE_3)
	v_readfirstlane_b32 s24, v1
	s_mul_f32 s24, s24, 0x4f7ffffe
	s_cvt_u32_f32 s24, s24
	s_delay_alu instid0(SALU_CYCLE_3) | instskip(NEXT) | instid1(SALU_CYCLE_1)
	s_mul_i32 s25, s25, s24
	s_mul_hi_u32 s25, s24, s25
	s_delay_alu instid0(SALU_CYCLE_1)
	s_add_co_i32 s38, s24, s25
	s_wait_kmcnt 0x0
	s_cmp_eq_u64 s[10:11], 0
	s_cbranch_scc1 .LBB65_2
; %bb.1:
	s_abs_i32 s26, s36
	s_abs_i32 s27, s28
	s_cvt_f32_u32 s24, s26
	s_sub_co_i32 s25, 0, s26
	s_delay_alu instid0(SALU_CYCLE_2) | instskip(SKIP_1) | instid1(TRANS32_DEP_1)
	v_rcp_iflag_f32_e32 v1, s24
	v_nop
	v_readfirstlane_b32 s24, v1
	s_mul_f32 s24, s24, 0x4f7ffffe
	s_delay_alu instid0(SALU_CYCLE_3) | instskip(NEXT) | instid1(SALU_CYCLE_3)
	s_cvt_u32_f32 s24, s24
	s_mul_i32 s25, s25, s24
	s_delay_alu instid0(SALU_CYCLE_1) | instskip(NEXT) | instid1(SALU_CYCLE_1)
	s_mul_hi_u32 s25, s24, s25
	s_add_co_i32 s24, s24, s25
	s_delay_alu instid0(SALU_CYCLE_1) | instskip(SKIP_2) | instid1(SALU_CYCLE_1)
	s_mul_hi_u32 s30, s27, s24
	s_load_b64 s[24:25], s[0:1], 0xc8
	s_mul_i32 s30, s30, s26
	s_sub_co_i32 s27, s27, s30
	s_ashr_i32 s30, s28, 31
	s_sub_co_i32 s31, s27, s26
	s_cmp_ge_u32 s27, s26
	s_cselect_b32 s27, s31, s27
	s_delay_alu instid0(SALU_CYCLE_1) | instskip(SKIP_2) | instid1(SALU_CYCLE_1)
	s_sub_co_i32 s31, s27, s26
	s_cmp_ge_u32 s27, s26
	s_cselect_b32 s26, s31, s27
	s_xor_b32 s26, s26, s30
	s_delay_alu instid0(SALU_CYCLE_1) | instskip(NEXT) | instid1(SALU_CYCLE_1)
	s_sub_co_i32 s26, s26, s30
	s_ashr_i32 s27, s26, 31
	s_wait_kmcnt 0x0
	s_mul_u64 s[24:25], s[24:25], s[26:27]
	s_delay_alu instid0(SALU_CYCLE_1)
	s_add_nc_u64 s[30:31], s[10:11], s[24:25]
.LBB65_2:
	s_clause 0x1
	s_load_b128 s[24:27], s[0:1], 0x40
	s_load_b32 s10, s[0:1], 0x50
	v_mov_b32_e32 v31, 1.0
	s_mov_b32 s39, s35
	s_wait_kmcnt 0x0
	s_cmp_le_f32 s25, 0
	s_cbranch_scc1 .LBB65_4
; %bb.3:
	v_sub_co_u32 v1, s10, s33, s10
	s_and_b32 s36, s10, exec_lo
	s_cselect_b32 s26, s26, s27
	s_add_co_i32 s27, s33, 1
	v_readfirstlane_b32 s11, v1
	s_lshl_b32 s11, s11, 1
	s_delay_alu instid0(SALU_CYCLE_1) | instskip(SKIP_4) | instid1(SALU_CYCLE_3)
	s_or_b32 s11, s11, 1
	s_and_b32 s10, s10, exec_lo
	s_cselect_b32 s10, s27, s11
	s_cmp_neq_f32 s26, 1.0
	s_cvt_f32_i32 s10, s10
	s_cselect_b32 s11, s10, 1.0
	s_delay_alu instid0(SALU_CYCLE_1) | instskip(SKIP_1) | instid1(SALU_CYCLE_1)
	s_cmp_neq_f32 s11, 0
	s_cselect_b32 s10, s26, 1.0
	v_cvt_f64_f32_e64 v[2:3], |s10|
	s_delay_alu instid0(VALU_DEP_1) | instskip(SKIP_1) | instid1(VALU_DEP_1)
	v_frexp_exp_i32_f64_e32 v1, v[2:3]
	v_frexp_mant_f32_e64 v2, |s10|
	v_readfirstlane_b32 s26, v2
	s_cmp_lt_f32 s26, 0x3f2aaaab
	s_cselect_b32 vcc_lo, -1, 0
	s_delay_alu instid0(SALU_CYCLE_1) | instskip(SKIP_1) | instid1(SALU_CYCLE_1)
	s_and_b32 s27, vcc_lo, exec_lo
	s_cselect_b32 s27, 2.0, 1.0
	s_mul_f32 s26, s26, s27
	s_delay_alu instid0(SALU_CYCLE_3) | instskip(SKIP_1) | instid1(SALU_CYCLE_2)
	s_add_f32 s27, s26, 1.0
	s_add_f32 s41, s26, -1.0
	v_s_rcp_f32 s36, s27
	s_add_f32 s44, s27, -1.0
	v_subrev_co_ci_u32_e64 v1, null, 0, v1, vcc_lo
	s_delay_alu instid0(SALU_CYCLE_2) | instskip(NEXT) | instid1(TRANS32_DEP_1)
	s_sub_f32 s26, s26, s44
	s_mul_f32 s42, s41, s36
	v_cvt_f32_i32_e32 v1, v1
	s_delay_alu instid0(SALU_CYCLE_2) | instskip(NEXT) | instid1(SALU_CYCLE_3)
	s_mul_f32 s43, s27, s42
	v_dual_mov_b32 v3, s41 :: v_dual_mov_b32 v4, s43
	s_xor_b32 s45, s43, 0x80000000
	s_delay_alu instid0(SALU_CYCLE_1) | instskip(NEXT) | instid1(SALU_CYCLE_3)
	s_fmac_f32 s45, s42, s27
	s_fmac_f32 s45, s42, s26
	s_delay_alu instid0(SALU_CYCLE_3) | instskip(SKIP_2) | instid1(SALU_CYCLE_1)
	s_add_f32 s26, s43, s45
	v_mov_b32_e32 v6, s45
	s_mov_b32 s43, 0x3e76c4e1
	s_sub_f32 s27, s41, s26
	v_dual_mov_b32 v2, s26 :: v_dual_mov_b32 v7, s26
	s_delay_alu instid0(SALU_CYCLE_2) | instskip(NEXT) | instid1(VALU_DEP_1)
	v_mov_b32_e32 v5, s27
	v_pk_add_f32 v[2:3], v[2:3], v[4:5] neg_lo:[0,1] neg_hi:[0,1]
	s_delay_alu instid0(VALU_DEP_1) | instskip(NEXT) | instid1(VALU_DEP_1)
	v_pk_add_f32 v[2:3], v[2:3], v[6:7] neg_lo:[0,1] neg_hi:[0,1]
	v_readfirstlane_b32 s26, v3
	s_delay_alu instid0(VALU_DEP_2) | instskip(SKIP_1) | instid1(SALU_CYCLE_3)
	v_readfirstlane_b32 s41, v2
	s_add_f32 s26, s41, s26
	s_add_f32 s26, s27, s26
	s_delay_alu instid0(SALU_CYCLE_3) | instskip(NEXT) | instid1(SALU_CYCLE_3)
	s_mul_f32 s27, s36, s26
	s_add_f32 s26, s42, s27
	s_delay_alu instid0(SALU_CYCLE_3) | instskip(SKIP_1) | instid1(SALU_CYCLE_2)
	s_sub_f32 s36, s26, s42
	s_mul_f32 s41, s26, s26
	s_sub_f32 s36, s27, s36
	s_delay_alu instid0(SALU_CYCLE_2) | instskip(NEXT) | instid1(SALU_CYCLE_1)
	s_xor_b32 s27, s41, 0x80000000
	s_fmac_f32 s27, s26, s26
	s_delay_alu instid0(SALU_CYCLE_1) | instskip(NEXT) | instid1(SALU_CYCLE_3)
	s_add_f32 s42, s36, s36
	s_fmac_f32 s27, s26, s42
	s_delay_alu instid0(SALU_CYCLE_3) | instskip(NEXT) | instid1(SALU_CYCLE_3)
	s_add_f32 s42, s41, s27
	s_fmaak_f32 s43, s42, s43, 0x3e91f4c4
	s_sub_f32 s41, s42, s41
	s_delay_alu instid0(SALU_CYCLE_2) | instskip(NEXT) | instid1(SALU_CYCLE_2)
	s_fmaak_f32 s43, s42, s43, 0x3ecccdef
	s_sub_f32 s41, s27, s41
	s_delay_alu instid0(SALU_CYCLE_2) | instskip(NEXT) | instid1(SALU_CYCLE_3)
	s_mul_f32 s44, s42, s43
	s_xor_b32 s45, s44, 0x80000000
	s_delay_alu instid0(SALU_CYCLE_1) | instskip(NEXT) | instid1(SALU_CYCLE_3)
	s_fmac_f32 s45, s42, s43
	s_fmac_f32 s45, s41, s43
	s_delay_alu instid0(SALU_CYCLE_3) | instskip(NEXT) | instid1(SALU_CYCLE_3)
	s_add_f32 s43, s44, s45
	s_sub_f32 s27, s43, s44
	s_add_f32 s44, s43, 0x3f2aaaaa
	s_delay_alu instid0(SALU_CYCLE_2) | instskip(NEXT) | instid1(SALU_CYCLE_2)
	s_sub_f32 s27, s45, s27
	s_add_f32 s45, s44, 0xbf2aaaaa
	s_delay_alu instid0(SALU_CYCLE_2) | instskip(NEXT) | instid1(SALU_CYCLE_2)
	s_add_f32 s27, s27, 0x31739010
	s_sub_f32 s43, s43, s45
	s_delay_alu instid0(SALU_CYCLE_2) | instskip(NEXT) | instid1(SALU_CYCLE_2)
	v_mov_b64_e32 v[2:3], s[26:27]
	v_mov_b64_e32 v[4:5], s[42:43]
	s_delay_alu instid0(VALU_DEP_1) | instskip(SKIP_2) | instid1(VALU_DEP_3)
	v_pk_mul_f32 v[6:7], v[2:3], v[4:5]
	v_pk_add_f32 v[2:3], v[2:3], v[4:5]
	v_mov_b32_e32 v9, s44
	v_xor_b32_e32 v8, 0x80000000, v6
	s_delay_alu instid0(VALU_DEP_3) | instskip(NEXT) | instid1(VALU_DEP_2)
	v_mov_b32_e32 v7, v3
	v_fmac_f32_e64 v8, s42, s26
	s_delay_alu instid0(VALU_DEP_1) | instskip(NEXT) | instid1(VALU_DEP_1)
	v_fmac_f32_e64 v8, s42, s36
	v_fmac_f32_e64 v8, s41, s26
	s_delay_alu instid0(VALU_DEP_1) | instskip(NEXT) | instid1(VALU_DEP_1)
	v_pk_add_f32 v[4:5], v[6:7], v[8:9]
	v_dual_mov_b32 v2, v5 :: v_dual_sub_f32 v7, s44, v5
	v_mul_f32_e32 v12, 0x3f317218, v1
	s_delay_alu instid0(VALU_DEP_2) | instskip(NEXT) | instid1(VALU_DEP_3)
	v_pk_mul_f32 v[10:11], v[4:5], v[2:3]
	v_add_f32_e32 v3, v3, v7
	s_delay_alu instid0(VALU_DEP_3) | instskip(NEXT) | instid1(VALU_DEP_3)
	v_xor_b32_e32 v7, 0x80000000, v12
	v_xor_b32_e32 v2, 0x80000000, v10
	s_delay_alu instid0(VALU_DEP_2) | instskip(NEXT) | instid1(VALU_DEP_2)
	v_dual_sub_f32 v6, v4, v6 :: v_dual_fmac_f32 v7, 0x3f317218, v1
	v_fmac_f32_e32 v2, v4, v5
	s_delay_alu instid0(VALU_DEP_2) | instskip(NEXT) | instid1(VALU_DEP_2)
	v_sub_f32_e32 v6, v8, v6
	v_fmac_f32_e32 v2, v4, v3
	s_delay_alu instid0(VALU_DEP_1) | instskip(SKIP_3) | instid1(VALU_DEP_2)
	v_fmac_f32_e32 v2, v6, v5
	v_fmamk_f32 v4, v1, 0xb102e308, v7
	v_ldexp_f32 v5, s26, 1
	v_ldexp_f32 v1, s36, 1
	v_dual_add_f32 v13, v10, v2 :: v_dual_mov_b32 v11, v5
	s_delay_alu instid0(VALU_DEP_1) | instskip(SKIP_1) | instid1(VALU_DEP_2)
	v_pk_add_f32 v[6:7], v[12:13], v[4:5]
	v_dual_mov_b32 v8, v13 :: v_dual_mov_b32 v3, v13
	v_dual_mov_b32 v9, v7 :: v_dual_mov_b32 v5, v6
	v_mov_b32_e32 v14, v7
	s_delay_alu instid0(VALU_DEP_2) | instskip(NEXT) | instid1(VALU_DEP_1)
	v_pk_add_f32 v[8:9], v[8:9], v[10:11] neg_lo:[0,1] neg_hi:[0,1]
	v_pk_add_f32 v[2:3], v[2:3], v[8:9] neg_lo:[0,1] neg_hi:[0,1]
	s_delay_alu instid0(VALU_DEP_1) | instskip(NEXT) | instid1(VALU_DEP_1)
	v_add_f32_e32 v1, v1, v2
	v_add_f32_e32 v13, v1, v3
	s_delay_alu instid0(VALU_DEP_1) | instskip(SKIP_1) | instid1(VALU_DEP_2)
	v_pk_add_f32 v[2:3], v[6:7], v[12:13]
	v_pk_add_f32 v[8:9], v[6:7], v[12:13] neg_lo:[0,1] neg_hi:[0,1]
	v_mov_b32_e32 v9, v3
	s_delay_alu instid0(VALU_DEP_1) | instskip(SKIP_2) | instid1(VALU_DEP_3)
	v_pk_add_f32 v[10:11], v[4:5], v[8:9]
	v_pk_add_f32 v[4:5], v[4:5], v[8:9] neg_lo:[0,1] neg_hi:[0,1]
	v_dual_mov_b32 v16, v3 :: v_dual_mov_b32 v5, v6
	v_dual_mov_b32 v12, v11 :: v_dual_mov_b32 v17, v11
	s_delay_alu instid0(VALU_DEP_3) | instskip(NEXT) | instid1(VALU_DEP_2)
	v_readfirstlane_b32 s26, v4
	v_pk_add_f32 v[8:9], v[12:13], v[6:7] neg_lo:[0,1] neg_hi:[0,1]
	s_delay_alu instid0(VALU_DEP_2) | instskip(NEXT) | instid1(VALU_DEP_2)
	v_dual_mov_b32 v4, v13 :: v_dual_mov_b32 v10, s26
	v_dual_mov_b32 v15, v8 :: v_dual_mov_b32 v1, v8
	s_delay_alu instid0(VALU_DEP_1) | instskip(NEXT) | instid1(VALU_DEP_2)
	v_pk_add_f32 v[6:7], v[16:17], v[14:15] neg_lo:[0,1] neg_hi:[0,1]
	v_pk_add_f32 v[2:3], v[2:3], v[0:1] neg_lo:[0,1] neg_hi:[0,1]
	v_mov_b32_e32 v2, s26
	s_delay_alu instid0(VALU_DEP_3) | instskip(NEXT) | instid1(VALU_DEP_1)
	v_pk_add_f32 v[4:5], v[4:5], v[6:7] neg_lo:[0,1] neg_hi:[0,1]
	v_pk_add_f32 v[2:3], v[2:3], v[4:5]
	s_delay_alu instid0(VALU_DEP_1) | instskip(NEXT) | instid1(VALU_DEP_2)
	v_readfirstlane_b32 s27, v2
	v_mov_b32_e32 v6, v3
	s_delay_alu instid0(VALU_DEP_1) | instskip(NEXT) | instid1(VALU_DEP_3)
	v_pk_add_f32 v[6:7], v[2:3], v[6:7]
	v_mov_b32_e32 v2, s27
	s_delay_alu instid0(VALU_DEP_2) | instskip(SKIP_1) | instid1(VALU_DEP_2)
	v_pk_add_f32 v[8:9], v[12:13], v[6:7]
	v_mov_b32_e32 v5, v6
	v_readfirstlane_b32 s36, v8
	s_delay_alu instid0(VALU_DEP_1) | instskip(NEXT) | instid1(VALU_DEP_1)
	v_mov_b32_e32 v3, s36
	v_pk_add_f32 v[2:3], v[2:3], v[10:11] neg_lo:[0,1] neg_hi:[0,1]
	s_delay_alu instid0(VALU_DEP_1) | instskip(NEXT) | instid1(VALU_DEP_2)
	v_readfirstlane_b32 s41, v2
	v_pk_add_f32 v[2:3], v[4:5], v[2:3] neg_lo:[0,1] neg_hi:[0,1]
	s_sub_f32 s27, s27, s41
	s_delay_alu instid0(VALU_DEP_1) | instskip(NEXT) | instid1(SALU_CYCLE_2)
	v_readfirstlane_b32 s41, v2
	s_sub_f32 s26, s26, s27
	v_readfirstlane_b32 s27, v3
	s_delay_alu instid0(SALU_CYCLE_2) | instskip(NEXT) | instid1(SALU_CYCLE_3)
	s_add_f32 s26, s41, s26
	s_add_f32 s26, s26, s27
	s_delay_alu instid0(SALU_CYCLE_3) | instskip(NEXT) | instid1(SALU_CYCLE_3)
	s_add_f32 s27, s36, s26
	s_mul_f32 s41, s11, s27
	s_sub_f32 s36, s27, s36
	s_delay_alu instid0(SALU_CYCLE_2) | instskip(NEXT) | instid1(SALU_CYCLE_2)
	s_xor_b32 s42, s41, 0x80000000
	s_sub_f32 s26, s26, s36
	s_fmac_f32 s42, s11, s27
	s_delay_alu instid0(SALU_CYCLE_3) | instskip(SKIP_1) | instid1(SALU_CYCLE_2)
	s_fmac_f32 s42, s11, s26
	v_cmp_class_f32_e64 s26, s41, 0x204
	s_add_f32 s27, s41, s42
	s_and_b32 s26, s26, exec_lo
	s_delay_alu instid0(SALU_CYCLE_2) | instskip(SKIP_1) | instid1(SALU_CYCLE_1)
	s_sub_f32 s26, s27, s41
	s_cselect_b32 s27, s41, s27
	s_and_b32 s36, s27, 0x7fffffff
	s_delay_alu instid0(SALU_CYCLE_1) | instskip(SKIP_1) | instid1(SALU_CYCLE_2)
	s_sub_f32 s26, s42, s26
	s_cmp_neq_f32 s36, 0x7f800000
	s_cselect_b32 s26, s26, 0
	s_cmp_eq_f32 s27, 0x42b17218
	s_cselect_b32 s36, 0x37000000, 0
	s_delay_alu instid0(SALU_CYCLE_1) | instskip(SKIP_1) | instid1(SALU_CYCLE_2)
	s_sub_f32 s27, s27, s36
	s_add_f32 s26, s36, s26
	s_mul_f32 s41, s27, 0x3fb8aa3b
	s_delay_alu instid0(SALU_CYCLE_3) | instskip(SKIP_3) | instid1(SALU_CYCLE_1)
	s_xor_b32 s42, s41, 0x80000000
	s_rndne_f32 s43, s41
	s_fmamk_f32 s42, s27, 0x3fb8aa3b, s42
	s_cmp_nlt_f32 s27, 0xc2ce8ed0
	s_sub_f32 s41, s41, s43
	s_delay_alu instid0(SALU_CYCLE_1)
	s_fmamk_f32 s42, s27, 0x32a5705f, s42
	s_cselect_b32 vcc_lo, -1, 0
	s_cmp_ngt_f32 s27, 0x42b17218
	s_trunc_f32 s27, s11
	s_add_f32 s41, s41, s42
	s_cvt_i32_f32 s42, s43
	s_delay_alu instid0(SALU_CYCLE_2)
	v_s_exp_f32 s41, s41
	v_nop
	s_delay_alu instid0(TRANS32_DEP_1) | instid1(SALU_CYCLE_1)
	v_ldexp_f32 v1, s41, s42
	s_mul_f32 s41, s11, 0.5
	s_delay_alu instid0(VALU_DEP_1) | instskip(SKIP_3) | instid1(VALU_DEP_1)
	v_cndmask_b32_e32 v1, 0, v1, vcc_lo
	s_cselect_b32 vcc_lo, -1, 0
	s_cmp_eq_f32 s27, s11
	s_trunc_f32 s42, s41
	v_cndmask_b32_e32 v1, 0x7f800000, v1, vcc_lo
	s_cselect_b32 s43, -1, 0
	s_delay_alu instid0(SALU_CYCLE_1) | instskip(NEXT) | instid1(VALU_DEP_1)
	s_cmp_neq_f32 s42, s41
	v_fma_f32 v2, s26, v1, v1
	v_cmp_class_f32_e64 vcc_lo, v1, 0x204
	s_cselect_b32 s36, -1, 0
	s_delay_alu instid0(SALU_CYCLE_1)
	s_and_b32 s26, s43, s36
	v_cndmask_b32_e32 v1, v2, v1, vcc_lo
	s_and_b32 s36, s26, exec_lo
	s_cselect_b32 s36, s10, 1.0
	s_cmp_eq_f32 s27, s11
	v_cmp_class_f32_e64 s27, s10, 0x204
	v_bfi_b32 v1, 0x7fffffff, v1, s36
	s_cselect_b32 vcc_lo, -1, 0
	s_cmp_lt_f32 s10, 0
	s_delay_alu instid0(VALU_DEP_1) | instskip(SKIP_2) | instid1(VALU_DEP_1)
	v_cndmask_b32_e32 v2, 0x7fc00000, v1, vcc_lo
	s_cselect_b32 vcc_lo, -1, 0
	s_cmp_eq_f32 s10, 0
	v_cndmask_b32_e32 v1, v1, v2, vcc_lo
	s_cselect_b32 s36, -1, 0
	s_delay_alu instid0(SALU_CYCLE_1) | instskip(SKIP_2) | instid1(SALU_CYCLE_1)
	s_or_b32 vcc_lo, s36, s27
	s_cmp_lt_f32 s11, 0
	s_cselect_b32 s11, -1, 0
	s_xor_b32 s11, s11, s36
	s_delay_alu instid0(SALU_CYCLE_1)
	s_and_b32 s11, s11, exec_lo
	s_cselect_b32 s11, 0, 0x7f800000
	s_and_b32 s26, s26, exec_lo
	s_cselect_b32 s26, s10, 0
	s_cmp_o_f32 s10, s10
	v_mov_b32_e32 v2, s26
	s_delay_alu instid0(VALU_DEP_1) | instskip(NEXT) | instid1(VALU_DEP_1)
	v_bfi_b32 v2, 0x7fffffff, s11, v2
	v_cndmask_b32_e32 v1, v1, v2, vcc_lo
	s_cselect_b32 vcc_lo, -1, 0
	s_delay_alu instid0(VALU_DEP_1)
	v_cndmask_b32_e32 v31, 0x7fc00000, v1, vcc_lo
.LBB65_4:
	s_bfe_u32 s11, ttmp6, 0x4000c
	s_and_b32 s26, ttmp6, 15
	s_add_co_i32 s11, s11, 1
	s_ashr_i32 s10, s33, 31
	s_mul_i32 s27, ttmp9, s11
	s_ashr_i32 s11, s29, 31
	s_add_co_i32 s26, s26, s27
	v_bfe_u32 v29, v0, 10, 10
	s_cmp_eq_u32 s40, 0
	s_load_b96 s[44:46], s[0:1], 0x70
	s_cselect_b32 s26, ttmp9, s26
	v_and_b32_e32 v84, 0x3ff, v0
	v_lshl_add_u32 v100, s26, 2, v29
	v_lshl_add_u32 v55, v29, 8, 0x2400
	s_delay_alu instid0(VALU_DEP_3) | instskip(NEXT) | instid1(VALU_DEP_3)
	v_dual_mov_b32 v87, 0 :: v_dual_lshlrev_b32 v0, 4, v84
	v_mul_hi_u32 v1, s20, v100
	s_delay_alu instid0(VALU_DEP_1) | instskip(SKIP_3) | instid1(SALU_CYCLE_1)
	v_dual_lshlrev_b32 v102, 3, v84 :: v_dual_add_nc_u32 v1, v100, v1
	s_wait_kmcnt 0x0
	s_mul_i32 s20, s33, s45
	s_ashr_i32 s45, s44, 31
	s_lshr_b64 s[42:43], s[44:45], 2
	v_lshrrev_b32_e32 v1, s21, v1
	s_ashr_i32 s21, s20, 31
	s_delay_alu instid0(VALU_DEP_1) | instskip(NEXT) | instid1(VALU_DEP_1)
	v_mul_lo_u32 v1, v1, s22
	v_dual_mov_b32 v1, v87 :: v_dual_sub_nc_u32 v86, v100, v1
	s_delay_alu instid0(VALU_DEP_1) | instskip(SKIP_1) | instid1(SALU_CYCLE_1)
	v_mul_u64_e32 v[2:3], s[42:43], v[86:87]
	s_mul_i32 s42, s28, s46
	s_ashr_i32 s43, s42, 31
	s_cmp_eq_u64 s[14:15], 0
	s_add_nc_u64 s[4:5], s[4:5], s[42:43]
	s_delay_alu instid0(SALU_CYCLE_1)
	s_add_nc_u64 s[4:5], s[4:5], s[20:21]
	s_delay_alu instid0(VALU_DEP_1) | instid1(SALU_CYCLE_1)
	v_lshl_add_u64 v[2:3], v[2:3], 2, s[4:5]
	s_mul_u64 s[4:5], s[34:35], s[38:39]
	s_delay_alu instid0(VALU_DEP_1) | instskip(SKIP_4) | instid1(VALU_DEP_1)
	v_add_nc_u64_e32 v[0:1], v[2:3], v[0:1]
	global_load_b128 v[0:3], v[0:1], off
	s_wait_loadcnt 0x0
	v_fma_mixlo_f16 v4, s24, v0, 0
	v_mov_b32_e32 v0, v3
	v_pk_mul_f32 v[0:1], s[24:25], v[0:1] op_sel_hi:[0,1]
	s_delay_alu instid0(VALU_DEP_1) | instskip(SKIP_2) | instid1(VALU_DEP_3)
	v_cvt_pk_f16_f32 v0, v0, v1
	v_fma_mixlo_f16 v1, s24, v2, 0
	v_and_b32_e32 v2, 0xffff, v4
	v_and_b32_e32 v3, 0xffff0000, v0
	s_delay_alu instid0(VALU_DEP_3) | instskip(NEXT) | instid1(VALU_DEP_2)
	v_and_b32_e32 v1, 0xffff, v1
	v_dual_lshlrev_b32 v0, 16, v0 :: v_dual_bitop2_b32 v2, v3, v2 bitop3:0x54
	v_add_nc_u32_e32 v3, v55, v102
	s_delay_alu instid0(VALU_DEP_2) | instskip(NEXT) | instid1(VALU_DEP_3)
	v_or3_b32 v1, v0, v1, 0
	v_or3_b32 v0, 0, 0, v2
	ds_store_b64 v3, v[0:1]
	s_wait_dscnt 0x0
	s_barrier_signal -1
	s_barrier_wait -1
	s_cbranch_scc1 .LBB65_6
; %bb.5:
	s_load_b32 s2, s[0:1], 0xd0
	s_wait_kmcnt 0x0
	s_mul_i32 s2, s2, s28
	s_delay_alu instid0(SALU_CYCLE_1)
	s_add_co_i32 s2, s2, s26
	s_load_b32 s2, s[14:15], s2 offset:0x0 scale_offset
.LBB65_6:
	s_wait_xcnt 0x0
	s_clause 0x2
	s_load_b64 s[14:15], s[0:1], 0x8c
	s_load_b128 s[24:27], s[0:1], 0x98
	s_load_b64 s[20:21], s[0:1], 0xa8
	s_mul_i32 s4, s5, s3
	s_ashr_i32 s35, s37, 1
	s_sub_co_i32 s34, s34, s4
	s_ashr_i32 s29, s28, 31
	s_xor_b32 s11, s10, s11
	s_add_co_i32 s36, s5, 1
	s_sub_co_i32 s37, s34, s3
	v_dual_lshlrev_b32 v101, 2, v84 :: v_dual_lshrrev_b32 v57, 3, v84
	v_mul_u32_u24_e32 v56, 0x90, v84
	v_lshrrev_b32_e32 v54, 4, v84
	v_mbcnt_lo_u32_b32 v89, -1, 0
	s_delay_alu instid0(VALU_DEP_4)
	v_and_b32_e32 v30, 28, v101
	v_and_b32_e32 v28, 60, v101
	s_wait_kmcnt 0x0
	s_ashr_i32 s4, s14, 2
	s_ashr_i32 s10, s26, 2
	s_cmp_ge_u32 s34, s3
	s_mul_u64 s[24:25], s[24:25], s[28:29]
	s_cselect_b32 s5, s36, s5
	s_cselect_b32 s14, s37, s34
	s_add_co_i32 s26, s5, 1
	s_cmp_ge_u32 s14, s3
	s_add_nc_u64 s[6:7], s[6:7], s[24:25]
	s_cselect_b32 s3, s26, s5
	s_bfe_u32 s14, ttmp6, 0x40010
	s_xor_b32 s3, s3, s11
	s_and_b32 s5, ttmp7, 0xffff
	s_add_co_i32 s14, s14, 1
	s_sub_co_i32 s3, s3, s11
	s_bfe_u32 s25, ttmp6, 0x40004
	s_mul_i32 s11, s5, s14
	s_mul_i32 s14, s3, s15
	;; [unrolled: 1-line block ×3, first 2 shown]
	s_add_co_i32 s3, s25, s11
	s_ashr_i32 s15, s14, 31
	s_ashr_i32 s25, s24, 31
	s_cmp_eq_u32 s40, 0
	s_mul_u64 s[20:21], s[20:21], s[28:29]
	s_cselect_b32 s26, s5, s3
	s_add_nc_u64 s[6:7], s[6:7], s[14:15]
	s_sub_co_i32 s3, s2, 64
	s_lshl_b32 s14, s26, 6
	s_add_nc_u64 s[8:9], s[8:9], s[20:21]
	s_cmp_ge_i32 s14, s3
	s_add_nc_u64 s[8:9], s[8:9], s[24:25]
	s_cbranch_scc1 .LBB65_15
; %bb.7:
	v_lshl_add_u32 v1, v29, 2, v57
	v_lshl_add_u32 v3, v29, 1, v54
	s_ashr_i32 s5, s4, 31
	v_dual_mov_b32 v33, 0 :: v_dual_lshlrev_b32 v2, 2, v30
	s_delay_alu instid0(VALU_DEP_3) | instskip(NEXT) | instid1(VALU_DEP_3)
	v_mul_lo_u32 v34, s4, v1
	v_mul_lo_u32 v0, s10, v3
	s_lshl_b32 s11, s4, 4
	s_cmp_lg_u64 s[30:31], 0
	v_lshlrev_b32_e32 v4, 2, v28
	s_cselect_b32 s27, -1, 0
	s_lshl_b32 s15, s10, 3
	v_mad_u32_u24 v60, 0x90, v1, v2
	v_mad_u32 v58, v86, s35, v84
	v_lshl_add_u32 v59, v29, 7, 0x2800
	v_dual_lshlrev_b32 v42, 2, v30 :: v_dual_lshlrev_b32 v32, 2, v28
	v_dual_add_nc_u32 v36, s11, v34 :: v_dual_add_nc_u32 v2, s15, v0
	v_ashrrev_i32_e32 v35, 31, v34
	v_lshl_or_b32 v62, v3, 8, v4
	v_lshl_add_u32 v61, v84, 1, v59
	s_delay_alu instid0(VALU_DEP_4) | instskip(SKIP_1) | instid1(VALU_DEP_2)
	v_dual_add_nc_u32 v38, s11, v36 :: v_dual_add_nc_u32 v4, s15, v2
	v_dual_mov_b32 v104, v33 :: v_dual_add_nc_u32 v63, 0x900, v60
	v_dual_ashrrev_i32 v1, 31, v0 :: v_dual_add_nc_u32 v40, s11, v38
	s_delay_alu instid0(VALU_DEP_3) | instskip(SKIP_1) | instid1(VALU_DEP_2)
	v_dual_add_nc_u32 v6, s15, v4 :: v_dual_ashrrev_i32 v3, 31, v2
	v_dual_mov_b32 v8, 0xfeffffff :: v_dual_ashrrev_i32 v5, 31, v4
	v_dual_ashrrev_i32 v41, 31, v40 :: v_dual_ashrrev_i32 v7, 31, v6
	s_delay_alu instid0(VALU_DEP_4) | instskip(NEXT) | instid1(VALU_DEP_4)
	v_lshlrev_b64_e32 v[44:45], 2, v[0:1]
	v_lshlrev_b64_e32 v[46:47], 2, v[2:3]
	s_delay_alu instid0(VALU_DEP_4)
	v_lshlrev_b64_e32 v[48:49], 2, v[4:5]
	v_dual_mov_b32 v43, v33 :: v_dual_add_nc_u32 v64, 0x1200, v60
	v_lshlrev_b64_e32 v[50:51], 2, v[6:7]
	v_dual_mov_b32 v70, v33 :: v_dual_add_nc_u32 v65, 0x1b00, v60
	v_dual_mov_b32 v103, v33 :: v_dual_add_nc_u32 v66, 0x800, v62
	v_dual_ashrrev_i32 v37, 31, v36 :: v_dual_ashrrev_i32 v39, 31, v38
	v_add_nc_u32_e32 v67, 0x1000, v62
	v_add_nc_u32_e32 v68, 0x1800, v62
	v_mbcnt_lo_u32_b32 v69, -1, 0
	s_ashr_i32 s11, s10, 31
	s_add_nc_u64 s[20:21], s[0:1], 0xd0
.LBB65_8:                               ; =>This Inner Loop Header: Depth=1
	s_ashr_i32 s15, s14, 31
	v_mov_b32_e32 v9, 0
	s_mul_u64 s[24:25], s[14:15], s[4:5]
	s_and_not1_b32 vcc_lo, exec_lo, s27
	s_lshl_b64 s[24:25], s[24:25], 2
	s_delay_alu instid0(SALU_CYCLE_1) | instskip(NEXT) | instid1(SALU_CYCLE_1)
	s_add_nc_u64 s[24:25], s[6:7], s[24:25]
	v_lshl_add_u64 v[0:1], v[34:35], 2, s[24:25]
	v_lshl_add_u64 v[2:3], v[36:37], 2, s[24:25]
	;; [unrolled: 1-line block ×4, first 2 shown]
	s_delay_alu instid0(VALU_DEP_4) | instskip(NEXT) | instid1(VALU_DEP_4)
	v_add_nc_u64_e32 v[6:7], v[0:1], v[42:43]
	v_add_nc_u64_e32 v[4:5], v[2:3], v[42:43]
	s_delay_alu instid0(VALU_DEP_4) | instskip(NEXT) | instid1(VALU_DEP_4)
	v_add_nc_u64_e32 v[2:3], v[10:11], v[42:43]
	v_add_nc_u64_e32 v[0:1], v[12:13], v[42:43]
	s_clause 0x3
	global_load_b128 v[10:13], v[6:7], off
	global_load_b128 v[14:17], v[4:5], off
	;; [unrolled: 1-line block ×4, first 2 shown]
	s_wait_loadcnt 0x3
	ds_store_b128 v60, v[10:13]
	s_wait_loadcnt 0x2
	ds_store_b128 v63, v[14:17]
	;; [unrolled: 2-line block ×4, first 2 shown]
	s_wait_dscnt 0x0
	s_barrier_signal -1
	s_barrier_wait -1
	ds_load_b128 v[12:15], v56
	ds_load_b128 v[16:19], v55
	ds_load_b128 v[20:23], v56 offset:4608
	v_mov_b32_e32 v10, 0
	s_wait_dscnt 0x1
	;;#ASMSTART
	v_dot2_f32_f16 v9, v12, v16, v9
	;;#ASMEND
	;;#ASMSTART
	v_dot2_f32_f16 v9, v13, v17, v9
	;;#ASMEND
	;;#ASMSTART
	v_dot2_f32_f16 v9, v14, v18, v9
	;;#ASMEND
	;;#ASMSTART
	v_dot2_f32_f16 v9, v15, v19, v9
	;;#ASMEND
	s_wait_dscnt 0x0
	;;#ASMSTART
	v_dot2_f32_f16 v10, v20, v16, v10
	;;#ASMEND
	;;#ASMSTART
	v_dot2_f32_f16 v10, v21, v17, v10
	;;#ASMEND
	;;#ASMSTART
	v_dot2_f32_f16 v10, v22, v18, v10
	;;#ASMEND
	;;#ASMSTART
	v_dot2_f32_f16 v10, v23, v19, v10
	;;#ASMEND
	ds_load_b128 v[12:15], v56 offset:16
	ds_load_b128 v[16:19], v55 offset:16
	ds_load_b128 v[20:23], v56 offset:4624
	s_wait_dscnt 0x1
	;;#ASMSTART
	v_dot2_f32_f16 v9, v12, v16, v9
	;;#ASMEND
	;;#ASMSTART
	v_dot2_f32_f16 v9, v13, v17, v9
	;;#ASMEND
	;;#ASMSTART
	v_dot2_f32_f16 v9, v14, v18, v9
	;;#ASMEND
	;;#ASMSTART
	v_dot2_f32_f16 v9, v15, v19, v9
	;;#ASMEND
	s_wait_dscnt 0x0
	;;#ASMSTART
	v_dot2_f32_f16 v10, v20, v16, v10
	;;#ASMEND
	;;#ASMSTART
	v_dot2_f32_f16 v10, v21, v17, v10
	;;#ASMEND
	;;#ASMSTART
	v_dot2_f32_f16 v10, v22, v18, v10
	;;#ASMEND
	;;#ASMSTART
	v_dot2_f32_f16 v10, v23, v19, v10
	;;#ASMEND
	ds_load_b128 v[12:15], v56 offset:32
	ds_load_b128 v[16:19], v55 offset:32
	ds_load_b128 v[20:23], v56 offset:4640
	;; [unrolled: 29-line block ×7, first 2 shown]
	s_wait_dscnt 0x1
	;;#ASMSTART
	v_dot2_f32_f16 v9, v12, v16, v9
	;;#ASMEND
	;;#ASMSTART
	v_dot2_f32_f16 v9, v13, v17, v9
	;;#ASMEND
	;; [unrolled: 3-line block ×4, first 2 shown]
	s_wait_dscnt 0x0
	;;#ASMSTART
	v_dot2_f32_f16 v10, v20, v16, v10
	;;#ASMEND
	;;#ASMSTART
	v_dot2_f32_f16 v10, v21, v17, v10
	;;#ASMEND
	;; [unrolled: 3-line block ×4, first 2 shown]
	s_barrier_signal -1
	s_barrier_wait -1
	s_clause 0x3
	global_load_b128 v[12:15], v[6:7], off offset:128
	global_load_b128 v[4:7], v[4:5], off offset:128
	;; [unrolled: 1-line block ×4, first 2 shown]
	s_wait_loadcnt 0x3
	ds_store_b128 v60, v[12:15]
	s_wait_loadcnt 0x2
	ds_store_b128 v63, v[4:7]
	;; [unrolled: 2-line block ×4, first 2 shown]
	s_wait_dscnt 0x0
	s_barrier_signal -1
	s_barrier_wait -1
	ds_load_b128 v[0:3], v56
	ds_load_b128 v[4:7], v55 offset:128
	ds_load_b128 v[12:15], v56 offset:4608
	s_wait_dscnt 0x1
	;;#ASMSTART
	v_dot2_f32_f16 v9, v0, v4, v9
	;;#ASMEND
	;;#ASMSTART
	v_dot2_f32_f16 v9, v1, v5, v9
	;;#ASMEND
	;;#ASMSTART
	v_dot2_f32_f16 v9, v2, v6, v9
	;;#ASMEND
	;;#ASMSTART
	v_dot2_f32_f16 v9, v3, v7, v9
	;;#ASMEND
	s_wait_dscnt 0x0
	;;#ASMSTART
	v_dot2_f32_f16 v10, v12, v4, v10
	;;#ASMEND
	;;#ASMSTART
	v_dot2_f32_f16 v10, v13, v5, v10
	;;#ASMEND
	;;#ASMSTART
	v_dot2_f32_f16 v10, v14, v6, v10
	;;#ASMEND
	;;#ASMSTART
	v_dot2_f32_f16 v10, v15, v7, v10
	;;#ASMEND
	ds_load_b128 v[0:3], v56 offset:16
	ds_load_b128 v[4:7], v55 offset:144
	ds_load_b128 v[12:15], v56 offset:4624
	s_wait_dscnt 0x1
	;;#ASMSTART
	v_dot2_f32_f16 v9, v0, v4, v9
	;;#ASMEND
	;;#ASMSTART
	v_dot2_f32_f16 v9, v1, v5, v9
	;;#ASMEND
	;;#ASMSTART
	v_dot2_f32_f16 v9, v2, v6, v9
	;;#ASMEND
	;;#ASMSTART
	v_dot2_f32_f16 v9, v3, v7, v9
	;;#ASMEND
	s_wait_dscnt 0x0
	;;#ASMSTART
	v_dot2_f32_f16 v10, v12, v4, v10
	;;#ASMEND
	;;#ASMSTART
	v_dot2_f32_f16 v10, v13, v5, v10
	;;#ASMEND
	;;#ASMSTART
	v_dot2_f32_f16 v10, v14, v6, v10
	;;#ASMEND
	;;#ASMSTART
	v_dot2_f32_f16 v10, v15, v7, v10
	;;#ASMEND
	ds_load_b128 v[0:3], v56 offset:32
	;; [unrolled: 29-line block ×7, first 2 shown]
	ds_load_b128 v[12:15], v55 offset:240
	ds_load_b128 v[16:19], v56 offset:4720
	s_wait_dscnt 0x1
	;;#ASMSTART
	v_dot2_f32_f16 v9, v2, v12, v9
	;;#ASMEND
	v_dual_mov_b32 v1, 0 :: v_dual_add_nc_u32 v0, s14, v58
	;;#ASMSTART
	v_dot2_f32_f16 v9, v3, v13, v9
	;;#ASMEND
	;;#ASMSTART
	v_dot2_f32_f16 v9, v4, v14, v9
	;;#ASMEND
	;; [unrolled: 3-line block ×3, first 2 shown]
	s_wait_dscnt 0x0
	;;#ASMSTART
	v_dot2_f32_f16 v10, v16, v12, v10
	;;#ASMEND
	;;#ASMSTART
	v_dot2_f32_f16 v10, v17, v13, v10
	;;#ASMEND
	;; [unrolled: 3-line block ×4, first 2 shown]
	s_cbranch_vccnz .LBB65_10
; %bb.9:                                ;   in Loop: Header=BB65_8 Depth=1
	global_load_u16 v1, v0, s[30:31] scale_offset
	s_wait_loadcnt 0x0
	v_cvt_f32_f16_e32 v1, v1
	s_delay_alu instid0(VALU_DEP_1)
	v_mul_f32_e32 v1, v31, v1
.LBB65_10:                              ;   in Loop: Header=BB65_8 Depth=1
	s_and_not1_b32 vcc_lo, exec_lo, s27
	s_cbranch_vccnz .LBB65_12
; %bb.11:                               ;   in Loop: Header=BB65_8 Depth=1
	global_load_u16 v0, v0, s[30:31] offset:64 scale_offset
	s_wait_loadcnt 0x0
	v_cvt_f32_f16_e32 v0, v0
	s_delay_alu instid0(VALU_DEP_1)
	v_mul_f32_e32 v0, v31, v0
	s_branch .LBB65_13
.LBB65_12:                              ;   in Loop: Header=BB65_8 Depth=1
	v_mov_b32_e32 v0, 0
.LBB65_13:                              ;   in Loop: Header=BB65_8 Depth=1
	s_mul_u64 s[24:25], s[14:15], s[10:11]
	s_delay_alu instid0(SALU_CYCLE_1)
	s_lshl_b64 s[24:25], s[24:25], 2
	s_barrier_signal -1
	s_add_nc_u64 s[24:25], s[8:9], s[24:25]
	s_barrier_wait -1
	v_add_nc_u64_e32 v[2:3], s[24:25], v[44:45]
	v_add_nc_u64_e32 v[4:5], s[24:25], v[46:47]
	;; [unrolled: 1-line block ×4, first 2 shown]
	v_dual_add_f32 v1, v9, v1 :: v_dual_add_f32 v0, v10, v0
	v_add_nc_u64_e32 v[2:3], v[2:3], v[32:33]
	v_add_nc_u64_e32 v[4:5], v[4:5], v[32:33]
	;; [unrolled: 1-line block ×4, first 2 shown]
	v_add_nc_u32_e32 v75, 0x1000, v102
	s_or_b32 s24, s14, 32
	s_clause 0x3
	global_load_b128 v[12:15], v[2:3], off
	global_load_b128 v[16:19], v[4:5], off
	;; [unrolled: 1-line block ×4, first 2 shown]
	s_wait_xcnt 0x2
	v_dual_add_f32 v3, 0x40051340, v1 :: v_dual_add_f32 v4, 0x40051340, v0
	s_ashr_i32 s25, s24, 31
	v_add_nc_u32_e32 v76, 0x800, v102
	s_mul_u64 s[24:25], s[24:25], s[10:11]
	s_delay_alu instid0(VALU_DEP_2) | instskip(SKIP_3) | instid1(SALU_CYCLE_1)
	v_max3_num_f32 v3, v8, v3, v4
	v_xor_b32_e32 v4, 8, v69
	v_xor_b32_e32 v2, 16, v69
	s_lshl_b64 s[24:25], s[24:25], 2
	s_add_nc_u64 s[24:25], s[8:9], s[24:25]
	s_delay_alu instid0(VALU_DEP_1)
	v_cmp_gt_i32_e32 vcc_lo, 32, v2
	v_add_nc_u64_e32 v[78:79], s[24:25], v[46:47]
	v_add_nc_u64_e32 v[80:81], s[24:25], v[50:51]
	;; [unrolled: 1-line block ×3, first 2 shown]
	v_cndmask_b32_e32 v2, v69, v2, vcc_lo
	v_cmp_gt_i32_e32 vcc_lo, 32, v4
	v_add_nc_u64_e32 v[82:83], v[78:79], v[32:33]
	s_delay_alu instid0(VALU_DEP_4) | instskip(SKIP_1) | instid1(VALU_DEP_1)
	v_add_nc_u64_e32 v[52:53], v[52:53], v[32:33]
	v_cndmask_b32_e32 v4, v69, v4, vcc_lo
	v_dual_lshlrev_b32 v4, 2, v4 :: v_dual_lshlrev_b32 v2, 2, v2
	ds_bpermute_b32 v2, v2, v3
	s_wait_dscnt 0x0
	v_max_num_f32_e32 v2, v2, v2
	s_delay_alu instid0(VALU_DEP_1) | instskip(SKIP_2) | instid1(VALU_DEP_1)
	v_max_num_f32_e32 v2, v3, v2
	ds_bpermute_b32 v3, v4, v2
	v_xor_b32_e32 v4, 4, v69
	v_cmp_gt_i32_e32 vcc_lo, 32, v4
	v_cndmask_b32_e32 v4, v69, v4, vcc_lo
	s_wait_dscnt 0x0
	s_delay_alu instid0(VALU_DEP_1) | instskip(NEXT) | instid1(VALU_DEP_1)
	v_dual_max_num_f32 v3, v3, v3 :: v_dual_lshlrev_b32 v4, 2, v4
	v_max_num_f32_e32 v2, v2, v3
	ds_bpermute_b32 v3, v4, v2
	v_xor_b32_e32 v4, 2, v69
	s_delay_alu instid0(VALU_DEP_1) | instskip(SKIP_2) | instid1(VALU_DEP_1)
	v_cmp_gt_i32_e32 vcc_lo, 32, v4
	s_wait_dscnt 0x0
	v_dual_cndmask_b32 v4, v69, v4 :: v_dual_max_num_f32 v3, v3, v3
	v_dual_lshlrev_b32 v4, 2, v4 :: v_dual_max_num_f32 v2, v2, v3
	ds_bpermute_b32 v3, v4, v2
	s_wait_dscnt 0x0
	v_dual_max_num_f32 v3, v3, v3 :: v_dual_bitop2_b32 v4, 1, v69 bitop3:0x14
	s_delay_alu instid0(VALU_DEP_1) | instskip(NEXT) | instid1(VALU_DEP_2)
	v_cmp_gt_i32_e32 vcc_lo, 32, v4
	v_dual_max_num_f32 v2, v2, v3 :: v_dual_cndmask_b32 v4, v69, v4, vcc_lo
	s_delay_alu instid0(VALU_DEP_1) | instskip(SKIP_3) | instid1(VALU_DEP_1)
	v_lshlrev_b32_e32 v4, 2, v4
	ds_bpermute_b32 v3, v4, v2
	s_wait_dscnt 0x0
	v_max_num_f32_e32 v3, v3, v3
	v_max_num_f32_e32 v88, v2, v3
	s_delay_alu instid0(VALU_DEP_1) | instskip(NEXT) | instid1(VALU_DEP_1)
	v_sub_f32_e32 v0, v0, v88
	v_mul_f32_e32 v3, 0x3fb8aa3b, v0
	v_dual_sub_f32 v1, v1, v88 :: v_dual_sub_f32 v4, v8, v88
	s_delay_alu instid0(VALU_DEP_2) | instskip(NEXT) | instid1(VALU_DEP_2)
	v_rndne_f32_e32 v9, v3
	v_mul_f32_e32 v2, 0x3fb8aa3b, v1
	s_delay_alu instid0(VALU_DEP_1) | instskip(SKIP_2) | instid1(VALU_DEP_1)
	v_fma_f32 v5, 0x3fb8aa3b, v1, -v2
	s_wait_xcnt 0x1
	v_rndne_f32_e32 v6, v2
	v_dual_sub_f32 v2, v2, v6 :: v_dual_fmac_f32 v5, 0x32a5705f, v1
	v_fma_f32 v7, 0x3fb8aa3b, v0, -v3
	v_sub_f32_e32 v3, v3, v9
	v_cvt_i32_f32_e32 v6, v6
	v_cmp_ngt_f32_e32 vcc_lo, 0xc2ce8ed0, v1
	s_delay_alu instid0(VALU_DEP_4) | instskip(NEXT) | instid1(VALU_DEP_1)
	v_dual_add_f32 v2, v2, v5 :: v_dual_fmac_f32 v7, 0x32a5705f, v0
	v_exp_f32_e32 v2, v2
	s_delay_alu instid0(VALU_DEP_1) | instskip(SKIP_1) | instid1(VALU_DEP_2)
	v_add_f32_e32 v3, v3, v7
	v_cvt_i32_f32_e32 v7, v9
	v_exp_f32_e32 v3, v3
	s_delay_alu instid0(TRANS32_DEP_2) | instskip(NEXT) | instid1(VALU_DEP_1)
	v_ldexp_f32 v2, v2, v6
	v_dual_mul_f32 v5, 0x3fb8aa3b, v4 :: v_dual_cndmask_b32 v2, 0, v2
	s_delay_alu instid0(VALU_DEP_1) | instskip(NEXT) | instid1(TRANS32_DEP_1)
	v_fma_f32 v8, 0x3fb8aa3b, v4, -v5
	v_ldexp_f32 v3, v3, v7
	v_cmp_ngt_f32_e32 vcc_lo, 0xc2ce8ed0, v0
	v_rndne_f32_e32 v6, v5
	s_delay_alu instid0(VALU_DEP_3) | instskip(SKIP_3) | instid1(VALU_DEP_4)
	v_dual_fmac_f32 v8, 0x32a5705f, v4 :: v_dual_cndmask_b32 v3, 0, v3
	v_cmp_nlt_f32_e32 vcc_lo, 0x42b17218, v1
	v_cndmask_b32_e32 v71, 0x7f800000, v2, vcc_lo
	v_cmp_nlt_f32_e32 vcc_lo, 0x42b17218, v0
	v_dual_sub_f32 v5, v5, v6 :: v_dual_cndmask_b32 v72, 0x7f800000, v3
	s_delay_alu instid0(VALU_DEP_1) | instskip(NEXT) | instid1(VALU_DEP_4)
	v_add_f32_e32 v0, v5, v8
	v_cvt_f16_f32_e32 v1, v71
	v_cvt_i32_f32_e32 v5, v6
	v_cmp_ngt_f32_e32 vcc_lo, 0xc2ce8ed0, v4
	v_cvt_f16_f32_e32 v2, v72
	v_exp_f32_e32 v6, v0
	v_dual_add_f32 v87, v71, v72 :: v_dual_add_nc_u32 v74, 0x1800, v102
	ds_store_b16 v61, v1
	ds_store_b16 v61, v2 offset:64
	s_wait_loadcnt 0x3
	ds_store_b128 v62, v[12:15]
	s_wait_loadcnt 0x2
	ds_store_b128 v66, v[16:19]
	;; [unrolled: 2-line block ×4, first 2 shown]
	s_wait_dscnt 0x0
	s_barrier_signal -1
	s_barrier_wait -1
	ds_load_b128 v[0:3], v59
	ds_load_b128 v[8:11], v59 offset:16
	v_ldexp_f32 v5, v6, v5
	ds_load_2addr_b64 v[12:15], v102 offset1:32
	v_cndmask_b32_e32 v5, 0, v5, vcc_lo
	v_cmp_nlt_f32_e32 vcc_lo, 0x42b17218, v4
	s_delay_alu instid0(VALU_DEP_2) | instskip(SKIP_3) | instid1(VALU_DEP_3)
	v_cndmask_b32_e32 v73, 0x7f800000, v5, vcc_lo
	s_wait_dscnt 0x2
	v_and_b32_e32 v16, 0xffff, v0
	v_lshrrev_b32_e32 v0, 16, v0
	v_cvt_f16_f32_e32 v4, v73
	v_and_b32_e32 v21, 0xffff, v1
	v_lshrrev_b32_e32 v1, 16, v1
	v_mul_u32_u24_e32 v16, 0x10001, v16
	v_mul_u32_u24_e32 v0, 0x10001, v0
	v_and_b32_e32 v17, 0xffff, v4
	ds_load_2addr_b64 v[4:7], v102 offset0:64 offset1:96
	v_mul_u32_u24_e32 v24, 0x10001, v21
	s_wait_dscnt 0x1
	v_pk_mul_f16 v12, v12, v16
	v_pk_mul_f16 v13, v13, v16
	v_mul_u32_u24_e32 v20, 0x10001, v17
	ds_load_2addr_b64 v[16:19], v102 offset0:128 offset1:160
	v_fmac_f32_e32 v87, v70, v73
	v_pk_fma_f16 v12, v104, v20, v12
	v_pk_fma_f16 v13, v103, v20, v13
	ds_load_2addr_b64 v[20:23], v102 offset0:192 offset1:224
	v_add_nc_u64_e32 v[104:105], v[80:81], v[32:33]
	ds_load_2addr_b64 v[78:81], v75 offset0:128 offset1:160
	v_pk_fma_f16 v12, v14, v0, v12
	v_pk_fma_f16 v0, v15, v0, v13
	v_and_b32_e32 v14, 0xffff, v2
	v_lshrrev_b32_e32 v2, 16, v2
	v_mul_u32_u24_e32 v1, 0x10001, v1
	s_wait_dscnt 0x3
	v_pk_fma_f16 v4, v4, v24, v12
	v_pk_fma_f16 v0, v5, v24, v0
	v_mul_u32_u24_e32 v5, 0x10001, v14
	ds_load_2addr_b64 v[24:27], v76 offset1:32
	v_mul_u32_u24_e32 v2, 0x10001, v2
	v_pk_fma_f16 v4, v6, v1, v4
	v_pk_fma_f16 v0, v7, v1, v0
	v_and_b32_e32 v1, 0xffff, v3
	v_and_b32_e32 v14, 0xffff, v8
	v_add_nc_u64_e32 v[12:13], s[24:25], v[48:49]
	s_wait_dscnt 0x3
	v_pk_fma_f16 v4, v16, v5, v4
	v_pk_fma_f16 v0, v17, v5, v0
	v_lshrrev_b32_e32 v5, 16, v3
	v_mul_u32_u24_e32 v6, 0x10001, v1
	s_delay_alu instid0(VALU_DEP_4) | instskip(NEXT) | instid1(VALU_DEP_4)
	v_pk_fma_f16 v4, v18, v2, v4
	v_pk_fma_f16 v7, v19, v2, v0
	ds_load_2addr_b64 v[0:3], v76 offset0:64 offset1:96
	v_and_b32_e32 v18, 0xffff, v9
	v_lshrrev_b32_e32 v9, 16, v9
	s_wait_dscnt 0x3
	v_pk_fma_f16 v4, v20, v6, v4
	v_pk_fma_f16 v6, v21, v6, v7
	v_lshrrev_b32_e32 v7, 16, v8
	v_mul_u32_u24_e32 v5, 0x10001, v5
	v_mul_u32_u24_e32 v8, 0x10001, v14
	ds_load_2addr_b64 v[14:17], v76 offset0:128 offset1:160
	v_add_nc_u64_e32 v[98:99], v[12:13], v[32:33]
	v_mul_u32_u24_e32 v19, 0x10001, v7
	v_pk_fma_f16 v4, v22, v5, v4
	v_pk_fma_f16 v5, v23, v5, v6
	v_mul_u32_u24_e32 v22, 0x10001, v18
	s_wait_dscnt 0x2
	s_delay_alu instid0(VALU_DEP_3) | instskip(NEXT) | instid1(VALU_DEP_3)
	v_pk_fma_f16 v20, v24, v8, v4
	v_pk_fma_f16 v8, v25, v8, v5
	ds_load_b128 v[4:7], v59 offset:32
	v_and_b32_e32 v24, 0xffff, v10
	v_pk_fma_f16 v23, v26, v19, v20
	v_pk_fma_f16 v8, v27, v19, v8
	ds_load_2addr_b64 v[18:21], v76 offset0:192 offset1:224
	s_wait_dscnt 0x3
	v_pk_fma_f16 v0, v0, v22, v23
	v_pk_fma_f16 v1, v1, v22, v8
	v_lshrrev_b32_e32 v8, 16, v10
	v_mul_u32_u24_e32 v9, 0x10001, v9
	v_mul_u32_u24_e32 v10, 0x10001, v24
	ds_load_2addr_b64 v[22:25], v75 offset1:32
	v_mul_u32_u24_e32 v8, 0x10001, v8
	v_pk_fma_f16 v0, v2, v9, v0
	v_pk_fma_f16 v1, v3, v9, v1
	v_and_b32_e32 v9, 0xffff, v11
	s_wait_dscnt 0x3
	s_delay_alu instid0(VALU_DEP_3) | instskip(NEXT) | instid1(VALU_DEP_3)
	v_pk_fma_f16 v14, v14, v10, v0
	v_pk_fma_f16 v10, v15, v10, v1
	ds_load_b128 v[0:3], v59 offset:48
	v_lshrrev_b32_e32 v15, 16, v11
	v_mul_u32_u24_e32 v26, 0x10001, v9
	v_pk_fma_f16 v14, v16, v8, v14
	v_pk_fma_f16 v16, v17, v8, v10
	ds_load_2addr_b64 v[8:11], v75 offset0:64 offset1:96
	s_wait_dscnt 0x4
	v_and_b32_e32 v17, 0xffff, v4
	v_lshrrev_b32_e32 v4, 16, v4
	v_mul_u32_u24_e32 v15, 0x10001, v15
	s_wait_dscnt 0x3
	v_pk_fma_f16 v14, v18, v26, v14
	v_pk_fma_f16 v16, v19, v26, v16
	v_mul_u32_u24_e32 v12, 0x10001, v17
	v_mul_u32_u24_e32 v4, 0x10001, v4
	v_and_b32_e32 v77, 0xffff, v6
	v_pk_fma_f16 v13, v20, v15, v14
	v_pk_fma_f16 v14, v21, v15, v16
	v_and_b32_e32 v15, 0xffff, v5
	v_lshrrev_b32_e32 v5, 16, v5
	s_wait_dscnt 0x2
	v_pk_fma_f16 v13, v22, v12, v13
	v_pk_fma_f16 v12, v23, v12, v14
	v_mul_u32_u24_e32 v14, 0x10001, v15
	v_mul_u32_u24_e32 v5, 0x10001, v5
	s_delay_alu instid0(VALU_DEP_4) | instskip(NEXT) | instid1(VALU_DEP_4)
	v_pk_fma_f16 v13, v24, v4, v13
	v_pk_fma_f16 v4, v25, v4, v12
	ds_load_2addr_b64 v[24:27], v75 offset0:192 offset1:224
	ds_load_2addr_b64 v[20:23], v74 offset1:32
	s_wait_dscnt 0x2
	v_pk_fma_f16 v8, v8, v14, v13
	v_pk_fma_f16 v4, v9, v14, v4
	ds_load_2addr_b64 v[16:19], v74 offset0:64 offset1:96
	ds_load_2addr_b64 v[12:15], v74 offset0:128 offset1:160
	v_pk_fma_f16 v85, v10, v5, v8
	v_pk_fma_f16 v4, v11, v5, v4
	v_lshrrev_b32_e32 v5, 16, v6
	v_mul_u32_u24_e32 v6, 0x10001, v77
	ds_load_2addr_b64 v[8:11], v74 offset0:192 offset1:224
	s_wait_dscnt 0x0
	s_barrier_signal -1
	s_barrier_wait -1
	v_pk_fma_f16 v77, v78, v6, v85
	v_pk_fma_f16 v4, v79, v6, v4
	s_clause 0x1
	global_load_b128 v[90:93], v[52:53], off
	global_load_b128 v[94:97], v[82:83], off
	s_wait_xcnt 0x1
	v_and_b32_e32 v52, 0xffff, v0
	v_lshrrev_b32_e32 v0, 16, v0
	v_mul_u32_u24_e32 v5, 0x10001, v5
	s_delay_alu instid0(VALU_DEP_2) | instskip(NEXT) | instid1(VALU_DEP_2)
	v_mul_u32_u24_e32 v0, 0x10001, v0
	v_pk_fma_f16 v6, v80, v5, v77
	v_pk_fma_f16 v4, v81, v5, v4
	s_clause 0x1
	global_load_b128 v[78:81], v[98:99], off
	global_load_b128 v[104:107], v[104:105], off
	v_and_b32_e32 v5, 0xffff, v7
	v_lshrrev_b32_e32 v7, 16, v7
	s_wait_loadcnt 0x3
	ds_store_b128 v62, v[90:93]
	s_wait_loadcnt 0x2
	ds_store_b128 v66, v[94:97]
	;; [unrolled: 2-line block ×4, first 2 shown]
	v_mul_u32_u24_e32 v5, 0x10001, v5
	v_mul_u32_u24_e32 v7, 0x10001, v7
	s_wait_dscnt 0x0
	s_barrier_signal -1
	s_barrier_wait -1
	v_pk_fma_f16 v6, v24, v5, v6
	v_pk_fma_f16 v4, v25, v5, v4
	v_mul_u32_u24_e32 v24, 0x10001, v52
	s_delay_alu instid0(VALU_DEP_3) | instskip(NEXT) | instid1(VALU_DEP_3)
	v_pk_fma_f16 v5, v26, v7, v6
	v_pk_fma_f16 v4, v27, v7, v4
	v_and_b32_e32 v6, 0xffff, v1
	v_lshrrev_b32_e32 v1, 16, v1
	v_and_b32_e32 v7, 0xffff, v2
	v_pk_fma_f16 v5, v20, v24, v5
	v_pk_fma_f16 v4, v21, v24, v4
	v_mul_u32_u24_e32 v6, 0x10001, v6
	v_lshrrev_b32_e32 v2, 16, v2
	v_mul_u32_u24_e32 v1, 0x10001, v1
	v_pk_fma_f16 v5, v22, v0, v5
	v_pk_fma_f16 v0, v23, v0, v4
	ds_load_b128 v[20:23], v59 offset:64
	v_mul_u32_u24_e32 v7, 0x10001, v7
	v_mul_u32_u24_e32 v2, 0x10001, v2
	v_pk_fma_f16 v4, v16, v6, v5
	v_pk_fma_f16 v0, v17, v6, v0
	v_and_b32_e32 v5, 0xffff, v3
	v_lshrrev_b32_e32 v3, 16, v3
	s_delay_alu instid0(VALU_DEP_4) | instskip(NEXT) | instid1(VALU_DEP_4)
	v_pk_fma_f16 v4, v18, v1, v4
	v_pk_fma_f16 v0, v19, v1, v0
	ds_load_2addr_b64 v[16:19], v102 offset1:32
	v_mul_u32_u24_e32 v6, 0x10001, v5
	v_pk_fma_f16 v1, v12, v7, v4
	v_pk_fma_f16 v0, v13, v7, v0
	v_mul_u32_u24_e32 v7, 0x10001, v3
	s_delay_alu instid0(VALU_DEP_3) | instskip(NEXT) | instid1(VALU_DEP_3)
	v_pk_fma_f16 v1, v14, v2, v1
	v_pk_fma_f16 v0, v15, v2, v0
	ds_load_b128 v[2:5], v59 offset:80
	ds_load_2addr_b64 v[12:15], v102 offset0:64 offset1:96
	v_pk_fma_f16 v1, v8, v6, v1
	s_wait_dscnt 0x3
	v_and_b32_e32 v8, 0xffff, v20
	v_pk_fma_f16 v0, v9, v6, v0
	s_delay_alu instid0(VALU_DEP_3) | instskip(SKIP_1) | instid1(VALU_DEP_4)
	v_pk_fma_f16 v1, v10, v7, v1
	v_lshrrev_b32_e32 v10, 16, v20
	v_mul_u32_u24_e32 v20, 0x10001, v8
	s_delay_alu instid0(VALU_DEP_4)
	v_pk_fma_f16 v0, v11, v7, v0
	ds_load_2addr_b64 v[6:9], v102 offset0:128 offset1:160
	v_and_b32_e32 v11, 0xffff, v21
	v_mul_u32_u24_e32 v10, 0x10001, v10
	s_wait_dscnt 0x3
	v_pk_fma_f16 v1, v16, v20, v1
	v_pk_fma_f16 v0, v17, v20, v0
	v_dual_lshrrev_b32 v20, 16, v21 :: v_dual_lshrrev_b32 v21, 16, v22
	v_mul_u32_u24_e32 v11, 0x10001, v11
	s_delay_alu instid0(VALU_DEP_4) | instskip(NEXT) | instid1(VALU_DEP_4)
	v_pk_fma_f16 v1, v18, v10, v1
	v_pk_fma_f16 v0, v19, v10, v0
	ds_load_2addr_b64 v[16:19], v102 offset0:192 offset1:224
	v_and_b32_e32 v10, 0xffff, v22
	v_mul_u32_u24_e32 v20, 0x10001, v20
	s_wait_dscnt 0x2
	v_pk_fma_f16 v1, v12, v11, v1
	v_pk_fma_f16 v0, v13, v11, v0
	v_mul_u32_u24_e32 v22, 0x10001, v10
	ds_load_2addr_b64 v[10:13], v76 offset1:32
	v_pk_fma_f16 v1, v14, v20, v1
	v_pk_fma_f16 v0, v15, v20, v0
	v_and_b32_e32 v14, 0xffff, v23
	v_mul_u32_u24_e32 v15, 0x10001, v21
	s_wait_dscnt 0x2
	v_pk_fma_f16 v1, v6, v22, v1
	v_pk_fma_f16 v0, v7, v22, v0
	v_lshrrev_b32_e32 v6, 16, v23
	v_mul_u32_u24_e32 v7, 0x10001, v14
	ds_load_2addr_b64 v[20:23], v76 offset0:64 offset1:96
	v_pk_fma_f16 v1, v8, v15, v1
	v_pk_fma_f16 v0, v9, v15, v0
	v_and_b32_e32 v8, 0xffff, v2
	v_lshrrev_b32_e32 v2, 16, v2
	v_mul_u32_u24_e32 v6, 0x10001, v6
	s_wait_dscnt 0x2
	v_pk_fma_f16 v1, v16, v7, v1
	v_pk_fma_f16 v0, v17, v7, v0
	v_mul_u32_u24_e32 v7, 0x10001, v8
	ds_load_2addr_b64 v[14:17], v76 offset0:128 offset1:160
	v_mul_u32_u24_e32 v2, 0x10001, v2
	v_pk_fma_f16 v1, v18, v6, v1
	v_pk_fma_f16 v0, v19, v6, v0
	v_and_b32_e32 v18, 0xffff, v3
	v_lshrrev_b32_e32 v3, 16, v3
	s_wait_dscnt 0x2
	v_pk_fma_f16 v1, v10, v7, v1
	v_pk_fma_f16 v0, v11, v7, v0
	v_mul_u32_u24_e32 v18, 0x10001, v18
	ds_load_b128 v[6:9], v59 offset:96
	v_pk_fma_f16 v1, v12, v2, v1
	v_pk_fma_f16 v0, v13, v2, v0
	ds_load_2addr_b64 v[10:13], v76 offset0:192 offset1:224
	v_and_b32_e32 v2, 0xffff, v4
	v_lshrrev_b32_e32 v4, 16, v4
	v_mul_u32_u24_e32 v3, 0x10001, v3
	s_wait_dscnt 0x3
	v_pk_fma_f16 v1, v20, v18, v1
	v_pk_fma_f16 v0, v21, v18, v0
	v_mul_u32_u24_e32 v2, 0x10001, v2
	ds_load_2addr_b64 v[18:21], v75 offset1:32
	v_mul_u32_u24_e32 v4, 0x10001, v4
	v_pk_fma_f16 v1, v22, v3, v1
	v_pk_fma_f16 v0, v23, v3, v0
	v_and_b32_e32 v22, 0xffff, v5
	s_wait_dscnt 0x3
	s_delay_alu instid0(VALU_DEP_3) | instskip(NEXT) | instid1(VALU_DEP_3)
	v_pk_fma_f16 v14, v14, v2, v1
	v_pk_fma_f16 v15, v15, v2, v0
	ds_load_b128 v[0:3], v59 offset:112
	v_lshrrev_b32_e32 v5, 16, v5
	v_mul_u32_u24_e32 v22, 0x10001, v22
	v_pk_fma_f16 v23, v16, v4, v14
	v_pk_fma_f16 v4, v17, v4, v15
	ds_load_2addr_b64 v[14:17], v75 offset0:64 offset1:96
	s_wait_dscnt 0x4
	v_and_b32_e32 v24, 0xffff, v6
	v_lshrrev_b32_e32 v6, 16, v6
	v_mul_u32_u24_e32 v5, 0x10001, v5
	s_wait_dscnt 0x3
	v_pk_fma_f16 v10, v10, v22, v23
	v_pk_fma_f16 v4, v11, v22, v4
	v_mul_u32_u24_e32 v22, 0x10001, v24
	v_mul_u32_u24_e32 v6, 0x10001, v6
	v_and_b32_e32 v26, 0xffff, v9
	v_pk_fma_f16 v23, v12, v5, v10
	v_pk_fma_f16 v4, v13, v5, v4
	ds_load_2addr_b64 v[10:13], v75 offset0:128 offset1:160
	v_and_b32_e32 v5, 0xffff, v7
	v_lshrrev_b32_e32 v27, 16, v9
	s_wait_dscnt 0x3
	v_pk_fma_f16 v18, v18, v22, v23
	v_pk_fma_f16 v4, v19, v22, v4
	v_lshrrev_b32_e32 v19, 16, v7
	v_mul_u32_u24_e32 v22, 0x10001, v5
	v_and_b32_e32 v23, 0xffff, v8
	v_pk_fma_f16 v18, v20, v6, v18
	v_pk_fma_f16 v20, v21, v6, v4
	ds_load_2addr_b64 v[4:7], v75 offset0:192 offset1:224
	v_lshrrev_b32_e32 v8, 16, v8
	v_mul_u32_u24_e32 v24, 0x10001, v19
	s_wait_dscnt 0x2
	v_pk_fma_f16 v14, v14, v22, v18
	v_pk_fma_f16 v15, v15, v22, v20
	v_mul_u32_u24_e32 v22, 0x10001, v23
	ds_load_2addr_b64 v[18:21], v74 offset1:32
	v_mul_u32_u24_e32 v8, 0x10001, v8
	v_pk_fma_f16 v23, v16, v24, v14
	v_pk_fma_f16 v24, v17, v24, v15
	v_mul_u32_u24_e32 v26, 0x10001, v26
	ds_load_2addr_b64 v[14:17], v74 offset0:64 offset1:96
	v_and_b32_e32 v52, 0xffff, v0
	s_wait_dscnt 0x3
	v_pk_fma_f16 v10, v10, v22, v23
	v_pk_fma_f16 v11, v11, v22, v24
	v_lshrrev_b32_e32 v0, 16, v0
	v_mul_u32_u24_e32 v27, 0x10001, v27
	ds_load_2addr_b64 v[22:25], v74 offset0:128 offset1:160
	v_pk_fma_f16 v12, v12, v8, v10
	v_pk_fma_f16 v13, v13, v8, v11
	v_mul_u32_u24_e32 v0, 0x10001, v0
	ds_load_2addr_b64 v[8:11], v74 offset0:192 offset1:224
	s_wait_dscnt 0x0
	v_pk_fma_f16 v4, v4, v26, v12
	v_pk_fma_f16 v5, v5, v26, v13
	v_mul_u32_u24_e32 v12, 0x10001, v52
	s_barrier_signal -1
	s_barrier_wait -1
	v_pk_fma_f16 v4, v6, v27, v4
	v_pk_fma_f16 v5, v7, v27, v5
	v_and_b32_e32 v6, 0xffff, v1
	v_lshrrev_b32_e32 v1, 16, v1
	s_delay_alu instid0(VALU_DEP_4) | instskip(NEXT) | instid1(VALU_DEP_4)
	v_pk_fma_f16 v4, v18, v12, v4
	v_pk_fma_f16 v5, v19, v12, v5
	s_delay_alu instid0(VALU_DEP_4) | instskip(SKIP_1) | instid1(VALU_DEP_3)
	v_mul_u32_u24_e32 v6, 0x10001, v6
	s_load_b32 s15, s[20:21], 0x4
	v_pk_fma_f16 v4, v20, v0, v4
	s_delay_alu instid0(VALU_DEP_3)
	v_pk_fma_f16 v0, v21, v0, v5
	v_and_b32_e32 v5, 0xffff, v2
	v_lshrrev_b32_e32 v2, 16, v2
	v_mul_u32_u24_e32 v1, 0x10001, v1
	v_pk_fma_f16 v4, v14, v6, v4
	v_pk_fma_f16 v0, v15, v6, v0
	v_mul_u32_u24_e32 v5, 0x10001, v5
	v_mul_u32_u24_e32 v2, 0x10001, v2
	s_delay_alu instid0(VALU_DEP_4) | instskip(NEXT) | instid1(VALU_DEP_4)
	v_pk_fma_f16 v4, v16, v1, v4
	v_pk_fma_f16 v0, v17, v1, v0
	v_and_b32_e32 v1, 0xffff, v3
	v_lshrrev_b32_e32 v3, 16, v3
	s_delay_alu instid0(VALU_DEP_4) | instskip(NEXT) | instid1(VALU_DEP_4)
	v_pk_fma_f16 v4, v22, v5, v4
	v_pk_fma_f16 v0, v23, v5, v0
	s_delay_alu instid0(VALU_DEP_4)
	v_mul_u32_u24_e32 v1, 0x10001, v1
	s_wait_kmcnt 0x0
	s_lshl_b32 s15, s15, 6
	v_pk_fma_f16 v4, v24, v2, v4
	v_pk_fma_f16 v0, v25, v2, v0
	v_mul_u32_u24_e32 v2, 0x10001, v3
	s_add_co_i32 s14, s15, s14
	s_delay_alu instid0(VALU_DEP_3) | instskip(NEXT) | instid1(VALU_DEP_3)
	v_pk_fma_f16 v3, v8, v1, v4
	v_pk_fma_f16 v0, v9, v1, v0
	s_cmp_lt_i32 s14, s3
	s_delay_alu instid0(VALU_DEP_2) | instskip(NEXT) | instid1(VALU_DEP_2)
	v_pk_fma_f16 v104, v10, v2, v3
	v_pk_fma_f16 v103, v11, v2, v0
	s_cbranch_scc0 .LBB65_16
; %bb.14:                               ;   in Loop: Header=BB65_8 Depth=1
	v_dual_mov_b32 v8, v88 :: v_dual_mov_b32 v70, v87
	s_branch .LBB65_8
.LBB65_15:
	v_dual_mov_b32 v103, 0 :: v_dual_mov_b32 v88, 0xfeffffff
	v_mov_b32_e32 v104, 0
.LBB65_16:
	s_cmp_gt_i32 s2, s14
	s_cbranch_scc1 .LBB65_19
; %bb.17:
	v_mbcnt_lo_u32_b32 v1, -1, 0
	v_mov_b32_e32 v0, 32
	s_delay_alu instid0(VALU_DEP_2)
	v_xor_b32_e32 v105, 16, v1
	v_xor_b32_e32 v85, 8, v1
	;; [unrolled: 1-line block ×5, first 2 shown]
	s_cbranch_execz .LBB65_20
; %bb.18:
	v_mov_b32_e32 v89, v1
	s_branch .LBB65_30
.LBB65_19:
                                        ; implicit-def: $vgpr1
                                        ; implicit-def: $vgpr0
                                        ; implicit-def: $vgpr105
                                        ; implicit-def: $vgpr85
                                        ; implicit-def: $vgpr106
                                        ; implicit-def: $vgpr107
                                        ; implicit-def: $vgpr108
.LBB65_20:
	v_lshl_add_u32 v19, v29, 2, v57
	s_ashr_i32 s15, s14, 31
	s_ashr_i32 s5, s4, 31
	s_mov_b32 s36, 0
	s_mul_u64 s[20:21], s[14:15], s[4:5]
	v_mul_lo_u32 v4, s4, v19
	s_lshl_b64 s[20:21], s[20:21], 2
	v_dual_mov_b32 v2, 0 :: v_dual_lshlrev_b32 v3, 20, v89
	s_add_nc_u64 s[20:21], s[6:7], s[20:21]
	s_mov_b32 s37, s36
	s_mov_b32 s38, s36
	v_mov_b32_e32 v7, 0
	v_add_nc_u64_e32 v[8:9], src_flat_scratch_base_lo, v[2:3]
	s_sub_co_i32 s7, s2, s14
	s_lshl_b32 s4, s4, 4
	s_delay_alu instid0(VALU_DEP_4)
	v_dual_ashrrev_i32 v5, 31, v4 :: v_dual_lshlrev_b32 v6, 2, v30
	v_cmp_gt_i32_e64 s2, s7, v19
	s_cmp_lg_u64 s[30:31], 0
	v_lshl_add_u64 v[0:1], v[4:5], 2, s[20:21]
	v_add_nc_u32_e32 v4, s4, v4
	v_mad_u32_u24 v18, 0x90, v19, v6
	s_delay_alu instid0(VALU_DEP_3) | instskip(SKIP_1) | instid1(VALU_DEP_4)
	v_add_nc_u64_e32 v[12:13], v[0:1], v[6:7]
	v_dual_mov_b32 v0, s36 :: v_dual_mov_b32 v1, s37
	v_dual_mov_b32 v2, s38 :: v_dual_ashrrev_i32 v5, 31, v4
	s_clause 0x1
	scratch_store_b32 off, v7, off
	scratch_store_b96 off, v[0:2], off offset:4
	v_dual_cndmask_b32 v11, v9, v13, s2 :: v_dual_cndmask_b32 v10, v8, v12, s2
	v_add_nc_u64_e32 v[12:13], 0x80, v[12:13]
	flat_load_b128 v[14:17], v[10:11]
	s_wait_xcnt 0x0
	v_lshl_add_u64 v[10:11], v[4:5], 2, s[20:21]
	v_add_nc_u32_e32 v5, 16, v19
	s_clause 0x1
	scratch_store_b32 off, v7, off
	scratch_store_b96 off, v[0:2], off offset:4
	v_dual_add_nc_u32 v4, s4, v4 :: v_dual_cndmask_b32 v13, v9, v13, s2
	v_add_nc_u64_e32 v[10:11], v[10:11], v[6:7]
	v_cmp_gt_i32_e32 vcc_lo, s7, v5
	s_delay_alu instid0(VALU_DEP_2) | instskip(NEXT) | instid1(VALU_DEP_3)
	v_dual_ashrrev_i32 v5, 31, v4 :: v_dual_cndmask_b32 v21, v9, v11, vcc_lo
	v_cndmask_b32_e32 v20, v8, v10, vcc_lo
	v_add_nc_u64_e32 v[10:11], 0x80, v[10:11]
	v_cndmask_b32_e64 v12, v8, v12, s2
	s_mov_b32 s2, exec_lo
	s_delay_alu instid0(VALU_DEP_2)
	v_cndmask_b32_e32 v11, v9, v11, vcc_lo
	s_wait_loadcnt_dscnt 0x0
	ds_store_b128 v18, v[14:17]
	flat_load_b128 v[20:23], v[20:21]
	v_lshl_add_u64 v[14:15], v[4:5], 2, s[20:21]
	s_clause 0x1
	scratch_store_b32 off, v7, off
	scratch_store_b96 off, v[0:2], off offset:4
	v_add_nc_u32_e32 v4, s4, v4
	v_add_nc_u64_e32 v[14:15], v[14:15], v[6:7]
	v_dual_add_nc_u32 v5, 32, v19 :: v_dual_add_nc_u32 v19, 48, v19
	s_delay_alu instid0(VALU_DEP_1) | instskip(NEXT) | instid1(VALU_DEP_4)
	v_cmp_gt_i32_e64 s3, s7, v5
	v_ashrrev_i32_e32 v5, 31, v4
	s_delay_alu instid0(VALU_DEP_3) | instskip(NEXT) | instid1(VALU_DEP_3)
	v_cmp_gt_i32_e64 s4, s7, v19
	v_dual_cndmask_b32 v17, v9, v15, s3 :: v_dual_cndmask_b32 v16, v8, v14, s3
	s_delay_alu instid0(VALU_DEP_3) | instskip(SKIP_1) | instid1(VALU_DEP_1)
	v_lshl_add_u64 v[4:5], v[4:5], 2, s[20:21]
	v_add_nc_u64_e32 v[14:15], 0x80, v[14:15]
	v_dual_cndmask_b32 v10, v8, v10, vcc_lo :: v_dual_cndmask_b32 v15, v9, v15, s3
	s_delay_alu instid0(VALU_DEP_2)
	v_cndmask_b32_e64 v14, v8, v14, s3
	s_cselect_b32 s3, -1, 0
	s_wait_loadcnt_dscnt 0x0
	ds_store_b128 v18, v[20:23] offset:2304
	flat_load_b128 v[20:23], v[16:17]
	s_wait_xcnt 0x0
	v_add_nc_u64_e32 v[16:17], v[4:5], v[6:7]
	s_clause 0x1
	scratch_store_b32 off, v7, off
	scratch_store_b96 off, v[0:2], off offset:4
	v_dual_cndmask_b32 v5, v9, v17, s4 :: v_dual_cndmask_b32 v4, v8, v16, s4
	s_wait_loadcnt_dscnt 0x0
	ds_store_b128 v18, v[20:23] offset:4608
	flat_load_b128 v[20:23], v[4:5]
	s_wait_xcnt 0x0
	v_dual_mov_b32 v4, v7 :: v_dual_mov_b32 v5, v7
	s_wait_loadcnt_dscnt 0x0
	ds_store_b128 v18, v[20:23] offset:6912
	s_wait_storecnt_dscnt 0x0
	s_barrier_signal -1
	s_barrier_wait -1
	ds_load_b128 v[20:23], v56
	ds_load_b128 v[24:27], v55
	ds_load_b128 v[32:35], v56 offset:4608
	s_wait_dscnt 0x1
	;;#ASMSTART
	v_dot2_f32_f16 v4, v20, v24, v4
	;;#ASMEND
	;;#ASMSTART
	v_dot2_f32_f16 v4, v21, v25, v4
	;;#ASMEND
	;;#ASMSTART
	v_dot2_f32_f16 v4, v22, v26, v4
	;;#ASMEND
	;;#ASMSTART
	v_dot2_f32_f16 v4, v23, v27, v4
	;;#ASMEND
	s_wait_dscnt 0x0
	;;#ASMSTART
	v_dot2_f32_f16 v5, v32, v24, v5
	;;#ASMEND
	;;#ASMSTART
	v_dot2_f32_f16 v5, v33, v25, v5
	;;#ASMEND
	;;#ASMSTART
	v_dot2_f32_f16 v5, v34, v26, v5
	;;#ASMEND
	;;#ASMSTART
	v_dot2_f32_f16 v5, v35, v27, v5
	;;#ASMEND
	ds_load_b128 v[20:23], v56 offset:16
	ds_load_b128 v[24:27], v55 offset:16
	ds_load_b128 v[32:35], v56 offset:4624
	s_wait_dscnt 0x1
	;;#ASMSTART
	v_dot2_f32_f16 v4, v20, v24, v4
	;;#ASMEND
	;;#ASMSTART
	v_dot2_f32_f16 v4, v21, v25, v4
	;;#ASMEND
	;;#ASMSTART
	v_dot2_f32_f16 v4, v22, v26, v4
	;;#ASMEND
	;;#ASMSTART
	v_dot2_f32_f16 v4, v23, v27, v4
	;;#ASMEND
	s_wait_dscnt 0x0
	;;#ASMSTART
	v_dot2_f32_f16 v5, v32, v24, v5
	;;#ASMEND
	;;#ASMSTART
	v_dot2_f32_f16 v5, v33, v25, v5
	;;#ASMEND
	;;#ASMSTART
	v_dot2_f32_f16 v5, v34, v26, v5
	;;#ASMEND
	;;#ASMSTART
	v_dot2_f32_f16 v5, v35, v27, v5
	;;#ASMEND
	ds_load_b128 v[20:23], v56 offset:32
	ds_load_b128 v[24:27], v55 offset:32
	;; [unrolled: 29-line block ×7, first 2 shown]
	ds_load_b128 v[32:35], v56 offset:4720
	s_wait_dscnt 0x1
	;;#ASMSTART
	v_dot2_f32_f16 v4, v20, v24, v4
	;;#ASMEND
	;;#ASMSTART
	v_dot2_f32_f16 v4, v21, v25, v4
	;;#ASMEND
	;; [unrolled: 3-line block ×4, first 2 shown]
	s_wait_dscnt 0x0
	;;#ASMSTART
	v_dot2_f32_f16 v5, v32, v24, v5
	;;#ASMEND
	;;#ASMSTART
	v_dot2_f32_f16 v5, v33, v25, v5
	;;#ASMEND
	;; [unrolled: 3-line block ×4, first 2 shown]
	s_barrier_signal -1
	s_barrier_wait -1
	s_clause 0x1
	scratch_store_b32 off, v7, off
	scratch_store_b96 off, v[0:2], off offset:4
	flat_load_b128 v[20:23], v[12:13]
	s_clause 0x1
	scratch_store_b32 off, v7, off
	scratch_store_b96 off, v[0:2], off offset:4
	s_wait_loadcnt_dscnt 0x0
	ds_store_b128 v18, v[20:23]
	flat_load_b128 v[10:13], v[10:11]
	s_clause 0x1
	scratch_store_b32 off, v7, off
	scratch_store_b96 off, v[0:2], off offset:4
	s_wait_loadcnt_dscnt 0x0
	ds_store_b128 v18, v[10:13] offset:2304
	flat_load_b128 v[10:13], v[14:15]
	s_wait_xcnt 0x0
	v_add_nc_u64_e32 v[14:15], 0x80, v[16:17]
	s_clause 0x1
	scratch_store_b32 off, v7, off
	scratch_store_b96 off, v[0:2], off offset:4
	s_wait_xcnt 0x0
	v_mad_u32 v0, v86, s35, s14
	v_mov_b32_e32 v2, v88
	v_cndmask_b32_e64 v1, 0, 1, s3
	v_dual_cndmask_b32 v9, v9, v15, s4 :: v_dual_cndmask_b32 v8, v8, v14, s4
	s_wait_loadcnt_dscnt 0x0
	ds_store_b128 v18, v[10:13] offset:4608
	flat_load_b128 v[8:11], v[8:9]
	s_wait_loadcnt_dscnt 0x0
	ds_store_b128 v18, v[8:11] offset:6912
	s_wait_storecnt_dscnt 0x0
	s_barrier_signal -1
	s_barrier_wait -1
	s_wait_xcnt 0x0
	ds_load_b128 v[8:11], v56
	ds_load_b128 v[12:15], v55 offset:128
	ds_load_b128 v[16:19], v56 offset:4608
	s_wait_dscnt 0x1
	;;#ASMSTART
	v_dot2_f32_f16 v4, v8, v12, v4
	;;#ASMEND
	;;#ASMSTART
	v_dot2_f32_f16 v4, v9, v13, v4
	;;#ASMEND
	;;#ASMSTART
	v_dot2_f32_f16 v4, v10, v14, v4
	;;#ASMEND
	;;#ASMSTART
	v_dot2_f32_f16 v4, v11, v15, v4
	;;#ASMEND
	s_wait_dscnt 0x0
	;;#ASMSTART
	v_dot2_f32_f16 v5, v16, v12, v5
	;;#ASMEND
	;;#ASMSTART
	v_dot2_f32_f16 v5, v17, v13, v5
	;;#ASMEND
	;;#ASMSTART
	v_dot2_f32_f16 v5, v18, v14, v5
	;;#ASMEND
	;;#ASMSTART
	v_dot2_f32_f16 v5, v19, v15, v5
	;;#ASMEND
	ds_load_b128 v[8:11], v56 offset:16
	ds_load_b128 v[12:15], v55 offset:144
	ds_load_b128 v[16:19], v56 offset:4624
	s_wait_dscnt 0x1
	;;#ASMSTART
	v_dot2_f32_f16 v4, v8, v12, v4
	;;#ASMEND
	;;#ASMSTART
	v_dot2_f32_f16 v4, v9, v13, v4
	;;#ASMEND
	;;#ASMSTART
	v_dot2_f32_f16 v4, v10, v14, v4
	;;#ASMEND
	;;#ASMSTART
	v_dot2_f32_f16 v4, v11, v15, v4
	;;#ASMEND
	s_wait_dscnt 0x0
	;;#ASMSTART
	v_dot2_f32_f16 v5, v16, v12, v5
	;;#ASMEND
	;;#ASMSTART
	v_dot2_f32_f16 v5, v17, v13, v5
	;;#ASMEND
	;;#ASMSTART
	v_dot2_f32_f16 v5, v18, v14, v5
	;;#ASMEND
	;;#ASMSTART
	v_dot2_f32_f16 v5, v19, v15, v5
	;;#ASMEND
	ds_load_b128 v[8:11], v56 offset:32
	;; [unrolled: 29-line block ×7, first 2 shown]
	ds_load_b128 v[12:15], v55 offset:240
	ds_load_b128 v[16:19], v56 offset:4720
	s_wait_dscnt 0x1
	;;#ASMSTART
	v_dot2_f32_f16 v4, v8, v12, v4
	;;#ASMEND
	;;#ASMSTART
	v_dot2_f32_f16 v4, v9, v13, v4
	;;#ASMEND
	;; [unrolled: 3-line block ×4, first 2 shown]
	s_wait_dscnt 0x0
	;;#ASMSTART
	v_dot2_f32_f16 v5, v16, v12, v5
	;;#ASMEND
	;;#ASMSTART
	v_dot2_f32_f16 v5, v17, v13, v5
	;;#ASMEND
	;; [unrolled: 3-line block ×4, first 2 shown]
	v_cmpx_gt_i32_e64 s7, v84
	s_cbranch_execz .LBB65_24
; %bb.21:
	s_and_not1_b32 vcc_lo, exec_lo, s3
	s_cbranch_vccnz .LBB65_23
; %bb.22:
	v_add_nc_u32_e32 v2, v0, v84
	global_load_u16 v2, v2, s[30:31] scale_offset
	s_wait_loadcnt 0x0
	v_cvt_f32_f16_e32 v2, v2
	s_delay_alu instid0(VALU_DEP_1)
	v_mul_f32_e32 v7, v31, v2
.LBB65_23:
	v_max_num_f32_e32 v6, v88, v88
	s_delay_alu instid0(VALU_DEP_2) | instskip(NEXT) | instid1(VALU_DEP_1)
	v_add_f32_e32 v4, v4, v7
	v_add_f32_e32 v2, 0x40051340, v4
	s_delay_alu instid0(VALU_DEP_1)
	v_max_num_f32_e32 v2, v6, v2
.LBB65_24:
	s_or_b32 exec_lo, exec_lo, s2
	v_add_nc_u32_e32 v7, 32, v84
	s_mov_b32 s2, exec_lo
	s_delay_alu instid0(VALU_DEP_1)
	v_cmpx_gt_i32_e64 s7, v7
	s_cbranch_execz .LBB65_29
; %bb.25:
	v_cmp_ne_u32_e32 vcc_lo, 1, v1
	s_cbranch_vccnz .LBB65_27
; %bb.26:
	v_dual_ashrrev_i32 v1, 31, v0 :: v_dual_mov_b32 v85, 0
	s_delay_alu instid0(VALU_DEP_1) | instskip(NEXT) | instid1(VALU_DEP_1)
	v_add_nc_u64_e32 v[0:1], v[0:1], v[84:85]
	v_lshl_add_u64 v[0:1], v[0:1], 1, s[30:31]
	global_load_u16 v0, v[0:1], off offset:64
	s_wait_loadcnt 0x0
	v_cvt_f32_f16_e32 v0, v0
	s_delay_alu instid0(VALU_DEP_1)
	v_mul_f32_e32 v0, v31, v0
	s_branch .LBB65_28
.LBB65_27:
	v_mov_b32_e32 v0, 0
.LBB65_28:
	s_delay_alu instid0(VALU_DEP_1) | instskip(NEXT) | instid1(VALU_DEP_1)
	v_dual_add_f32 v5, v5, v0 :: v_dual_max_num_f32 v1, v2, v2
	v_add_f32_e32 v0, 0x40051340, v5
	s_delay_alu instid0(VALU_DEP_1)
	v_max_num_f32_e32 v2, v1, v0
.LBB65_29:
	s_or_b32 exec_lo, exec_lo, s2
	v_xor_b32_e32 v105, 16, v89
	v_xor_b32_e32 v106, 4, v89
	v_xor_b32_e32 v108, 1, v89
	v_xor_b32_e32 v107, 2, v89
	v_lshl_add_u32 v6, v29, 1, v54
	v_cmp_gt_i32_e32 vcc_lo, 32, v105
	s_mov_b32 s4, 0
	s_ashr_i32 s11, s10, 31
	s_mov_b32 s5, s4
	s_mov_b32 s6, s4
	v_dual_cndmask_b32 v0, v89, v105 :: v_dual_max_num_f32 v1, v2, v2
	s_mul_u64 s[2:3], s[14:15], s[10:11]
	s_delay_alu instid0(SALU_CYCLE_1) | instskip(NEXT) | instid1(VALU_DEP_1)
	s_lshl_b64 s[2:3], s[2:3], 2
	v_lshlrev_b32_e32 v0, 2, v0
	s_add_nc_u64 s[2:3], s[8:9], s[2:3]
	s_barrier_signal -1
	s_barrier_wait -1
	ds_bpermute_b32 v0, v0, v2
	v_xor_b32_e32 v85, 8, v89
	v_add_nc_u32_e32 v113, 0x1000, v102
	v_lshlrev_b32_e32 v12, 1, v84
	v_dual_mov_b32 v91, 0 :: v_dual_lshlrev_b32 v90, 2, v28
	v_dual_mov_b32 v42, s6 :: v_dual_mov_b32 v41, s5
	v_add_nc_u32_e32 v116, 16, v6
	s_delay_alu instid0(VALU_DEP_3) | instskip(SKIP_1) | instid1(VALU_DEP_3)
	v_lshl_or_b32 v115, v6, 8, v90
	v_add_nc_u32_e32 v118, 24, v6
	v_lshl_or_b32 v117, v116, 8, v90
	s_delay_alu instid0(VALU_DEP_2) | instskip(SKIP_3) | instid1(VALU_DEP_2)
	v_lshl_or_b32 v120, v118, 8, v90
	s_wait_dscnt 0x0
	v_max_num_f32_e32 v0, v0, v0
	v_cmp_gt_i32_e32 vcc_lo, 32, v85
	v_max_num_f32_e32 v0, v1, v0
	v_cndmask_b32_e32 v2, v89, v85, vcc_lo
	v_cmp_gt_i32_e32 vcc_lo, 32, v106
	s_delay_alu instid0(VALU_DEP_2)
	v_lshlrev_b32_e32 v2, 2, v2
	ds_bpermute_b32 v1, v2, v0
	s_wait_dscnt 0x0
	v_max_num_f32_e32 v1, v1, v1
	v_cndmask_b32_e32 v2, v89, v106, vcc_lo
	v_cmp_gt_i32_e32 vcc_lo, 32, v107
	s_delay_alu instid0(VALU_DEP_2)
	v_dual_max_num_f32 v0, v0, v1 :: v_dual_lshlrev_b32 v2, 2, v2
	ds_bpermute_b32 v1, v2, v0
	s_wait_dscnt 0x0
	v_max_num_f32_e32 v1, v1, v1
	v_cndmask_b32_e32 v2, v89, v107, vcc_lo
	v_cmp_gt_i32_e32 vcc_lo, 32, v108
	s_delay_alu instid0(VALU_DEP_2) | instskip(SKIP_3) | instid1(VALU_DEP_1)
	v_dual_max_num_f32 v0, v0, v1 :: v_dual_lshlrev_b32 v2, 2, v2
	ds_bpermute_b32 v1, v2, v0
	v_cndmask_b32_e32 v2, v89, v108, vcc_lo
	s_wait_dscnt 0x0
	v_dual_max_num_f32 v1, v1, v1 :: v_dual_lshlrev_b32 v2, 2, v2
	s_delay_alu instid0(VALU_DEP_1) | instskip(SKIP_2) | instid1(VALU_DEP_1)
	v_max_num_f32_e32 v0, v0, v1
	ds_bpermute_b32 v1, v2, v0
	v_mov_b32_e32 v2, 0
	v_add_nc_u64_e32 v[92:93], src_flat_scratch_base_lo, v[2:3]
	s_wait_dscnt 0x0
	v_max_num_f32_e32 v1, v1, v1
	s_delay_alu instid0(VALU_DEP_1) | instskip(SKIP_1) | instid1(VALU_DEP_2)
	v_max_num_f32_e32 v86, v0, v1
	v_mul_lo_u32 v0, s10, v6
	v_sub_f32_e32 v10, v4, v86
	s_delay_alu instid0(VALU_DEP_1) | instskip(SKIP_3) | instid1(VALU_DEP_4)
	v_mul_f32_e32 v1, 0x3fb8aa3b, v10
	v_dual_sub_f32 v11, v5, v86 :: v_dual_lshlrev_b32 v109, 7, v29
	v_cmp_ngt_f32_e32 vcc_lo, 0xc2ce8ed0, v10
	v_sub_f32_e32 v88, v88, v86
	v_fma_f32 v5, 0x3fb8aa3b, v10, -v1
	s_delay_alu instid0(VALU_DEP_4) | instskip(SKIP_1) | instid1(VALU_DEP_2)
	v_mul_f32_e32 v4, 0x3fb8aa3b, v11
	v_rndne_f32_e32 v8, v1
	v_fma_f32 v9, 0x3fb8aa3b, v11, -v4
	v_rndne_f32_e32 v13, v4
	v_fmac_f32_e32 v5, 0x32a5705f, v10
	s_delay_alu instid0(VALU_DEP_4) | instskip(SKIP_1) | instid1(VALU_DEP_4)
	v_sub_f32_e32 v1, v1, v8
	v_cvt_i32_f32_e32 v8, v8
	v_dual_fmac_f32 v9, 0x32a5705f, v11 :: v_dual_sub_f32 v4, v4, v13
	s_delay_alu instid0(VALU_DEP_3) | instskip(NEXT) | instid1(VALU_DEP_2)
	v_dual_add_f32 v5, v1, v5 :: v_dual_ashrrev_i32 v1, 31, v0
	v_add_f32_e32 v4, v4, v9
	s_delay_alu instid0(VALU_DEP_2) | instskip(NEXT) | instid1(VALU_DEP_1)
	v_exp_f32_e32 v9, v5
	v_exp_f32_e32 v14, v4
	v_nop
	v_lshlrev_b64_e32 v[4:5], 2, v[0:1]
	v_cvt_i32_f32_e32 v1, v13
	s_delay_alu instid0(TRANS32_DEP_2) | instskip(SKIP_2) | instid1(VALU_DEP_3)
	v_ldexp_f32 v13, v9, v8
	v_mov_b32_e32 v40, s4
	s_lshl_b32 s4, s10, 3
	v_ldexp_f32 v1, v14, v1
	v_add_nc_u64_e32 v[8:9], s[2:3], v[4:5]
	v_cndmask_b32_e32 v13, 0, v13, vcc_lo
	v_cmp_ngt_f32_e32 vcc_lo, 0xc2ce8ed0, v11
	s_clause 0x1
	scratch_store_b32 off, v91, off
	scratch_store_b96 off, v[40:42], off offset:4
	v_cndmask_b32_e32 v1, 0, v1, vcc_lo
	v_cmp_nlt_f32_e32 vcc_lo, 0x42b17218, v10
	v_add_nc_u64_e32 v[2:3], v[8:9], v[90:91]
	v_cndmask_b32_e32 v10, 0x7f800000, v13, vcc_lo
	v_cmp_nlt_f32_e32 vcc_lo, 0x42b17218, v11
	v_cndmask_b32_e32 v1, 0x7f800000, v1, vcc_lo
	v_cmp_gt_u32_e32 vcc_lo, s7, v84
	s_delay_alu instid0(VALU_DEP_4) | instskip(SKIP_1) | instid1(VALU_DEP_2)
	v_cndmask_b32_e32 v110, 0, v10, vcc_lo
	v_cmp_gt_u32_e32 vcc_lo, s7, v7
	v_cvt_f16_f32_e32 v7, v110
	v_cndmask_b32_e32 v111, 0, v1, vcc_lo
	v_cmp_gt_i32_e32 vcc_lo, s7, v6
	v_add3_u32 v1, 0x2800, v109, v12
	v_dual_add_nc_u32 v12, s4, v0 :: v_dual_cndmask_b32 v2, v92, v2, vcc_lo
	v_cndmask_b32_e32 v3, v93, v3, vcc_lo
	v_cvt_f16_f32_e32 v8, v111
	ds_store_b16 v1, v7
	ds_store_b16 v1, v8 offset:64
	flat_load_b128 v[8:11], v[2:3]
	v_ashrrev_i32_e32 v13, 31, v12
	s_clause 0x1
	scratch_store_b32 off, v91, off
	scratch_store_b96 off, v[40:42], off offset:4
	v_lshlrev_b64_e32 v[94:95], 2, v[12:13]
	s_delay_alu instid0(VALU_DEP_1) | instskip(NEXT) | instid1(VALU_DEP_1)
	v_add_nc_u64_e32 v[0:1], s[2:3], v[94:95]
	v_add_nc_u64_e32 v[0:1], v[0:1], v[90:91]
	v_add_nc_u32_e32 v43, 8, v6
	s_delay_alu instid0(VALU_DEP_1) | instskip(NEXT) | instid1(VALU_DEP_3)
	v_cmp_gt_i32_e32 vcc_lo, s7, v43
	v_cndmask_b32_e32 v1, v93, v1, vcc_lo
	v_lshl_or_b32 v114, v43, 8, v90
	s_wait_loadcnt_dscnt 0x0
	ds_store_b128 v115, v[8:11]
	v_add_nc_u32_e32 v8, s4, v12
	s_delay_alu instid0(VALU_DEP_1) | instskip(NEXT) | instid1(VALU_DEP_1)
	v_ashrrev_i32_e32 v9, 31, v8
	v_lshlrev_b64_e32 v[96:97], 2, v[8:9]
	s_delay_alu instid0(VALU_DEP_1) | instskip(NEXT) | instid1(VALU_DEP_1)
	v_add_nc_u64_e32 v[10:11], s[2:3], v[96:97]
	v_add_nc_u64_e32 v[10:11], v[10:11], v[90:91]
	v_cndmask_b32_e32 v0, v92, v0, vcc_lo
	v_cmp_gt_i32_e32 vcc_lo, s7, v116
	s_delay_alu instid0(VALU_DEP_3)
	v_cndmask_b32_e32 v11, v93, v11, vcc_lo
	flat_load_b128 v[0:3], v[0:1]
	v_cndmask_b32_e32 v10, v92, v10, vcc_lo
	s_clause 0x1
	scratch_store_b32 off, v91, off
	scratch_store_b96 off, v[40:42], off offset:4
	v_add_nc_u32_e32 v8, s4, v8
	v_cmp_gt_i32_e32 vcc_lo, s7, v118
	s_sub_co_i32 s4, s7, 32
	s_delay_alu instid0(VALU_DEP_2) | instskip(NEXT) | instid1(VALU_DEP_1)
	v_ashrrev_i32_e32 v9, 31, v8
	v_lshlrev_b64_e32 v[98:99], 2, v[8:9]
	s_delay_alu instid0(VALU_DEP_1) | instskip(SKIP_1) | instid1(SALU_CYCLE_1)
	v_add_nc_u64_e32 v[8:9], s[2:3], v[98:99]
	s_or_b32 s2, s14, 32
	s_ashr_i32 s3, s2, 31
	s_delay_alu instid0(SALU_CYCLE_1) | instskip(NEXT) | instid1(VALU_DEP_1)
	s_mul_u64 s[2:3], s[2:3], s[10:11]
	v_add_nc_u64_e32 v[8:9], v[8:9], v[90:91]
	s_lshl_b64 s[2:3], s[2:3], 2
	s_delay_alu instid0(SALU_CYCLE_1) | instskip(NEXT) | instid1(SALU_CYCLE_1)
	s_add_nc_u64 s[2:3], s[8:9], s[2:3]
	v_add_nc_u64_e32 v[4:5], s[2:3], v[4:5]
	v_add_nc_u64_e32 v[94:95], s[2:3], v[94:95]
	s_delay_alu instid0(VALU_DEP_3)
	v_dual_cndmask_b32 v9, v93, v9 :: v_dual_cndmask_b32 v8, v92, v8
	v_cmp_gt_i32_e32 vcc_lo, s4, v6
	v_add_nc_u64_e32 v[98:99], s[2:3], v[98:99]
	v_add_nc_u64_e32 v[4:5], v[4:5], v[90:91]
	v_add_nc_u32_e32 v119, 0x800, v102
	v_add_nc_u32_e32 v112, 0x1800, v102
	v_add_nc_u64_e32 v[94:95], v[94:95], v[90:91]
	v_add_nc_u64_e32 v[98:99], v[98:99], v[90:91]
	v_dual_cndmask_b32 v123, v93, v5 :: v_dual_cndmask_b32 v122, v92, v4
	v_cmp_gt_i32_e32 vcc_lo, s4, v43
	s_delay_alu instid0(VALU_DEP_4)
	v_dual_cndmask_b32 v95, v93, v95 :: v_dual_cndmask_b32 v94, v92, v94
	v_cmp_gt_i32_e32 vcc_lo, s4, v116
	s_wait_loadcnt_dscnt 0x0
	ds_store_b128 v114, v[0:3]
	flat_load_b128 v[0:3], v[10:11]
	s_clause 0x1
	scratch_store_b32 off, v91, off
	scratch_store_b96 off, v[40:42], off offset:4
	s_wait_loadcnt_dscnt 0x0
	ds_store_b128 v117, v[0:3]
	flat_load_b128 v[0:3], v[8:9]
	s_wait_loadcnt_dscnt 0x0
	ds_store_b128 v120, v[0:3]
	s_wait_storecnt_dscnt 0x0
	s_barrier_signal -1
	s_barrier_wait -1
	ds_load_2addr_b64 v[76:79], v102 offset1:32
	ds_load_b128 v[64:67], v109 offset:10240
	ds_load_b128 v[24:27], v109 offset:10256
	ds_load_2addr_b64 v[80:83], v102 offset0:64 offset1:96
	ds_load_b128 v[16:19], v109 offset:10272
	ds_load_b128 v[4:7], v109 offset:10288
	ds_load_2addr_b64 v[72:75], v102 offset0:128 offset1:160
	ds_load_2addr_b64 v[52:55], v102 offset0:192 offset1:224
	ds_load_2addr_b64 v[68:71], v119 offset1:32
	ds_load_2addr_b64 v[60:63], v119 offset0:64 offset1:96
	ds_load_2addr_b64 v[56:59], v119 offset0:128 offset1:160
	ds_load_2addr_b64 v[48:51], v119 offset0:192 offset1:224
	ds_load_2addr_b64 v[44:47], v113 offset1:32
	ds_load_2addr_b64 v[36:39], v113 offset0:64 offset1:96
	;; [unrolled: 4-line block ×3, first 2 shown]
	s_wait_xcnt 0x0
	ds_load_2addr_b64 v[8:11], v112 offset0:128 offset1:160
	ds_load_2addr_b64 v[0:3], v112 offset0:192 offset1:224
	s_wait_dscnt 0x0
	s_barrier_signal -1
	s_barrier_wait -1
	s_clause 0x1
	scratch_store_b32 off, v91, off
	scratch_store_b96 off, v[40:42], off offset:4
	flat_load_b128 v[122:125], v[122:123]
	s_wait_loadcnt_dscnt 0x0
	ds_store_b128 v115, v[122:125]
	s_clause 0x1
	scratch_store_b32 off, v91, off
	scratch_store_b96 off, v[40:42], off offset:4
	flat_load_b128 v[122:125], v[94:95]
	s_wait_xcnt 0x0
	v_add_nc_u64_e32 v[94:95], s[2:3], v[96:97]
	s_clause 0x1
	scratch_store_b32 off, v91, off
	scratch_store_b96 off, v[40:42], off offset:4
	v_add_nc_u64_e32 v[94:95], v[94:95], v[90:91]
	s_delay_alu instid0(VALU_DEP_1) | instskip(NEXT) | instid1(VALU_DEP_2)
	v_dual_mul_f32 v90, 0x3fb8aa3b, v88 :: v_dual_cndmask_b32 v95, v93, v95
	v_cndmask_b32_e32 v94, v92, v94, vcc_lo
	v_cmp_gt_i32_e32 vcc_lo, s4, v118
	v_dual_cndmask_b32 v93, v93, v99 :: v_dual_cndmask_b32 v92, v92, v98
	s_wait_loadcnt_dscnt 0x0
	ds_store_b128 v114, v[122:125]
	flat_load_b128 v[94:97], v[94:95]
	s_clause 0x1
	scratch_store_b96 off, v[40:42], off offset:4
	scratch_store_b32 off, v91, off
	s_wait_xcnt 0x0
	v_fma_f32 v91, 0x3fb8aa3b, v88, -v90
	s_delay_alu instid0(VALU_DEP_1)
	v_fmac_f32_e32 v91, 0x32a5705f, v88
	s_wait_loadcnt_dscnt 0x0
	ds_store_b128 v117, v[94:97]
	flat_load_b128 v[40:43], v[92:93]
	s_wait_xcnt 0x0
	v_rndne_f32_e32 v92, v90
	s_delay_alu instid0(VALU_DEP_1) | instskip(NEXT) | instid1(VALU_DEP_1)
	v_sub_f32_e32 v90, v90, v92
	v_add_f32_e32 v90, v90, v91
	v_cvt_i32_f32_e32 v91, v92
	v_cmp_ngt_f32_e32 vcc_lo, 0xc2ce8ed0, v88
	v_and_b32_e32 v92, 0xffff, v65
	v_lshrrev_b32_e32 v65, 16, v65
	v_exp_f32_e32 v90, v90
	s_delay_alu instid0(VALU_DEP_1) | instskip(NEXT) | instid1(TRANS32_DEP_1)
	v_mul_u32_u24_e32 v65, 0x10001, v65
	v_ldexp_f32 v90, v90, v91
	v_and_b32_e32 v91, 0xffff, v64
	s_delay_alu instid0(VALU_DEP_2) | instskip(SKIP_1) | instid1(VALU_DEP_3)
	v_dual_lshrrev_b32 v64, 16, v64 :: v_dual_cndmask_b32 v90, 0, v90, vcc_lo
	v_cmp_nlt_f32_e32 vcc_lo, 0x42b17218, v88
	v_mul_u32_u24_e32 v91, 0x10001, v91
	s_delay_alu instid0(VALU_DEP_3) | instskip(NEXT) | instid1(VALU_DEP_4)
	v_mul_u32_u24_e32 v64, 0x10001, v64
	v_cndmask_b32_e32 v88, 0x7f800000, v90, vcc_lo
	s_delay_alu instid0(VALU_DEP_3) | instskip(SKIP_2) | instid1(VALU_DEP_4)
	v_pk_mul_f16 v76, v76, v91
	v_pk_mul_f16 v77, v77, v91
	v_mul_u32_u24_e32 v91, 0x10001, v92
	v_cvt_f16_f32_e32 v90, v88
	s_delay_alu instid0(VALU_DEP_1) | instskip(NEXT) | instid1(VALU_DEP_1)
	v_and_b32_e32 v90, 0xffff, v90
	v_mul_u32_u24_e32 v90, 0x10001, v90
	s_delay_alu instid0(VALU_DEP_1) | instskip(SKIP_1) | instid1(VALU_DEP_2)
	v_pk_fma_f16 v76, v104, v90, v76
	v_pk_fma_f16 v77, v103, v90, v77
	;; [unrolled: 1-line block ×3, first 2 shown]
	s_delay_alu instid0(VALU_DEP_2) | instskip(SKIP_2) | instid1(VALU_DEP_4)
	v_pk_fma_f16 v64, v79, v64, v77
	v_and_b32_e32 v78, 0xffff, v66
	v_lshrrev_b32_e32 v66, 16, v66
	v_pk_fma_f16 v76, v80, v91, v76
	s_delay_alu instid0(VALU_DEP_4) | instskip(NEXT) | instid1(VALU_DEP_4)
	v_pk_fma_f16 v64, v81, v91, v64
	v_mul_u32_u24_e32 v77, 0x10001, v78
	v_and_b32_e32 v78, 0xffff, v67
	v_mul_u32_u24_e32 v66, 0x10001, v66
	v_pk_fma_f16 v76, v82, v65, v76
	v_pk_fma_f16 v64, v83, v65, v64
	v_lshrrev_b32_e32 v67, 16, v67
	s_delay_alu instid0(VALU_DEP_3) | instskip(NEXT) | instid1(VALU_DEP_3)
	v_pk_fma_f16 v65, v72, v77, v76
	v_pk_fma_f16 v64, v73, v77, v64
	v_mul_u32_u24_e32 v72, 0x10001, v78
	v_and_b32_e32 v73, 0xffff, v24
	v_mul_u32_u24_e32 v67, 0x10001, v67
	v_pk_fma_f16 v65, v74, v66, v65
	v_pk_fma_f16 v64, v75, v66, v64
	v_lshrrev_b32_e32 v24, 16, v24
	s_delay_alu instid0(VALU_DEP_3) | instskip(NEXT) | instid1(VALU_DEP_3)
	v_pk_fma_f16 v52, v52, v72, v65
	v_pk_fma_f16 v53, v53, v72, v64
	v_mul_u32_u24_e32 v65, 0x10001, v73
	s_delay_alu instid0(VALU_DEP_3) | instskip(NEXT) | instid1(VALU_DEP_3)
	v_pk_fma_f16 v52, v54, v67, v52
	v_pk_fma_f16 v53, v55, v67, v53
	v_and_b32_e32 v54, 0xffff, v25
	v_lshrrev_b32_e32 v25, 16, v25
	v_mul_u32_u24_e32 v24, 0x10001, v24
	v_pk_fma_f16 v52, v68, v65, v52
	v_pk_fma_f16 v53, v69, v65, v53
	v_mul_u32_u24_e32 v54, 0x10001, v54
	v_and_b32_e32 v55, 0xffff, v26
	v_mul_u32_u24_e32 v25, 0x10001, v25
	v_pk_fma_f16 v52, v70, v24, v52
	v_pk_fma_f16 v24, v71, v24, v53
	v_lshrrev_b32_e32 v26, 16, v26
	v_mul_u32_u24_e32 v53, 0x10001, v55
	s_delay_alu instid0(VALU_DEP_4) | instskip(NEXT) | instid1(VALU_DEP_4)
	v_pk_fma_f16 v52, v60, v54, v52
	v_pk_fma_f16 v24, v61, v54, v24
	v_and_b32_e32 v54, 0xffff, v27
	v_lshrrev_b32_e32 v27, 16, v27
	v_mul_u32_u24_e32 v26, 0x10001, v26
	v_pk_fma_f16 v52, v62, v25, v52
	v_pk_fma_f16 v24, v63, v25, v24
	s_delay_alu instid0(VALU_DEP_4) | instskip(NEXT) | instid1(VALU_DEP_3)
	v_mul_u32_u24_e32 v27, 0x10001, v27
	v_pk_fma_f16 v25, v56, v53, v52
	s_delay_alu instid0(VALU_DEP_3)
	v_pk_fma_f16 v24, v57, v53, v24
	v_mul_u32_u24_e32 v52, 0x10001, v54
	v_and_b32_e32 v53, 0xffff, v16
	v_lshrrev_b32_e32 v16, 16, v16
	v_pk_fma_f16 v25, v58, v26, v25
	v_pk_fma_f16 v24, v59, v26, v24
	s_delay_alu instid0(VALU_DEP_4) | instskip(NEXT) | instid1(VALU_DEP_3)
	v_mul_u32_u24_e32 v26, 0x10001, v53
	v_pk_fma_f16 v25, v48, v52, v25
	s_delay_alu instid0(VALU_DEP_3)
	v_pk_fma_f16 v24, v49, v52, v24
	v_and_b32_e32 v48, 0xffff, v17
	v_lshrrev_b32_e32 v17, 16, v17
	v_mul_u32_u24_e32 v16, 0x10001, v16
	v_pk_fma_f16 v25, v50, v27, v25
	v_pk_fma_f16 v24, v51, v27, v24
	v_mul_u32_u24_e32 v27, 0x10001, v48
	v_mul_u32_u24_e32 v17, 0x10001, v17
	s_delay_alu instid0(VALU_DEP_4) | instskip(NEXT) | instid1(VALU_DEP_4)
	v_pk_fma_f16 v25, v44, v26, v25
	v_pk_fma_f16 v24, v45, v26, v24
	v_and_b32_e32 v26, 0xffff, v18
	v_lshrrev_b32_e32 v18, 16, v18
	s_delay_alu instid0(VALU_DEP_4) | instskip(NEXT) | instid1(VALU_DEP_4)
	v_pk_fma_f16 v25, v46, v16, v25
	v_pk_fma_f16 v16, v47, v16, v24
	s_delay_alu instid0(VALU_DEP_2) | instskip(NEXT) | instid1(VALU_DEP_2)
	v_pk_fma_f16 v24, v36, v27, v25
	v_pk_fma_f16 v16, v37, v27, v16
	v_mul_u32_u24_e32 v25, 0x10001, v26
	v_and_b32_e32 v26, 0xffff, v19
	v_lshrrev_b32_e32 v19, 16, v19
	v_pk_fma_f16 v24, v38, v17, v24
	v_pk_fma_f16 v16, v39, v17, v16
	v_mul_u32_u24_e32 v18, 0x10001, v18
	s_delay_alu instid0(VALU_DEP_4) | instskip(NEXT) | instid1(VALU_DEP_4)
	v_mul_u32_u24_e32 v19, 0x10001, v19
	v_pk_fma_f16 v17, v32, v25, v24
	s_delay_alu instid0(VALU_DEP_4)
	v_pk_fma_f16 v16, v33, v25, v16
	v_mul_u32_u24_e32 v24, 0x10001, v26
	v_and_b32_e32 v25, 0xffff, v4
	v_lshrrev_b32_e32 v4, 16, v4
	v_pk_fma_f16 v17, v34, v18, v17
	v_pk_fma_f16 v16, v35, v18, v16
	s_delay_alu instid0(VALU_DEP_4) | instskip(NEXT) | instid1(VALU_DEP_3)
	v_mul_u32_u24_e32 v18, 0x10001, v25
	v_pk_fma_f16 v17, v28, v24, v17
	s_delay_alu instid0(VALU_DEP_3)
	v_pk_fma_f16 v16, v29, v24, v16
	v_and_b32_e32 v24, 0xffff, v5
	v_lshrrev_b32_e32 v5, 16, v5
	v_mul_u32_u24_e32 v4, 0x10001, v4
	v_pk_fma_f16 v17, v30, v19, v17
	v_pk_fma_f16 v16, v31, v19, v16
	v_and_b32_e32 v19, 0xffff, v6
	v_mul_u32_u24_e32 v5, 0x10001, v5
	v_lshrrev_b32_e32 v6, 16, v6
	v_pk_fma_f16 v17, v20, v18, v17
	v_pk_fma_f16 v16, v21, v18, v16
	v_mul_u32_u24_e32 v20, 0x10001, v24
	v_mul_u32_u24_e32 v21, 0x10001, v19
	s_delay_alu instid0(VALU_DEP_4) | instskip(NEXT) | instid1(VALU_DEP_4)
	v_pk_fma_f16 v17, v22, v4, v17
	v_pk_fma_f16 v4, v23, v4, v16
	s_delay_alu instid0(VALU_DEP_2) | instskip(NEXT) | instid1(VALU_DEP_2)
	v_pk_fma_f16 v12, v12, v20, v17
	v_pk_fma_f16 v4, v13, v20, v4
	v_and_b32_e32 v13, 0xffff, v7
	v_lshrrev_b32_e32 v7, 16, v7
	v_mul_u32_u24_e32 v6, 0x10001, v6
	v_pk_fma_f16 v12, v14, v5, v12
	v_pk_fma_f16 v4, v15, v5, v4
	v_mul_u32_u24_e32 v20, 0x10001, v13
	s_delay_alu instid0(VALU_DEP_3) | instskip(NEXT) | instid1(VALU_DEP_3)
	v_pk_fma_f16 v5, v8, v21, v12
	v_pk_fma_f16 v4, v9, v21, v4
	v_mul_u32_u24_e32 v21, 0x10001, v7
	s_delay_alu instid0(VALU_DEP_3) | instskip(NEXT) | instid1(VALU_DEP_3)
	v_pk_fma_f16 v5, v10, v6, v5
	v_pk_fma_f16 v22, v11, v6, v4
	s_delay_alu instid0(VALU_DEP_2) | instskip(NEXT) | instid1(VALU_DEP_2)
	v_pk_fma_f16 v0, v0, v20, v5
	v_pk_fma_f16 v1, v1, v20, v22
	s_delay_alu instid0(VALU_DEP_2) | instskip(NEXT) | instid1(VALU_DEP_2)
	v_pk_fma_f16 v20, v2, v21, v0
	v_pk_fma_f16 v21, v3, v21, v1
	s_wait_loadcnt_dscnt 0x0
	ds_store_b128 v120, v[40:43]
	s_wait_storecnt_dscnt 0x0
	s_barrier_signal -1
	s_barrier_wait -1
	ds_load_b128 v[16:19], v109 offset:10304
	ds_load_2addr_b64 v[12:15], v102 offset1:32
	ds_load_2addr_b64 v[8:11], v102 offset0:64 offset1:96
	ds_load_b128 v[4:7], v109 offset:10320
	ds_load_2addr_b64 v[0:3], v102 offset0:128 offset1:160
	s_wait_dscnt 0x4
	v_and_b32_e32 v23, 0xffff, v16
	v_lshrrev_b32_e32 v16, 16, v16
	s_delay_alu instid0(VALU_DEP_2) | instskip(SKIP_2) | instid1(VALU_DEP_4)
	v_mul_u32_u24_e32 v22, 0x10001, v23
	v_and_b32_e32 v23, 0xffff, v17
	v_lshrrev_b32_e32 v17, 16, v17
	v_mul_u32_u24_e32 v16, 0x10001, v16
	s_wait_dscnt 0x3
	v_pk_fma_f16 v12, v12, v22, v20
	v_pk_fma_f16 v13, v13, v22, v21
	v_mul_u32_u24_e32 v20, 0x10001, v23
	v_and_b32_e32 v22, 0xffff, v18
	v_mul_u32_u24_e32 v17, 0x10001, v17
	v_pk_fma_f16 v21, v14, v16, v12
	v_pk_fma_f16 v16, v15, v16, v13
	ds_load_2addr_b64 v[12:15], v102 offset0:192 offset1:224
	s_wait_dscnt 0x3
	v_pk_fma_f16 v8, v8, v20, v21
	v_pk_fma_f16 v9, v9, v20, v16
	v_lshrrev_b32_e32 v16, 16, v18
	v_mul_u32_u24_e32 v18, 0x10001, v22
	v_and_b32_e32 v21, 0xffff, v19
	v_pk_fma_f16 v20, v10, v17, v8
	v_pk_fma_f16 v17, v11, v17, v9
	ds_load_2addr_b64 v[8:11], v119 offset1:32
	s_wait_dscnt 0x3
	v_and_b32_e32 v22, 0xffff, v6
	v_mul_u32_u24_e32 v21, 0x10001, v21
	s_wait_dscnt 0x2
	v_pk_fma_f16 v0, v0, v18, v20
	v_pk_fma_f16 v1, v1, v18, v17
	v_lshrrev_b32_e32 v20, 16, v19
	v_mul_u32_u24_e32 v16, 0x10001, v16
	v_lshrrev_b32_e32 v6, 16, v6
	s_delay_alu instid0(VALU_DEP_2)
	v_pk_fma_f16 v0, v2, v16, v0
	v_pk_fma_f16 v1, v3, v16, v1
	ds_load_2addr_b64 v[16:19], v119 offset0:64 offset1:96
	v_and_b32_e32 v2, 0xffff, v4
	v_mul_u32_u24_e32 v3, 0x10001, v20
	s_wait_dscnt 0x2
	v_pk_fma_f16 v0, v12, v21, v0
	v_pk_fma_f16 v1, v13, v21, v1
	v_lshrrev_b32_e32 v4, 16, v4
	v_mul_u32_u24_e32 v2, 0x10001, v2
	v_and_b32_e32 v20, 0xffff, v5
	v_pk_fma_f16 v0, v14, v3, v0
	v_pk_fma_f16 v1, v15, v3, v1
	ds_load_2addr_b64 v[12:15], v119 offset0:128 offset1:160
	v_lshrrev_b32_e32 v5, 16, v5
	v_mul_u32_u24_e32 v4, 0x10001, v4
	s_wait_dscnt 0x2
	v_pk_fma_f16 v8, v8, v2, v0
	v_pk_fma_f16 v9, v9, v2, v1
	v_mul_u32_u24_e32 v20, 0x10001, v20
	ds_load_b128 v[0:3], v109 offset:10336
	v_mul_u32_u24_e32 v5, 0x10001, v5
	v_pk_fma_f16 v21, v10, v4, v8
	v_pk_fma_f16 v4, v11, v4, v9
	ds_load_2addr_b64 v[8:11], v119 offset0:192 offset1:224
	s_wait_dscnt 0x3
	v_pk_fma_f16 v16, v16, v20, v21
	v_pk_fma_f16 v4, v17, v20, v4
	v_mul_u32_u24_e32 v20, 0x10001, v22
	s_delay_alu instid0(VALU_DEP_3) | instskip(NEXT) | instid1(VALU_DEP_3)
	v_pk_fma_f16 v21, v18, v5, v16
	v_pk_fma_f16 v4, v19, v5, v4
	ds_load_2addr_b64 v[16:19], v113 offset1:32
	v_and_b32_e32 v5, 0xffff, v7
	s_wait_dscnt 0x3
	v_pk_fma_f16 v12, v12, v20, v21
	v_pk_fma_f16 v4, v13, v20, v4
	v_lshrrev_b32_e32 v13, 16, v7
	v_mul_u32_u24_e32 v6, 0x10001, v6
	v_mul_u32_u24_e32 v24, 0x10001, v5
	ds_load_2addr_b64 v[20:23], v113 offset0:64 offset1:96
	v_mul_u32_u24_e32 v13, 0x10001, v13
	v_pk_fma_f16 v12, v14, v6, v12
	v_pk_fma_f16 v14, v15, v6, v4
	ds_load_b128 v[4:7], v109 offset:10352
	s_wait_dscnt 0x4
	v_and_b32_e32 v15, 0xffff, v0
	v_lshrrev_b32_e32 v0, 16, v0
	s_wait_dscnt 0x3
	v_pk_fma_f16 v8, v8, v24, v12
	v_pk_fma_f16 v9, v9, v24, v14
	v_mul_u32_u24_e32 v12, 0x10001, v15
	v_and_b32_e32 v15, 0xffff, v1
	s_delay_alu instid0(VALU_DEP_4) | instskip(NEXT) | instid1(VALU_DEP_4)
	v_pk_fma_f16 v14, v10, v13, v8
	v_pk_fma_f16 v13, v11, v13, v9
	ds_load_2addr_b64 v[8:11], v113 offset0:128 offset1:160
	v_lshrrev_b32_e32 v1, 16, v1
	v_mul_u32_u24_e32 v0, 0x10001, v0
	s_wait_dscnt 0x3
	v_pk_fma_f16 v14, v16, v12, v14
	v_pk_fma_f16 v12, v17, v12, v13
	v_mul_u32_u24_e32 v16, 0x10001, v15
	v_mul_u32_u24_e32 v1, 0x10001, v1
	s_delay_alu instid0(VALU_DEP_4) | instskip(NEXT) | instid1(VALU_DEP_4)
	v_pk_fma_f16 v17, v18, v0, v14
	v_pk_fma_f16 v0, v19, v0, v12
	ds_load_2addr_b64 v[12:15], v113 offset0:192 offset1:224
	v_and_b32_e32 v18, 0xffff, v2
	v_lshrrev_b32_e32 v2, 16, v2
	s_wait_dscnt 0x3
	v_pk_fma_f16 v17, v20, v16, v17
	v_pk_fma_f16 v0, v21, v16, v0
	v_mul_u32_u24_e32 v20, 0x10001, v18
	s_delay_alu instid0(VALU_DEP_3) | instskip(NEXT) | instid1(VALU_DEP_3)
	v_pk_fma_f16 v21, v22, v1, v17
	v_pk_fma_f16 v0, v23, v1, v0
	ds_load_2addr_b64 v[16:19], v112 offset1:32
	v_and_b32_e32 v1, 0xffff, v3
	s_wait_dscnt 0x2
	v_pk_fma_f16 v8, v8, v20, v21
	v_pk_fma_f16 v0, v9, v20, v0
	v_lshrrev_b32_e32 v9, 16, v3
	v_mul_u32_u24_e32 v2, 0x10001, v2
	v_mul_u32_u24_e32 v20, 0x10001, v1
	s_delay_alu instid0(VALU_DEP_3) | instskip(NEXT) | instid1(VALU_DEP_3)
	v_mul_u32_u24_e32 v9, 0x10001, v9
	v_pk_fma_f16 v8, v10, v2, v8
	v_pk_fma_f16 v10, v11, v2, v0
	ds_load_2addr_b64 v[0:3], v112 offset0:64 offset1:96
	v_and_b32_e32 v11, 0xffff, v4
	v_lshrrev_b32_e32 v4, 16, v4
	s_wait_dscnt 0x2
	v_pk_fma_f16 v8, v12, v20, v8
	v_pk_fma_f16 v10, v13, v20, v10
	v_mul_u32_u24_e32 v12, 0x10001, v11
	s_delay_alu instid0(VALU_DEP_3) | instskip(NEXT) | instid1(VALU_DEP_3)
	v_pk_fma_f16 v13, v14, v9, v8
	v_pk_fma_f16 v14, v15, v9, v10
	ds_load_2addr_b64 v[8:11], v112 offset0:128 offset1:160
	v_and_b32_e32 v15, 0xffff, v5
	v_lshrrev_b32_e32 v5, 16, v5
	v_mul_u32_u24_e32 v4, 0x10001, v4
	s_wait_dscnt 0x2
	v_pk_fma_f16 v13, v16, v12, v13
	v_pk_fma_f16 v12, v17, v12, v14
	v_mul_u32_u24_e32 v16, 0x10001, v15
	v_mul_u32_u24_e32 v5, 0x10001, v5
	s_delay_alu instid0(VALU_DEP_4) | instskip(NEXT) | instid1(VALU_DEP_4)
	v_pk_fma_f16 v17, v18, v4, v13
	v_pk_fma_f16 v4, v19, v4, v12
	ds_load_2addr_b64 v[12:15], v112 offset0:192 offset1:224
	v_and_b32_e32 v18, 0xffff, v6
	s_wait_dscnt 0x0
	v_pk_fma_f16 v0, v0, v16, v17
	v_pk_fma_f16 v1, v1, v16, v4
	v_lshrrev_b32_e32 v4, 16, v6
	v_mul_u32_u24_e32 v6, 0x10001, v18
	s_barrier_signal -1
	v_pk_fma_f16 v0, v2, v5, v0
	v_pk_fma_f16 v1, v3, v5, v1
	v_and_b32_e32 v2, 0xffff, v7
	v_mul_u32_u24_e32 v3, 0x10001, v4
	s_barrier_wait -1
	v_pk_fma_f16 v0, v8, v6, v0
	v_pk_fma_f16 v1, v9, v6, v1
	v_mul_u32_u24_e32 v2, 0x10001, v2
	s_delay_alu instid0(VALU_DEP_3) | instskip(NEXT) | instid1(VALU_DEP_3)
	v_pk_fma_f16 v0, v10, v3, v0
	v_pk_fma_f16 v1, v11, v3, v1
	v_add_f32_e32 v3, v110, v111
	v_lshrrev_b32_e32 v4, 16, v7
	s_delay_alu instid0(VALU_DEP_4) | instskip(NEXT) | instid1(VALU_DEP_4)
	v_pk_fma_f16 v5, v12, v2, v0
	v_pk_fma_f16 v1, v13, v2, v1
	s_delay_alu instid0(VALU_DEP_4) | instskip(NEXT) | instid1(VALU_DEP_4)
	v_fmac_f32_e32 v3, v87, v88
	v_mul_u32_u24_e32 v4, 0x10001, v4
	v_dual_mov_b32 v0, 32 :: v_dual_mov_b32 v88, v86
	s_delay_alu instid0(VALU_DEP_3) | instskip(NEXT) | instid1(VALU_DEP_3)
	v_mov_b32_e32 v87, v3
	v_pk_fma_f16 v104, v14, v4, v5
	v_pk_fma_f16 v103, v15, v4, v1
.LBB65_30:
	s_delay_alu instid0(VALU_DEP_4)
	v_cmp_lt_i32_e32 vcc_lo, v105, v0
	s_cmp_eq_u64 s[12:13], 0
	s_cselect_b32 s2, -1, 0
	s_cmp_lg_u32 s26, 0
	v_cndmask_b32_e32 v1, v89, v105, vcc_lo
	v_cmp_lt_i32_e32 vcc_lo, v85, v0
	s_cselect_b32 s3, -1, 0
	s_delay_alu instid0(SALU_CYCLE_1) | instskip(SKIP_2) | instid1(VALU_DEP_2)
	s_or_b32 s2, s3, s2
	v_cndmask_b32_e32 v2, v89, v85, vcc_lo
	v_cmp_lt_i32_e32 vcc_lo, v106, v0
	v_dual_lshlrev_b32 v2, 2, v2 :: v_dual_lshlrev_b32 v1, 2, v1
	v_cndmask_b32_e32 v3, v89, v106, vcc_lo
	v_cmp_lt_i32_e32 vcc_lo, v107, v0
	ds_bpermute_b32 v1, v1, v87
	s_wait_dscnt 0x0
	v_dual_lshlrev_b32 v3, 2, v3 :: v_dual_add_f32 v1, v87, v1
	ds_bpermute_b32 v2, v2, v1
	s_wait_dscnt 0x0
	v_add_f32_e32 v1, v1, v2
	ds_bpermute_b32 v2, v3, v1
	v_cndmask_b32_e32 v3, v89, v107, vcc_lo
	v_cmp_lt_i32_e32 vcc_lo, v108, v0
	s_delay_alu instid0(VALU_DEP_2) | instskip(SKIP_2) | instid1(VALU_DEP_1)
	v_dual_cndmask_b32 v0, v89, v108 :: v_dual_lshlrev_b32 v3, 2, v3
	s_and_b32 vcc_lo, exec_lo, s2
	s_wait_dscnt 0x0
	v_dual_add_f32 v1, v1, v2 :: v_dual_lshlrev_b32 v0, 2, v0
	ds_bpermute_b32 v2, v3, v1
	s_wait_dscnt 0x0
	v_add_f32_e32 v1, v1, v2
	ds_bpermute_b32 v0, v0, v1
	s_wait_dscnt 0x0
	v_add_f32_e32 v89, v1, v0
	s_cbranch_vccnz .LBB65_33
; %bb.31:
	v_mov_b32_e32 v0, s33
	global_load_b32 v1, v0, s[12:13] scale_offset
	s_wait_loadcnt 0x0
	v_dual_max_num_f32 v0, v88, v88 :: v_dual_max_num_f32 v2, v1, v1
	s_delay_alu instid0(VALU_DEP_1) | instskip(NEXT) | instid1(VALU_DEP_1)
	v_max_num_f32_e32 v0, v0, v2
	v_sub_f32_e32 v2, v88, v0
	s_delay_alu instid0(VALU_DEP_1) | instskip(NEXT) | instid1(VALU_DEP_1)
	v_mul_f32_e32 v3, 0x3fb8aa3b, v2
	v_fma_f32 v4, 0x3fb8aa3b, v2, -v3
	v_rndne_f32_e32 v5, v3
	s_delay_alu instid0(VALU_DEP_1) | instskip(NEXT) | instid1(VALU_DEP_3)
	v_dual_sub_f32 v3, v3, v5 :: v_dual_sub_f32 v1, v1, v0
	v_fmac_f32_e32 v4, 0x32a5705f, v2
	v_cvt_i32_f32_e32 v5, v5
	v_cmp_ngt_f32_e32 vcc_lo, 0xc2ce8ed0, v2
	s_delay_alu instid0(VALU_DEP_3) | instskip(NEXT) | instid1(VALU_DEP_1)
	v_dual_mul_f32 v6, 0x3fb8aa3b, v1 :: v_dual_add_f32 v3, v3, v4
	v_fma_f32 v7, 0x3fb8aa3b, v1, -v6
	s_delay_alu instid0(VALU_DEP_2) | instskip(SKIP_1) | instid1(VALU_DEP_2)
	v_exp_f32_e32 v3, v3
	v_rndne_f32_e32 v8, v6
	v_fmac_f32_e32 v7, 0x32a5705f, v1
	s_delay_alu instid0(TRANS32_DEP_1) | instskip(NEXT) | instid1(VALU_DEP_3)
	v_ldexp_f32 v3, v3, v5
	v_sub_f32_e32 v4, v6, v8
	v_cvt_i32_f32_e32 v5, v8
	s_delay_alu instid0(VALU_DEP_3) | instskip(SKIP_1) | instid1(VALU_DEP_2)
	v_cndmask_b32_e32 v3, 0, v3, vcc_lo
	v_cmp_nlt_f32_e32 vcc_lo, 0x42b17218, v2
	v_cndmask_b32_e32 v2, 0x7f800000, v3, vcc_lo
	v_add_f32_e32 v4, v4, v7
	v_cmp_ngt_f32_e32 vcc_lo, 0xc2ce8ed0, v1
	s_delay_alu instid0(VALU_DEP_2) | instskip(SKIP_1) | instid1(TRANS32_DEP_1)
	v_exp_f32_e32 v4, v4
	v_nop
	v_ldexp_f32 v3, v4, v5
	v_cvt_f16_f32_e32 v4, v2
	s_delay_alu instid0(VALU_DEP_2) | instskip(SKIP_1) | instid1(VALU_DEP_3)
	v_cndmask_b32_e32 v3, 0, v3, vcc_lo
	v_cmp_nlt_f32_e32 vcc_lo, 0x42b17218, v1
	v_and_b32_e32 v4, 0xffff, v4
	s_delay_alu instid0(VALU_DEP_3) | instskip(NEXT) | instid1(VALU_DEP_2)
	v_cndmask_b32_e32 v1, 0x7f800000, v3, vcc_lo
	v_mul_u32_u24_e32 v3, 0x10001, v4
	s_delay_alu instid0(VALU_DEP_2) | instskip(NEXT) | instid1(VALU_DEP_2)
	v_fmac_f32_e32 v1, v89, v2
	v_pk_mul_f16 v104, v104, v3
	v_pk_mul_f16 v103, v103, v3
	s_delay_alu instid0(VALU_DEP_3)
	v_mov_b64_e32 v[88:89], v[0:1]
	s_mov_b32 s2, exec_lo
	v_cmpx_gt_i32_e64 s22, v100
	s_cbranch_execnz .LBB65_34
.LBB65_32:
	s_sendmsg sendmsg(MSG_DEALLOC_VGPRS)
	s_endpgm
.LBB65_33:
	s_delay_alu instid0(VALU_DEP_1)
	v_mov_b32_e32 v1, v89
	s_mov_b32 s2, exec_lo
	v_cmpx_gt_i32_e64 s22, v100
	s_cbranch_execz .LBB65_32
.LBB65_34:
	s_delay_alu instid0(VALU_DEP_2) | instskip(SKIP_2) | instid1(VALU_DEP_3)
	v_div_scale_f32 v0, null, v1, v1, 1.0
	v_div_scale_f32 v4, vcc_lo, 1.0, v1, 1.0
	v_mad_u32 v5, s28, s22, v100
	v_rcp_f32_e32 v2, v0
	s_load_b32 s0, s[0:1], 0xd4
	v_lshrrev_b32_e32 v7, 16, v103
	s_delay_alu instid0(TRANS32_DEP_1) | instskip(NEXT) | instid1(VALU_DEP_2)
	v_fma_f32 v3, -v0, v2, 1.0
	v_cvt_f32_f16_e32 v7, v7
	s_delay_alu instid0(VALU_DEP_4) | instskip(NEXT) | instid1(VALU_DEP_3)
	v_mad_u32 v5, v5, s23, s33
	v_fmac_f32_e32 v2, v3, v2
	s_delay_alu instid0(VALU_DEP_1) | instskip(SKIP_2) | instid1(VALU_DEP_1)
	v_mul_f32_e32 v6, v4, v2
	s_wait_kmcnt 0x0
	s_cmp_lg_u32 s0, 1
	v_fma_f32 v3, -v0, v6, v4
	s_delay_alu instid0(VALU_DEP_1) | instskip(NEXT) | instid1(VALU_DEP_1)
	v_dual_fmac_f32 v6, v3, v2 :: v_dual_mov_b32 v3, 0
	v_fma_f32 v4, -v0, v6, v4
	v_mad_u32 v0, s0, v5, s26
	v_lshrrev_b32_e32 v5, 16, v104
	s_cselect_b32 s0, -1, 0
	s_delay_alu instid0(VALU_DEP_3)
	v_div_fmas_f32 v2, v4, v2, v6
	v_cvt_f32_f16_e32 v4, v104
	v_cvt_f32_f16_e32 v6, v103
	;; [unrolled: 1-line block ×3, first 2 shown]
	v_cmp_eq_u32_e32 vcc_lo, 0, v84
	v_div_fixup_f32 v1, v2, v1, 1.0
	v_lshl_add_u32 v2, v0, 7, v101
	s_delay_alu instid0(VALU_DEP_2) | instskip(SKIP_1) | instid1(VALU_DEP_2)
	v_cndmask_b32_e64 v8, v1, 1.0, s0
	s_and_b32 s0, vcc_lo, s0
	v_lshl_add_u64 v[10:11], v[2:3], 2, s[16:17]
	s_delay_alu instid0(VALU_DEP_2)
	v_pk_mul_f32 v[2:3], v[8:9], v[4:5] op_sel_hi:[0,1]
	v_pk_mul_f32 v[4:5], v[8:9], v[6:7] op_sel_hi:[0,1]
	global_store_b128 v[10:11], v[2:5], off
	s_wait_xcnt 0x0
	s_and_b32 exec_lo, exec_lo, s0
	s_cbranch_execz .LBB65_32
; %bb.35:
	global_store_b64 v0, v[88:89], s[18:19] scale_offset
	s_sendmsg sendmsg(MSG_DEALLOC_VGPRS)
	s_endpgm
	.section	.rodata,"a",@progbits
	.p2align	6, 0x0
	.amdhsa_kernel _ZL15flash_attn_tileILi128ELi128ELi4ELi1ELb0EEvPKcS1_S1_S1_S1_PKiPfP15HIP_vector_typeIfLj2EEffffjfiS5_IjLj3EEiiiiiiiiiiiliiliiiiil
		.amdhsa_group_segment_fixed_size 10752
		.amdhsa_private_segment_fixed_size 32
		.amdhsa_kernarg_size 464
		.amdhsa_user_sgpr_count 2
		.amdhsa_user_sgpr_dispatch_ptr 0
		.amdhsa_user_sgpr_queue_ptr 0
		.amdhsa_user_sgpr_kernarg_segment_ptr 1
		.amdhsa_user_sgpr_dispatch_id 0
		.amdhsa_user_sgpr_kernarg_preload_length 0
		.amdhsa_user_sgpr_kernarg_preload_offset 0
		.amdhsa_user_sgpr_private_segment_size 0
		.amdhsa_wavefront_size32 1
		.amdhsa_uses_dynamic_stack 0
		.amdhsa_enable_private_segment 1
		.amdhsa_system_sgpr_workgroup_id_x 1
		.amdhsa_system_sgpr_workgroup_id_y 1
		.amdhsa_system_sgpr_workgroup_id_z 1
		.amdhsa_system_sgpr_workgroup_info 0
		.amdhsa_system_vgpr_workitem_id 1
		.amdhsa_next_free_vgpr 126
		.amdhsa_next_free_sgpr 47
		.amdhsa_named_barrier_count 0
		.amdhsa_reserve_vcc 1
		.amdhsa_float_round_mode_32 0
		.amdhsa_float_round_mode_16_64 0
		.amdhsa_float_denorm_mode_32 3
		.amdhsa_float_denorm_mode_16_64 3
		.amdhsa_fp16_overflow 0
		.amdhsa_memory_ordered 1
		.amdhsa_forward_progress 1
		.amdhsa_inst_pref_size 110
		.amdhsa_round_robin_scheduling 0
		.amdhsa_exception_fp_ieee_invalid_op 0
		.amdhsa_exception_fp_denorm_src 0
		.amdhsa_exception_fp_ieee_div_zero 0
		.amdhsa_exception_fp_ieee_overflow 0
		.amdhsa_exception_fp_ieee_underflow 0
		.amdhsa_exception_fp_ieee_inexact 0
		.amdhsa_exception_int_div_zero 0
	.end_amdhsa_kernel
	.section	.text._ZL15flash_attn_tileILi128ELi128ELi4ELi1ELb0EEvPKcS1_S1_S1_S1_PKiPfP15HIP_vector_typeIfLj2EEffffjfiS5_IjLj3EEiiiiiiiiiiiliiliiiiil,"axG",@progbits,_ZL15flash_attn_tileILi128ELi128ELi4ELi1ELb0EEvPKcS1_S1_S1_S1_PKiPfP15HIP_vector_typeIfLj2EEffffjfiS5_IjLj3EEiiiiiiiiiiiliiliiiiil,comdat
.Lfunc_end65:
	.size	_ZL15flash_attn_tileILi128ELi128ELi4ELi1ELb0EEvPKcS1_S1_S1_S1_PKiPfP15HIP_vector_typeIfLj2EEffffjfiS5_IjLj3EEiiiiiiiiiiiliiliiiiil, .Lfunc_end65-_ZL15flash_attn_tileILi128ELi128ELi4ELi1ELb0EEvPKcS1_S1_S1_S1_PKiPfP15HIP_vector_typeIfLj2EEffffjfiS5_IjLj3EEiiiiiiiiiiiliiliiiiil
                                        ; -- End function
	.set _ZL15flash_attn_tileILi128ELi128ELi4ELi1ELb0EEvPKcS1_S1_S1_S1_PKiPfP15HIP_vector_typeIfLj2EEffffjfiS5_IjLj3EEiiiiiiiiiiiliiliiiiil.num_vgpr, 126
	.set _ZL15flash_attn_tileILi128ELi128ELi4ELi1ELb0EEvPKcS1_S1_S1_S1_PKiPfP15HIP_vector_typeIfLj2EEffffjfiS5_IjLj3EEiiiiiiiiiiiliiliiiiil.num_agpr, 0
	.set _ZL15flash_attn_tileILi128ELi128ELi4ELi1ELb0EEvPKcS1_S1_S1_S1_PKiPfP15HIP_vector_typeIfLj2EEffffjfiS5_IjLj3EEiiiiiiiiiiiliiliiiiil.numbered_sgpr, 47
	.set _ZL15flash_attn_tileILi128ELi128ELi4ELi1ELb0EEvPKcS1_S1_S1_S1_PKiPfP15HIP_vector_typeIfLj2EEffffjfiS5_IjLj3EEiiiiiiiiiiiliiliiiiil.num_named_barrier, 0
	.set _ZL15flash_attn_tileILi128ELi128ELi4ELi1ELb0EEvPKcS1_S1_S1_S1_PKiPfP15HIP_vector_typeIfLj2EEffffjfiS5_IjLj3EEiiiiiiiiiiiliiliiiiil.private_seg_size, 32
	.set _ZL15flash_attn_tileILi128ELi128ELi4ELi1ELb0EEvPKcS1_S1_S1_S1_PKiPfP15HIP_vector_typeIfLj2EEffffjfiS5_IjLj3EEiiiiiiiiiiiliiliiiiil.uses_vcc, 1
	.set _ZL15flash_attn_tileILi128ELi128ELi4ELi1ELb0EEvPKcS1_S1_S1_S1_PKiPfP15HIP_vector_typeIfLj2EEffffjfiS5_IjLj3EEiiiiiiiiiiiliiliiiiil.uses_flat_scratch, 1
	.set _ZL15flash_attn_tileILi128ELi128ELi4ELi1ELb0EEvPKcS1_S1_S1_S1_PKiPfP15HIP_vector_typeIfLj2EEffffjfiS5_IjLj3EEiiiiiiiiiiiliiliiiiil.has_dyn_sized_stack, 0
	.set _ZL15flash_attn_tileILi128ELi128ELi4ELi1ELb0EEvPKcS1_S1_S1_S1_PKiPfP15HIP_vector_typeIfLj2EEffffjfiS5_IjLj3EEiiiiiiiiiiiliiliiiiil.has_recursion, 0
	.set _ZL15flash_attn_tileILi128ELi128ELi4ELi1ELb0EEvPKcS1_S1_S1_S1_PKiPfP15HIP_vector_typeIfLj2EEffffjfiS5_IjLj3EEiiiiiiiiiiiliiliiiiil.has_indirect_call, 0
	.section	.AMDGPU.csdata,"",@progbits
; Kernel info:
; codeLenInByte = 14048
; TotalNumSgprs: 49
; NumVgprs: 126
; ScratchSize: 32
; MemoryBound: 0
; FloatMode: 240
; IeeeMode: 1
; LDSByteSize: 10752 bytes/workgroup (compile time only)
; SGPRBlocks: 0
; VGPRBlocks: 7
; NumSGPRsForWavesPerEU: 49
; NumVGPRsForWavesPerEU: 126
; NamedBarCnt: 0
; Occupancy: 8
; WaveLimiterHint : 1
; COMPUTE_PGM_RSRC2:SCRATCH_EN: 1
; COMPUTE_PGM_RSRC2:USER_SGPR: 2
; COMPUTE_PGM_RSRC2:TRAP_HANDLER: 0
; COMPUTE_PGM_RSRC2:TGID_X_EN: 1
; COMPUTE_PGM_RSRC2:TGID_Y_EN: 1
; COMPUTE_PGM_RSRC2:TGID_Z_EN: 1
; COMPUTE_PGM_RSRC2:TIDIG_COMP_CNT: 1
	.section	.text._ZL33flash_attn_stream_k_fixup_uniformILi128ELi4ELi1EEvPfPK15HIP_vector_typeIfLj2EEiiiiiiS1_IjLj3EES5_S5_,"axG",@progbits,_ZL33flash_attn_stream_k_fixup_uniformILi128ELi4ELi1EEvPfPK15HIP_vector_typeIfLj2EEiiiiiiS1_IjLj3EES5_S5_,comdat
	.globl	_ZL33flash_attn_stream_k_fixup_uniformILi128ELi4ELi1EEvPfPK15HIP_vector_typeIfLj2EEiiiiiiS1_IjLj3EES5_S5_ ; -- Begin function _ZL33flash_attn_stream_k_fixup_uniformILi128ELi4ELi1EEvPfPK15HIP_vector_typeIfLj2EEiiiiiiS1_IjLj3EES5_S5_
	.p2align	8
	.type	_ZL33flash_attn_stream_k_fixup_uniformILi128ELi4ELi1EEvPfPK15HIP_vector_typeIfLj2EEiiiiiiS1_IjLj3EES5_S5_,@function
_ZL33flash_attn_stream_k_fixup_uniformILi128ELi4ELi1EEvPfPK15HIP_vector_typeIfLj2EEiiiiiiS1_IjLj3EES5_S5_: ; @_ZL33flash_attn_stream_k_fixup_uniformILi128ELi4ELi1EEvPfPK15HIP_vector_typeIfLj2EEiiiiiiS1_IjLj3EES5_S5_
; %bb.0:
	s_load_b256 s[4:11], s[0:1], 0x1c
	s_bfe_u32 s2, ttmp6, 0x40014
	s_lshr_b32 s3, ttmp7, 16
	s_add_co_i32 s2, s2, 1
	s_bfe_u32 s13, ttmp6, 0x40010
	s_mul_i32 s2, s3, s2
	s_bfe_u32 s12, ttmp6, 0x40008
	s_and_b32 s14, ttmp7, 0xffff
	s_add_co_i32 s13, s13, 1
	s_bfe_u32 s15, ttmp6, 0x4000c
	s_add_co_i32 s2, s12, s2
	s_mul_i32 s12, s14, s13
	s_bfe_u32 s13, ttmp6, 0x40004
	s_add_co_i32 s15, s15, 1
	s_add_co_i32 s13, s13, s12
	s_and_b32 s12, ttmp6, 15
	s_mul_i32 s15, ttmp9, s15
	s_getreg_b32 s20, hwreg(HW_REG_IB_STS2, 6, 4)
	s_add_co_i32 s12, s12, s15
	s_load_b128 s[16:19], s[0:1], 0x3c
	s_cmp_eq_u32 s20, 0
	s_cselect_b32 s12, ttmp9, s12
	s_cselect_b32 s13, s14, s13
	s_wait_kmcnt 0x0
	s_mul_hi_u32 s7, s7, s12
	s_cselect_b32 s14, s3, s2
	s_add_co_i32 s2, s12, s7
	s_delay_alu instid0(SALU_CYCLE_1) | instskip(NEXT) | instid1(SALU_CYCLE_1)
	s_lshr_b32 s7, s2, s8
	s_mul_i32 s2, s7, s9
	s_delay_alu instid0(SALU_CYCLE_1) | instskip(NEXT) | instid1(SALU_CYCLE_1)
	s_sub_co_i32 s8, s12, s2
	s_mul_hi_u32 s2, s8, s10
	s_delay_alu instid0(SALU_CYCLE_1) | instskip(SKIP_2) | instid1(SALU_CYCLE_1)
	s_add_co_i32 s9, s8, s2
	s_load_b64 s[2:3], s[0:1], 0x10
	s_lshr_b32 s15, s9, s11
	s_mul_i32 s9, s15, s16
	s_delay_alu instid0(SALU_CYCLE_1) | instskip(NEXT) | instid1(SALU_CYCLE_1)
	s_sub_co_i32 s8, s8, s9
	s_mul_hi_u32 s9, s8, s17
	s_delay_alu instid0(SALU_CYCLE_1) | instskip(NEXT) | instid1(SALU_CYCLE_1)
	s_add_co_i32 s9, s8, s9
	s_lshr_b32 s16, s9, s18
	s_delay_alu instid0(SALU_CYCLE_1) | instskip(NEXT) | instid1(SALU_CYCLE_1)
	s_mul_i32 s9, s16, s19
	s_sub_co_i32 s17, s8, s9
	s_delay_alu instid0(SALU_CYCLE_1) | instskip(NEXT) | instid1(SALU_CYCLE_1)
	s_lshl_b32 s8, s17, 2
	s_add_co_i32 s8, s8, s13
	s_wait_kmcnt 0x0
	s_cmp_lt_i32 s8, s2
	s_cselect_b32 s8, -1, 0
	s_add_co_i32 s9, s16, s14
	s_delay_alu instid0(SALU_CYCLE_1) | instskip(SKIP_1) | instid1(SALU_CYCLE_1)
	s_cmp_lt_i32 s9, s5
	s_cselect_b32 s9, -1, 0
	s_and_b32 s8, s8, s9
	s_delay_alu instid0(SALU_CYCLE_1)
	s_and_not1_b32 vcc_lo, exec_lo, s8
	s_cbranch_vccnz .LBB66_6
; %bb.1:
	s_mul_i32 s2, s7, s2
	s_load_b128 s[8:11], s[0:1], 0x0
	s_wait_xcnt 0x0
	s_add_co_i32 s0, s2, s13
	s_mul_i32 s15, s15, s5
	s_mul_i32 s0, s0, s3
	s_mul_i32 s1, s3, s17
	s_add_co_i32 s0, s0, s14
	s_lshl_b32 s1, s1, 9
	s_add_co_i32 s0, s0, s15
	s_mul_i32 s7, s6, s12
	s_add_co_i32 s0, s0, s16
	s_add_co_i32 s5, s7, s6
	s_lshl_b32 s0, s0, 7
	s_add_co_i32 s13, s13, s14
	s_add_co_i32 s1, s1, s0
	s_lshl_b32 s0, s5, 2
	v_or_b32_e32 v4, s1, v0
	s_add_co_i32 s0, s13, s0
	s_add_co_i32 s2, s5, -2
	s_add_co_i32 s0, s0, -4
	s_delay_alu instid0(SALU_CYCLE_1)
	s_ashr_i32 s1, s0, 31
	s_wait_kmcnt 0x0
	global_load_b32 v3, v4, s[8:9] scale_offset
	s_lshl_b64 s[0:1], s[0:1], 3
	v_ashrrev_i32_e32 v5, 31, v4
	s_add_nc_u64 s[0:1], s[10:11], s[0:1]
	s_cmp_lt_i32 s2, s7
	s_load_b32 s14, s[0:1], 0x4
	s_cbranch_scc1 .LBB66_4
; %bb.2:
	s_wait_xcnt 0x0
	s_load_b32 s0, s[0:1], 0x0
	s_add_co_i32 s12, s12, 1
	s_lshl_b32 s3, s13, 7
	s_wait_xcnt 0x0
	s_mul_i32 s1, s6, s12
	s_lshl_b32 s2, s4, 4
	s_lshl_b32 s6, s1, 9
	;; [unrolled: 1-line block ×3, first 2 shown]
	s_add_co_i32 s6, s3, s6
	s_ashr_i32 s3, s2, 31
	s_wait_kmcnt 0x0
	v_dual_mov_b32 v2, s14 :: v_dual_bitop2_b32 v0, s6, v0 bitop3:0x54
	s_add_co_i32 s1, s13, s1
	s_lshl_b32 s4, s4, 2
	s_lshl_b64 s[2:3], s[2:3], 2
	s_delay_alu instid0(VALU_DEP_1)
	v_add_nc_u32_e32 v0, 0xfffffc00, v0
	s_add_co_i32 s4, s1, s4
	s_add_nc_u64 s[2:3], s[10:11], s[2:3]
	s_add_co_i32 s1, s5, -1
	s_add_co_i32 s4, s4, -8
.LBB66_3:                               ; =>This Inner Loop Header: Depth=1
	global_load_b32 v7, v0, s[2:3] scale_offset
	s_ashr_i32 s5, s4, 31
	v_max_num_f32_e64 v1, s0, s0
	s_lshl_b64 s[12:13], s[4:5], 3
	s_delay_alu instid0(SALU_CYCLE_1) | instskip(SKIP_1) | instid1(VALU_DEP_1)
	s_add_nc_u64 s[12:13], s[10:11], s[12:13]
	s_load_b64 s[12:13], s[12:13], 0x0
	v_readfirstlane_b32 s5, v1
	v_add_nc_u32_e32 v0, 0xfffffe00, v0
	s_wait_kmcnt 0x0
	v_max_num_f32_e64 v1, s12, s12
	s_delay_alu instid0(VALU_DEP_1) | instskip(SKIP_1) | instid1(SALU_CYCLE_3)
	v_readfirstlane_b32 s6, v1
	s_max_num_f32 s5, s5, s6
	s_sub_f32 s0, s0, s5
	s_sub_f32 s6, s12, s5
	s_delay_alu instid0(SALU_CYCLE_2) | instskip(NEXT) | instid1(SALU_CYCLE_2)
	s_mul_f32 s12, s0, 0x3fb8aa3b
	s_mul_f32 s14, s6, 0x3fb8aa3b
	s_delay_alu instid0(SALU_CYCLE_2)
	s_xor_b32 s15, s12, 0x80000000
	s_rndne_f32 s16, s12
	s_fmamk_f32 s15, s0, 0x3fb8aa3b, s15
	s_cmp_nlt_f32 s0, 0xc2ce8ed0
	s_rndne_f32 s17, s14
	s_sub_f32 s12, s12, s16
	s_fmamk_f32 s15, s0, 0x32a5705f, s15
	s_cselect_b32 vcc_lo, -1, 0
	s_cmp_ngt_f32 s0, 0x42b17218
	s_delay_alu instid0(SALU_CYCLE_1) | instskip(SKIP_2) | instid1(SALU_CYCLE_1)
	s_add_f32 s12, s12, s15
	s_cvt_i32_f32 s15, s16
	s_sub_f32 s16, s14, s17
	v_s_exp_f32 s12, s12
	v_nop
	s_delay_alu instid0(TRANS32_DEP_1) | instskip(SKIP_1) | instid1(VALU_DEP_1)
	v_ldexp_f32 v1, s12, s15
	s_cvt_i32_f32 s12, s17
	v_cndmask_b32_e32 v1, 0, v1, vcc_lo
	s_cselect_b32 vcc_lo, -1, 0
	s_cmp_ge_f32 s0, 0xc1a00000
	s_delay_alu instid0(VALU_DEP_1)
	v_cndmask_b32_e32 v1, 0x7f800000, v1, vcc_lo
	s_cselect_b32 vcc_lo, -1, 0
	s_xor_b32 s0, s14, 0x80000000
	s_cmp_nlt_f32 s6, 0xc2ce8ed0
	s_fmamk_f32 s0, s6, 0x3fb8aa3b, s0
	v_cndmask_b32_e32 v10, 0, v1, vcc_lo
	s_delay_alu instid0(SALU_CYCLE_2) | instskip(NEXT) | instid1(SALU_CYCLE_3)
	s_fmamk_f32 s0, s6, 0x32a5705f, s0
	s_add_f32 s0, s16, s0
	s_delay_alu instid0(SALU_CYCLE_3) | instskip(SKIP_1) | instid1(TRANS32_DEP_1)
	v_s_exp_f32 s0, s0
	v_nop
	v_ldexp_f32 v6, s0, s12
	s_cselect_b32 s0, -1, 0
	s_cmp_ngt_f32 s6, 0x42b17218
	s_delay_alu instid0(VALU_DEP_1) | instskip(SKIP_2) | instid1(VALU_DEP_1)
	v_cndmask_b32_e64 v6, 0, v6, s0
	s_cselect_b32 s0, -1, 0
	s_cmp_ge_f32 s6, 0xc1a00000
	v_cndmask_b32_e64 v8, 0x7f800000, v6, s0
	s_cselect_b32 s0, -1, 0
	v_mov_b32_e32 v6, s13
	s_add_co_i32 s1, s1, -1
	s_add_co_i32 s4, s4, -4
	v_cndmask_b32_e64 v8, 0, v8, s0
	s_cmp_le_i32 s1, s7
	s_mov_b32 s0, s5
	s_wait_loadcnt 0x0
	s_delay_alu instid0(VALU_DEP_1) | instskip(NEXT) | instid1(VALU_DEP_1)
	v_pk_mul_f32 v[6:7], v[6:7], v[8:9] op_sel_hi:[1,0]
	v_pk_fma_f32 v[2:3], v[2:3], v[10:11], v[6:7] op_sel_hi:[1,0,1]
	s_cbranch_scc0 .LBB66_3
	s_branch .LBB66_5
.LBB66_4:
	s_wait_kmcnt 0x0
	v_mov_b32_e32 v2, s14
.LBB66_5:
	v_lshl_add_u64 v[0:1], v[4:5], 2, s[8:9]
	s_wait_loadcnt 0x0
	s_delay_alu instid0(VALU_DEP_2) | instskip(NEXT) | instid1(VALU_DEP_1)
	v_div_scale_f32 v4, null, v2, v2, v3
	v_rcp_f32_e32 v5, v4
	v_nop
	s_delay_alu instid0(TRANS32_DEP_1) | instskip(NEXT) | instid1(VALU_DEP_1)
	v_fma_f32 v6, -v4, v5, 1.0
	v_fmac_f32_e32 v5, v6, v5
	v_div_scale_f32 v6, vcc_lo, v3, v2, v3
	s_delay_alu instid0(VALU_DEP_1) | instskip(NEXT) | instid1(VALU_DEP_1)
	v_mul_f32_e32 v7, v6, v5
	v_fma_f32 v8, -v4, v7, v6
	s_delay_alu instid0(VALU_DEP_1) | instskip(NEXT) | instid1(VALU_DEP_1)
	v_fmac_f32_e32 v7, v8, v5
	v_fma_f32 v4, -v4, v7, v6
	s_delay_alu instid0(VALU_DEP_1) | instskip(NEXT) | instid1(VALU_DEP_1)
	v_div_fmas_f32 v4, v4, v5, v7
	v_div_fixup_f32 v2, v4, v2, v3
	global_store_b32 v[0:1], v2, off
.LBB66_6:
	s_endpgm
	.section	.rodata,"a",@progbits
	.p2align	6, 0x0
	.amdhsa_kernel _ZL33flash_attn_stream_k_fixup_uniformILi128ELi4ELi1EEvPfPK15HIP_vector_typeIfLj2EEiiiiiiS1_IjLj3EES5_S5_
		.amdhsa_group_segment_fixed_size 0
		.amdhsa_private_segment_fixed_size 0
		.amdhsa_kernarg_size 76
		.amdhsa_user_sgpr_count 2
		.amdhsa_user_sgpr_dispatch_ptr 0
		.amdhsa_user_sgpr_queue_ptr 0
		.amdhsa_user_sgpr_kernarg_segment_ptr 1
		.amdhsa_user_sgpr_dispatch_id 0
		.amdhsa_user_sgpr_kernarg_preload_length 0
		.amdhsa_user_sgpr_kernarg_preload_offset 0
		.amdhsa_user_sgpr_private_segment_size 0
		.amdhsa_wavefront_size32 1
		.amdhsa_uses_dynamic_stack 0
		.amdhsa_enable_private_segment 0
		.amdhsa_system_sgpr_workgroup_id_x 1
		.amdhsa_system_sgpr_workgroup_id_y 1
		.amdhsa_system_sgpr_workgroup_id_z 1
		.amdhsa_system_sgpr_workgroup_info 0
		.amdhsa_system_vgpr_workitem_id 0
		.amdhsa_next_free_vgpr 12
		.amdhsa_next_free_sgpr 21
		.amdhsa_named_barrier_count 0
		.amdhsa_reserve_vcc 1
		.amdhsa_float_round_mode_32 0
		.amdhsa_float_round_mode_16_64 0
		.amdhsa_float_denorm_mode_32 3
		.amdhsa_float_denorm_mode_16_64 3
		.amdhsa_fp16_overflow 0
		.amdhsa_memory_ordered 1
		.amdhsa_forward_progress 1
		.amdhsa_inst_pref_size 9
		.amdhsa_round_robin_scheduling 0
		.amdhsa_exception_fp_ieee_invalid_op 0
		.amdhsa_exception_fp_denorm_src 0
		.amdhsa_exception_fp_ieee_div_zero 0
		.amdhsa_exception_fp_ieee_overflow 0
		.amdhsa_exception_fp_ieee_underflow 0
		.amdhsa_exception_fp_ieee_inexact 0
		.amdhsa_exception_int_div_zero 0
	.end_amdhsa_kernel
	.section	.text._ZL33flash_attn_stream_k_fixup_uniformILi128ELi4ELi1EEvPfPK15HIP_vector_typeIfLj2EEiiiiiiS1_IjLj3EES5_S5_,"axG",@progbits,_ZL33flash_attn_stream_k_fixup_uniformILi128ELi4ELi1EEvPfPK15HIP_vector_typeIfLj2EEiiiiiiS1_IjLj3EES5_S5_,comdat
.Lfunc_end66:
	.size	_ZL33flash_attn_stream_k_fixup_uniformILi128ELi4ELi1EEvPfPK15HIP_vector_typeIfLj2EEiiiiiiS1_IjLj3EES5_S5_, .Lfunc_end66-_ZL33flash_attn_stream_k_fixup_uniformILi128ELi4ELi1EEvPfPK15HIP_vector_typeIfLj2EEiiiiiiS1_IjLj3EES5_S5_
                                        ; -- End function
	.set _ZL33flash_attn_stream_k_fixup_uniformILi128ELi4ELi1EEvPfPK15HIP_vector_typeIfLj2EEiiiiiiS1_IjLj3EES5_S5_.num_vgpr, 12
	.set _ZL33flash_attn_stream_k_fixup_uniformILi128ELi4ELi1EEvPfPK15HIP_vector_typeIfLj2EEiiiiiiS1_IjLj3EES5_S5_.num_agpr, 0
	.set _ZL33flash_attn_stream_k_fixup_uniformILi128ELi4ELi1EEvPfPK15HIP_vector_typeIfLj2EEiiiiiiS1_IjLj3EES5_S5_.numbered_sgpr, 21
	.set _ZL33flash_attn_stream_k_fixup_uniformILi128ELi4ELi1EEvPfPK15HIP_vector_typeIfLj2EEiiiiiiS1_IjLj3EES5_S5_.num_named_barrier, 0
	.set _ZL33flash_attn_stream_k_fixup_uniformILi128ELi4ELi1EEvPfPK15HIP_vector_typeIfLj2EEiiiiiiS1_IjLj3EES5_S5_.private_seg_size, 0
	.set _ZL33flash_attn_stream_k_fixup_uniformILi128ELi4ELi1EEvPfPK15HIP_vector_typeIfLj2EEiiiiiiS1_IjLj3EES5_S5_.uses_vcc, 1
	.set _ZL33flash_attn_stream_k_fixup_uniformILi128ELi4ELi1EEvPfPK15HIP_vector_typeIfLj2EEiiiiiiS1_IjLj3EES5_S5_.uses_flat_scratch, 0
	.set _ZL33flash_attn_stream_k_fixup_uniformILi128ELi4ELi1EEvPfPK15HIP_vector_typeIfLj2EEiiiiiiS1_IjLj3EES5_S5_.has_dyn_sized_stack, 0
	.set _ZL33flash_attn_stream_k_fixup_uniformILi128ELi4ELi1EEvPfPK15HIP_vector_typeIfLj2EEiiiiiiS1_IjLj3EES5_S5_.has_recursion, 0
	.set _ZL33flash_attn_stream_k_fixup_uniformILi128ELi4ELi1EEvPfPK15HIP_vector_typeIfLj2EEiiiiiiS1_IjLj3EES5_S5_.has_indirect_call, 0
	.section	.AMDGPU.csdata,"",@progbits
; Kernel info:
; codeLenInByte = 1080
; TotalNumSgprs: 23
; NumVgprs: 12
; ScratchSize: 0
; MemoryBound: 0
; FloatMode: 240
; IeeeMode: 1
; LDSByteSize: 0 bytes/workgroup (compile time only)
; SGPRBlocks: 0
; VGPRBlocks: 0
; NumSGPRsForWavesPerEU: 23
; NumVGPRsForWavesPerEU: 12
; NamedBarCnt: 0
; Occupancy: 16
; WaveLimiterHint : 0
; COMPUTE_PGM_RSRC2:SCRATCH_EN: 0
; COMPUTE_PGM_RSRC2:USER_SGPR: 2
; COMPUTE_PGM_RSRC2:TRAP_HANDLER: 0
; COMPUTE_PGM_RSRC2:TGID_X_EN: 1
; COMPUTE_PGM_RSRC2:TGID_Y_EN: 1
; COMPUTE_PGM_RSRC2:TGID_Z_EN: 1
; COMPUTE_PGM_RSRC2:TIDIG_COMP_CNT: 0
	.section	.text._ZL33flash_attn_stream_k_fixup_generalILi128ELi4ELi1EEvPfPK15HIP_vector_typeIfLj2EEiiiiS1_IjLj3EES5_S5_S5_,"axG",@progbits,_ZL33flash_attn_stream_k_fixup_generalILi128ELi4ELi1EEvPfPK15HIP_vector_typeIfLj2EEiiiiS1_IjLj3EES5_S5_S5_,comdat
	.globl	_ZL33flash_attn_stream_k_fixup_generalILi128ELi4ELi1EEvPfPK15HIP_vector_typeIfLj2EEiiiiS1_IjLj3EES5_S5_S5_ ; -- Begin function _ZL33flash_attn_stream_k_fixup_generalILi128ELi4ELi1EEvPfPK15HIP_vector_typeIfLj2EEiiiiS1_IjLj3EES5_S5_S5_
	.p2align	8
	.type	_ZL33flash_attn_stream_k_fixup_generalILi128ELi4ELi1EEvPfPK15HIP_vector_typeIfLj2EEiiiiS1_IjLj3EES5_S5_S5_,@function
_ZL33flash_attn_stream_k_fixup_generalILi128ELi4ELi1EEvPfPK15HIP_vector_typeIfLj2EEiiiiS1_IjLj3EES5_S5_S5_: ; @_ZL33flash_attn_stream_k_fixup_generalILi128ELi4ELi1EEvPfPK15HIP_vector_typeIfLj2EEiiiiS1_IjLj3EES5_S5_S5_
; %bb.0:
	s_clause 0x1
	s_load_b128 s[4:7], s[0:1], 0x10
	s_load_b32 s16, s[0:1], 0x50
	s_bfe_u32 s2, ttmp6, 0x4000c
	s_and_b32 s3, ttmp6, 15
	s_add_co_i32 s2, s2, 1
	s_getreg_b32 s15, hwreg(HW_REG_IB_STS2, 6, 4)
	s_mul_i32 s2, ttmp9, s2
	s_mov_b32 s17, 0
	s_add_co_i32 s3, s3, s2
	s_cmp_eq_u32 s15, 0
	s_cselect_b32 s2, ttmp9, s3
	s_delay_alu instid0(SALU_CYCLE_1) | instskip(SKIP_3) | instid1(SALU_CYCLE_1)
	s_ashr_i32 s3, s2, 31
	s_wait_kmcnt 0x0
	s_ashr_i32 s19, s7, 31
	s_mov_b32 s18, s7
	s_mul_u64 s[8:9], s[18:19], s[2:3]
	s_delay_alu instid0(SALU_CYCLE_1) | instskip(NEXT) | instid1(SALU_CYCLE_1)
	s_and_b64 s[10:11], s[8:9], 0xffffffff00000000
	s_cmp_lg_u64 s[10:11], 0
	s_cbranch_scc0 .LBB67_21
; %bb.1:
	s_add_nc_u64 s[10:11], s[16:17], 0
	s_mov_b32 s23, s17
	s_xor_b64 s[10:11], s[10:11], 0
	s_mov_b32 s27, s17
	s_cvt_f32_u32 s3, s10
	s_cvt_f32_u32 s7, s11
	s_sub_nc_u64 s[20:21], 0, s[10:11]
	s_delay_alu instid0(SALU_CYCLE_2) | instskip(NEXT) | instid1(SALU_CYCLE_3)
	s_fmamk_f32 s3, s7, 0x4f800000, s3
	v_s_rcp_f32 s3, s3
	s_delay_alu instid0(TRANS32_DEP_1) | instskip(NEXT) | instid1(SALU_CYCLE_3)
	s_mul_f32 s3, s3, 0x5f7ffffc
	s_mul_f32 s7, s3, 0x2f800000
	s_delay_alu instid0(SALU_CYCLE_3) | instskip(NEXT) | instid1(SALU_CYCLE_3)
	s_trunc_f32 s7, s7
	s_fmamk_f32 s3, s7, 0xcf800000, s3
	s_cvt_u32_f32 s13, s7
	s_delay_alu instid0(SALU_CYCLE_2) | instskip(NEXT) | instid1(SALU_CYCLE_3)
	s_cvt_u32_f32 s12, s3
	s_mul_u64 s[24:25], s[20:21], s[12:13]
	s_delay_alu instid0(SALU_CYCLE_1)
	s_mul_hi_u32 s29, s12, s25
	s_mul_i32 s28, s12, s25
	s_mul_hi_u32 s22, s12, s24
	s_mul_i32 s7, s13, s24
	s_add_nc_u64 s[22:23], s[22:23], s[28:29]
	s_mul_hi_u32 s3, s13, s24
	s_mul_hi_u32 s14, s13, s25
	s_add_co_u32 s7, s22, s7
	s_add_co_ci_u32 s26, s23, s3
	s_mul_i32 s24, s13, s25
	s_add_co_ci_u32 s25, s14, 0
	s_delay_alu instid0(SALU_CYCLE_1) | instskip(SKIP_3) | instid1(SALU_CYCLE_1)
	s_add_nc_u64 s[22:23], s[26:27], s[24:25]
	s_mov_b32 s25, s17
	s_add_co_u32 s12, s12, s22
	s_cselect_b32 s3, -1, 0
	s_cmp_lg_u32 s3, 0
	s_add_co_ci_u32 s13, s13, s23
	s_mov_b32 s23, s17
	s_mul_u64 s[20:21], s[20:21], s[12:13]
	s_delay_alu instid0(SALU_CYCLE_1)
	s_mul_hi_u32 s27, s12, s21
	s_mul_i32 s26, s12, s21
	s_mul_hi_u32 s22, s12, s20
	s_mul_i32 s7, s13, s20
	s_add_nc_u64 s[22:23], s[22:23], s[26:27]
	s_mul_hi_u32 s3, s13, s20
	s_mul_hi_u32 s14, s13, s21
	s_add_co_u32 s7, s22, s7
	s_add_co_ci_u32 s24, s23, s3
	s_mul_i32 s20, s13, s21
	s_add_co_ci_u32 s21, s14, 0
	s_mov_b32 s23, s17
	s_add_nc_u64 s[20:21], s[24:25], s[20:21]
	s_delay_alu instid0(SALU_CYCLE_1) | instskip(SKIP_1) | instid1(SALU_CYCLE_1)
	s_add_co_u32 s3, s12, s20
	s_cselect_b32 s7, -1, 0
	s_cmp_lg_u32 s7, 0
	s_add_co_ci_u32 s7, s13, s21
	s_ashr_i32 s12, s9, 31
	s_delay_alu instid0(SALU_CYCLE_1) | instskip(NEXT) | instid1(SALU_CYCLE_1)
	s_mov_b32 s13, s12
	s_add_nc_u64 s[20:21], s[8:9], s[12:13]
	s_delay_alu instid0(SALU_CYCLE_1) | instskip(NEXT) | instid1(SALU_CYCLE_1)
	s_xor_b64 s[20:21], s[20:21], s[12:13]
	s_mul_hi_u32 s27, s20, s7
	s_mul_i32 s26, s20, s7
	s_mul_hi_u32 s22, s20, s3
	s_mul_hi_u32 s14, s21, s3
	s_mul_i32 s3, s21, s3
	s_add_nc_u64 s[22:23], s[22:23], s[26:27]
	s_mul_hi_u32 s9, s21, s7
	s_add_co_u32 s3, s22, s3
	s_add_co_ci_u32 s24, s23, s14
	s_mul_i32 s26, s21, s7
	s_add_co_ci_u32 s27, s9, 0
	s_delay_alu instid0(SALU_CYCLE_1) | instskip(NEXT) | instid1(SALU_CYCLE_1)
	s_add_nc_u64 s[22:23], s[24:25], s[26:27]
	s_and_b64 s[24:25], s[22:23], 0xffffffff00000000
	s_delay_alu instid0(SALU_CYCLE_1) | instskip(NEXT) | instid1(SALU_CYCLE_1)
	s_or_b32 s24, s24, s22
	s_mul_u64 s[22:23], s[10:11], s[24:25]
	s_add_nc_u64 s[26:27], s[24:25], 1
	s_sub_co_u32 s3, s20, s22
	s_cselect_b32 s7, -1, 0
	s_sub_co_i32 s9, s21, s23
	s_cmp_lg_u32 s7, 0
	s_add_nc_u64 s[28:29], s[24:25], 2
	s_sub_co_ci_u32 s9, s9, s11
	s_sub_co_u32 s14, s3, s10
	s_cselect_b32 s20, -1, 0
	s_delay_alu instid0(SALU_CYCLE_1) | instskip(SKIP_1) | instid1(SALU_CYCLE_1)
	s_cmp_lg_u32 s20, 0
	s_sub_co_ci_u32 s9, s9, 0
	s_cmp_ge_u32 s9, s11
	s_cselect_b32 s20, -1, 0
	s_cmp_ge_u32 s14, s10
	s_cselect_b32 s14, -1, 0
	s_cmp_eq_u32 s9, s11
	s_cselect_b32 s9, s14, s20
	s_delay_alu instid0(SALU_CYCLE_1) | instskip(SKIP_4) | instid1(SALU_CYCLE_1)
	s_cmp_lg_u32 s9, 0
	s_cselect_b32 s9, s28, s26
	s_cselect_b32 s14, s29, s27
	s_cmp_lg_u32 s7, 0
	s_sub_co_ci_u32 s7, s21, s23
	s_cmp_ge_u32 s7, s11
	s_cselect_b32 s20, -1, 0
	s_cmp_ge_u32 s3, s10
	s_cselect_b32 s3, -1, 0
	s_cmp_eq_u32 s7, s11
	s_cselect_b32 s3, s3, s20
	s_delay_alu instid0(SALU_CYCLE_1) | instskip(SKIP_4) | instid1(SALU_CYCLE_1)
	s_cmp_lg_u32 s3, 0
	s_mov_b32 s3, s17
	s_cselect_b32 s11, s14, s25
	s_cselect_b32 s10, s9, s24
	s_xor_b64 s[12:13], s[12:13], 0
	s_xor_b64 s[10:11], s[10:11], s[12:13]
	s_delay_alu instid0(SALU_CYCLE_1)
	s_sub_nc_u64 s[20:21], s[10:11], s[12:13]
	s_and_not1_b32 vcc_lo, exec_lo, s3
	s_cbranch_vccnz .LBB67_3
.LBB67_2:
	v_cvt_f32_u32_e32 v1, s16
	s_sub_co_i32 s7, 0, s16
	s_mov_b32 s21, 0
	s_delay_alu instid0(VALU_DEP_1) | instskip(SKIP_1) | instid1(TRANS32_DEP_1)
	v_rcp_iflag_f32_e32 v1, v1
	v_nop
	v_mul_f32_e32 v1, 0x4f7ffffe, v1
	s_delay_alu instid0(VALU_DEP_1) | instskip(NEXT) | instid1(VALU_DEP_1)
	v_cvt_u32_f32_e32 v1, v1
	v_readfirstlane_b32 s3, v1
	s_mul_i32 s7, s7, s3
	s_delay_alu instid0(SALU_CYCLE_1) | instskip(NEXT) | instid1(SALU_CYCLE_1)
	s_mul_hi_u32 s7, s3, s7
	s_add_co_i32 s3, s3, s7
	s_delay_alu instid0(SALU_CYCLE_1) | instskip(NEXT) | instid1(SALU_CYCLE_1)
	s_mul_hi_u32 s3, s8, s3
	s_mul_i32 s7, s3, s16
	s_delay_alu instid0(SALU_CYCLE_1)
	s_sub_co_i32 s7, s8, s7
	s_add_co_i32 s8, s3, 1
	s_sub_co_i32 s9, s7, s16
	s_cmp_ge_u32 s7, s16
	s_cselect_b32 s3, s8, s3
	s_cselect_b32 s7, s9, s7
	s_add_co_i32 s8, s3, 1
	s_cmp_ge_u32 s7, s16
	s_cselect_b32 s20, s8, s3
.LBB67_3:
	s_add_co_i32 s8, s2, 1
	s_delay_alu instid0(SALU_CYCLE_1) | instskip(NEXT) | instid1(SALU_CYCLE_1)
	s_ashr_i32 s9, s8, 31
	s_mul_u64 s[8:9], s[18:19], s[8:9]
	s_delay_alu instid0(SALU_CYCLE_1) | instskip(NEXT) | instid1(SALU_CYCLE_1)
	s_and_b64 s[10:11], s[8:9], 0xffffffff00000000
	s_cmp_lg_u64 s[10:11], 0
	s_cbranch_scc0 .LBB67_22
; %bb.4:
	s_add_nc_u64 s[10:11], s[16:17], 0
	s_delay_alu instid0(SALU_CYCLE_1) | instskip(SKIP_4) | instid1(SALU_CYCLE_2)
	s_xor_b64 s[12:13], s[10:11], 0
	s_mov_b32 s11, 0
	s_cvt_f32_u32 s3, s12
	s_cvt_f32_u32 s7, s13
	s_sub_nc_u64 s[24:25], 0, s[12:13]
	s_fmamk_f32 s3, s7, 0x4f800000, s3
	s_delay_alu instid0(SALU_CYCLE_3) | instskip(NEXT) | instid1(TRANS32_DEP_1)
	v_s_rcp_f32 s3, s3
	s_mul_f32 s3, s3, 0x5f7ffffc
	s_delay_alu instid0(SALU_CYCLE_3) | instskip(NEXT) | instid1(SALU_CYCLE_3)
	s_mul_f32 s7, s3, 0x2f800000
	s_trunc_f32 s7, s7
	s_delay_alu instid0(SALU_CYCLE_3) | instskip(SKIP_1) | instid1(SALU_CYCLE_2)
	s_fmamk_f32 s3, s7, 0xcf800000, s3
	s_cvt_u32_f32 s23, s7
	s_cvt_u32_f32 s22, s3
	s_delay_alu instid0(SALU_CYCLE_3) | instskip(NEXT) | instid1(SALU_CYCLE_1)
	s_mul_u64 s[26:27], s[24:25], s[22:23]
	s_mul_hi_u32 s29, s22, s27
	s_mul_i32 s28, s22, s27
	s_mul_hi_u32 s10, s22, s26
	s_mul_i32 s7, s23, s26
	s_add_nc_u64 s[28:29], s[10:11], s[28:29]
	s_mul_hi_u32 s3, s23, s26
	s_mul_hi_u32 s14, s23, s27
	s_add_co_u32 s7, s28, s7
	s_add_co_ci_u32 s10, s29, s3
	s_mul_i32 s26, s23, s27
	s_add_co_ci_u32 s27, s14, 0
	s_delay_alu instid0(SALU_CYCLE_1) | instskip(NEXT) | instid1(SALU_CYCLE_1)
	s_add_nc_u64 s[26:27], s[10:11], s[26:27]
	s_add_co_u32 s22, s22, s26
	s_cselect_b32 s3, -1, 0
	s_delay_alu instid0(SALU_CYCLE_1) | instskip(SKIP_1) | instid1(SALU_CYCLE_1)
	s_cmp_lg_u32 s3, 0
	s_add_co_ci_u32 s23, s23, s27
	s_mul_u64 s[24:25], s[24:25], s[22:23]
	s_delay_alu instid0(SALU_CYCLE_1)
	s_mul_hi_u32 s27, s22, s25
	s_mul_i32 s26, s22, s25
	s_mul_hi_u32 s10, s22, s24
	s_mul_i32 s7, s23, s24
	s_add_nc_u64 s[26:27], s[10:11], s[26:27]
	s_mul_hi_u32 s3, s23, s24
	s_mul_hi_u32 s14, s23, s25
	s_add_co_u32 s7, s26, s7
	s_add_co_ci_u32 s10, s27, s3
	s_mul_i32 s24, s23, s25
	s_add_co_ci_u32 s25, s14, 0
	s_delay_alu instid0(SALU_CYCLE_1) | instskip(NEXT) | instid1(SALU_CYCLE_1)
	s_add_nc_u64 s[24:25], s[10:11], s[24:25]
	s_add_co_u32 s3, s22, s24
	s_cselect_b32 s7, -1, 0
	s_delay_alu instid0(SALU_CYCLE_1) | instskip(SKIP_2) | instid1(SALU_CYCLE_1)
	s_cmp_lg_u32 s7, 0
	s_add_co_ci_u32 s7, s23, s25
	s_ashr_i32 s22, s9, 31
	s_mov_b32 s23, s22
	s_delay_alu instid0(SALU_CYCLE_1) | instskip(NEXT) | instid1(SALU_CYCLE_1)
	s_add_nc_u64 s[24:25], s[8:9], s[22:23]
	s_xor_b64 s[24:25], s[24:25], s[22:23]
	s_delay_alu instid0(SALU_CYCLE_1)
	s_mul_hi_u32 s27, s24, s7
	s_mul_i32 s26, s24, s7
	s_mul_hi_u32 s10, s24, s3
	s_mul_hi_u32 s14, s25, s3
	s_mul_i32 s3, s25, s3
	s_add_nc_u64 s[26:27], s[10:11], s[26:27]
	s_mul_hi_u32 s9, s25, s7
	s_add_co_u32 s3, s26, s3
	s_add_co_ci_u32 s10, s27, s14
	s_mul_i32 s28, s25, s7
	s_add_co_ci_u32 s29, s9, 0
	s_delay_alu instid0(SALU_CYCLE_1) | instskip(NEXT) | instid1(SALU_CYCLE_1)
	s_add_nc_u64 s[26:27], s[10:11], s[28:29]
	s_and_b64 s[28:29], s[26:27], 0xffffffff00000000
	s_delay_alu instid0(SALU_CYCLE_1) | instskip(NEXT) | instid1(SALU_CYCLE_1)
	s_or_b32 s28, s28, s26
	s_mul_u64 s[26:27], s[12:13], s[28:29]
	s_add_nc_u64 s[30:31], s[28:29], 1
	s_sub_co_u32 s3, s24, s26
	s_cselect_b32 s7, -1, 0
	s_sub_co_i32 s9, s25, s27
	s_cmp_lg_u32 s7, 0
	s_add_nc_u64 s[34:35], s[28:29], 2
	s_sub_co_ci_u32 s9, s9, s13
	s_sub_co_u32 s10, s3, s12
	s_cselect_b32 s14, -1, 0
	s_delay_alu instid0(SALU_CYCLE_1) | instskip(SKIP_1) | instid1(SALU_CYCLE_1)
	s_cmp_lg_u32 s14, 0
	s_sub_co_ci_u32 s9, s9, 0
	s_cmp_ge_u32 s9, s13
	s_cselect_b32 s14, -1, 0
	s_cmp_ge_u32 s10, s12
	s_cselect_b32 s10, -1, 0
	s_cmp_eq_u32 s9, s13
	s_cselect_b32 s9, s10, s14
	s_delay_alu instid0(SALU_CYCLE_1) | instskip(SKIP_4) | instid1(SALU_CYCLE_1)
	s_cmp_lg_u32 s9, 0
	s_cselect_b32 s9, s34, s30
	s_cselect_b32 s10, s35, s31
	s_cmp_lg_u32 s7, 0
	s_sub_co_ci_u32 s7, s25, s27
	s_cmp_ge_u32 s7, s13
	s_cselect_b32 s14, -1, 0
	s_cmp_ge_u32 s3, s12
	s_cselect_b32 s3, -1, 0
	s_cmp_eq_u32 s7, s13
	s_cselect_b32 s3, s3, s14
	s_delay_alu instid0(SALU_CYCLE_1) | instskip(SKIP_3) | instid1(SALU_CYCLE_1)
	s_cmp_lg_u32 s3, 0
	s_cselect_b32 s13, s10, s29
	s_cselect_b32 s12, s9, s28
	s_xor_b64 s[22:23], s[22:23], 0
	s_xor_b64 s[12:13], s[12:13], s[22:23]
	s_delay_alu instid0(SALU_CYCLE_1)
	s_sub_nc_u64 s[24:25], s[12:13], s[22:23]
	s_load_b96 s[12:14], s[0:1], 0x44
	s_cbranch_execnz .LBB67_6
.LBB67_5:
	v_cvt_f32_u32_e32 v1, s16
	s_sub_co_i32 s7, 0, s16
	s_delay_alu instid0(VALU_DEP_1) | instskip(SKIP_1) | instid1(TRANS32_DEP_1)
	v_rcp_iflag_f32_e32 v1, v1
	v_nop
	v_mul_f32_e32 v1, 0x4f7ffffe, v1
	s_delay_alu instid0(VALU_DEP_1) | instskip(NEXT) | instid1(VALU_DEP_1)
	v_cvt_u32_f32_e32 v1, v1
	v_readfirstlane_b32 s3, v1
	s_mul_i32 s7, s7, s3
	s_delay_alu instid0(SALU_CYCLE_1) | instskip(NEXT) | instid1(SALU_CYCLE_1)
	s_mul_hi_u32 s7, s3, s7
	s_add_co_i32 s3, s3, s7
	s_delay_alu instid0(SALU_CYCLE_1) | instskip(NEXT) | instid1(SALU_CYCLE_1)
	s_mul_hi_u32 s3, s8, s3
	s_mul_i32 s7, s3, s16
	s_delay_alu instid0(SALU_CYCLE_1)
	s_sub_co_i32 s7, s8, s7
	s_add_co_i32 s8, s3, 1
	s_sub_co_i32 s9, s7, s16
	s_cmp_ge_u32 s7, s16
	s_cselect_b32 s3, s8, s3
	s_cselect_b32 s7, s9, s7
	s_add_co_i32 s8, s3, 1
	s_cmp_ge_u32 s7, s16
	s_cselect_b32 s24, s8, s3
.LBB67_6:
	s_delay_alu instid0(SALU_CYCLE_1)
	s_cmp_eq_u32 s20, s24
	s_mov_b64 s[8:9], 0xffffffff
	s_cselect_b32 s3, -1, 0
	s_and_b64 s[8:9], s[20:21], s[8:9]
	s_mov_b32 s23, 0
	s_wait_kmcnt 0x0
	s_mov_b32 s22, s12
	s_mov_b32 s25, s23
	s_mul_u64 s[10:11], s[8:9], s[22:23]
	s_delay_alu instid0(SALU_CYCLE_1) | instskip(SKIP_2) | instid1(SALU_CYCLE_1)
	s_add_co_i32 s7, s11, s20
	s_mul_u64 s[10:11], s[24:25], s[22:23]
	s_lshr_b32 s12, s7, s13
	s_mul_i32 s7, s12, s14
	s_delay_alu instid0(SALU_CYCLE_1) | instskip(SKIP_2) | instid1(SALU_CYCLE_1)
	s_cmp_eq_u32 s7, s20
	s_cselect_b32 s7, -1, 0
	s_add_co_i32 s10, s11, s24
	s_lshr_b32 s10, s10, s13
	s_delay_alu instid0(SALU_CYCLE_1)
	s_cmp_eq_u32 s12, s10
	s_mul_i32 s10, s10, s14
	s_cselect_b32 s11, -1, 0
	s_cmp_lg_u32 s10, s24
	s_cselect_b32 s10, -1, 0
	s_or_b32 s3, s3, s7
	s_and_b32 s10, s11, s10
	s_delay_alu instid0(SALU_CYCLE_1) | instskip(NEXT) | instid1(SALU_CYCLE_1)
	s_or_b32 s3, s3, s10
	s_and_b32 vcc_lo, exec_lo, s3
	s_cbranch_vccnz .LBB67_24
; %bb.7:
	s_load_b256 s[24:31], s[0:1], 0x20
	s_bfe_u32 s7, ttmp6, 0x40014
	s_bfe_u32 s33, ttmp6, 0x40010
	s_lshr_b32 s3, ttmp7, 16
	s_add_co_i32 s7, s7, 1
	s_and_b32 s21, ttmp7, 0xffff
	s_add_co_i32 s33, s33, 1
	s_bfe_u32 s10, ttmp6, 0x40008
	s_mul_i32 s7, s3, s7
	s_bfe_u32 s34, ttmp6, 0x40004
	s_mul_i32 s33, s21, s33
	s_mov_b32 s11, s23
	s_add_co_i32 s7, s10, s7
	s_add_co_i32 s34, s34, s33
	s_cmp_eq_u32 s15, 0
	s_cselect_b32 s15, s21, s34
	s_cselect_b32 s3, s3, s7
	s_wait_kmcnt 0x0
	s_mov_b32 s10, s24
	s_delay_alu instid0(SALU_CYCLE_1) | instskip(SKIP_2) | instid1(SALU_CYCLE_1)
	s_mul_u64 s[8:9], s[8:9], s[10:11]
	s_load_b32 s8, s[0:1], 0x40
	s_add_co_i32 s7, s9, s20
	s_lshr_b32 s7, s7, s25
	s_delay_alu instid0(SALU_CYCLE_1) | instskip(NEXT) | instid1(SALU_CYCLE_1)
	s_mul_i32 s9, s7, s26
	s_sub_co_i32 s9, s20, s9
	s_delay_alu instid0(SALU_CYCLE_1) | instskip(NEXT) | instid1(SALU_CYCLE_1)
	s_mul_hi_u32 s10, s9, s27
	s_add_co_i32 s10, s9, s10
	s_delay_alu instid0(SALU_CYCLE_1) | instskip(NEXT) | instid1(SALU_CYCLE_1)
	s_lshr_b32 s21, s10, s28
	s_mul_i32 s10, s21, s29
	s_delay_alu instid0(SALU_CYCLE_1) | instskip(NEXT) | instid1(SALU_CYCLE_1)
	s_sub_co_i32 s10, s9, s10
	s_mul_hi_u32 s9, s10, s30
	s_delay_alu instid0(SALU_CYCLE_1) | instskip(NEXT) | instid1(SALU_CYCLE_1)
	s_add_co_i32 s9, s10, s9
	s_lshr_b32 s24, s9, s31
	s_mov_b32 s9, s23
	s_wait_kmcnt 0x0
	s_mul_i32 s8, s24, s8
	s_delay_alu instid0(SALU_CYCLE_1) | instskip(NEXT) | instid1(SALU_CYCLE_1)
	s_sub_co_i32 s8, s10, s8
	s_mul_u64 s[10:11], s[8:9], s[22:23]
	s_delay_alu instid0(SALU_CYCLE_1) | instskip(NEXT) | instid1(SALU_CYCLE_1)
	s_add_co_i32 s8, s8, s11
	s_lshr_b32 s25, s8, s13
	s_delay_alu instid0(SALU_CYCLE_1) | instskip(NEXT) | instid1(SALU_CYCLE_1)
	s_lshl_b32 s8, s25, 2
	s_add_co_i32 s8, s8, s15
	s_delay_alu instid0(SALU_CYCLE_1) | instskip(SKIP_2) | instid1(SALU_CYCLE_1)
	s_cmp_lt_i32 s8, s4
	s_cselect_b32 s8, -1, 0
	s_add_co_i32 s9, s24, s3
	s_cmp_lt_i32 s9, s6
	s_cselect_b32 s9, -1, 0
	s_delay_alu instid0(SALU_CYCLE_1) | instskip(NEXT) | instid1(SALU_CYCLE_1)
	s_and_b32 s8, s8, s9
	s_and_not1_b32 vcc_lo, exec_lo, s8
	s_cbranch_vccnz .LBB67_24
; %bb.8:
	s_mul_i32 s4, s7, s4
	s_load_b128 s[8:11], s[0:1], 0x0
	s_wait_xcnt 0x0
	s_add_co_i32 s0, s4, s15
	s_mul_i32 s21, s21, s6
	s_mul_i32 s0, s0, s5
	;; [unrolled: 1-line block ×3, first 2 shown]
	s_add_co_i32 s0, s0, s3
	s_lshl_b32 s1, s1, 9
	s_add_co_i32 s0, s0, s21
	s_add_co_i32 s15, s15, s3
	;; [unrolled: 1-line block ×3, first 2 shown]
	v_lshl_or_b32 v6, s15, 7, v0
	s_lshl_b32 s0, s0, 7
	v_cvt_f32_u32_e32 v4, s16
	s_add_co_i32 s1, s1, s0
	s_lshl_b32 s24, s16, 4
	v_or_b32_e32 v2, s1, v0
	s_add_nc_u64 s[0:1], s[16:17], 0
	v_rcp_iflag_f32_e32 v4, v4
	s_xor_b64 s[6:7], s[0:1], 0
	s_lshl_b32 s0, s2, 2
	s_cvt_f32_u32 s3, s6
	s_add_co_i32 s0, s0, s15
	s_cvt_f32_u32 s4, s7
	s_ashr_i32 s1, s0, 31
	s_mov_b32 s25, 0
	s_lshl_b64 s[0:1], s[0:1], 3
	s_fmamk_f32 s3, s4, 0x4f800000, s3
	s_wait_kmcnt 0x0
	s_add_nc_u64 s[0:1], s[10:11], s[0:1]
	s_add_co_i32 s36, s2, -1
	s_load_b64 s[28:29], s[0:1], 0x0
	v_s_rcp_f32 s3, s3
	s_wait_xcnt 0x0
	s_lshl_b64 s[0:1], s[24:25], 2
	s_sub_nc_u64 s[34:35], 0, s[6:7]
	s_add_nc_u64 s[26:27], s[10:11], s[0:1]
	v_mul_f32_e32 v4, 0x4f7ffffe, v4
	s_delay_alu instid0(TRANS32_DEP_1) | instskip(NEXT) | instid1(VALU_DEP_1)
	s_mul_f32 s3, s3, 0x5f7ffffc
	v_cvt_u32_f32_e32 v7, v4
	s_delay_alu instid0(SALU_CYCLE_2) | instskip(NEXT) | instid1(SALU_CYCLE_3)
	s_mul_f32 s4, s3, 0x2f800000
	s_trunc_f32 s4, s4
	s_wait_kmcnt 0x0
	v_mov_b32_e32 v0, s29
	global_load_b32 v1, v2, s[8:9] scale_offset
	v_ashrrev_i32_e32 v3, 31, v2
	s_fmamk_f32 s0, s4, 0xcf800000, s3
	s_cvt_u32_f32 s31, s4
	s_wait_xcnt 0x0
	s_delay_alu instid0(VALU_DEP_1)
	v_lshl_add_u64 v[2:3], v[2:3], 2, s[8:9]
	s_cvt_u32_f32 s30, s0
	s_mov_b64 s[8:9], 0xffffffff
.LBB67_9:                               ; =>This Inner Loop Header: Depth=1
	s_ashr_i32 s37, s36, 31
                                        ; implicit-def: $sgpr40_sgpr41
	s_delay_alu instid0(SALU_CYCLE_1) | instskip(NEXT) | instid1(SALU_CYCLE_1)
	s_mul_u64 s[0:1], s[36:37], s[18:19]
	s_and_b64 s[2:3], s[0:1], 0xffffffff00000000
	s_delay_alu instid0(SALU_CYCLE_1)
	s_cmp_lg_u64 s[2:3], 0
	s_mov_b32 s2, -1
	s_cbranch_scc0 .LBB67_11
; %bb.10:                               ;   in Loop: Header=BB67_9 Depth=1
	s_mul_u64 s[2:3], s[34:35], s[30:31]
	s_delay_alu instid0(SALU_CYCLE_1)
	s_mul_hi_u32 s5, s30, s3
	s_mul_i32 s4, s30, s3
	s_mul_hi_u32 s24, s30, s2
	s_mul_hi_u32 s17, s31, s2
	s_add_nc_u64 s[4:5], s[24:25], s[4:5]
	s_mul_i32 s2, s31, s2
	s_mul_hi_u32 s21, s31, s3
	s_add_co_u32 s2, s4, s2
	s_add_co_ci_u32 s24, s5, s17
	s_add_co_ci_u32 s5, s21, 0
	s_mul_i32 s4, s31, s3
	s_delay_alu instid0(SALU_CYCLE_1) | instskip(NEXT) | instid1(SALU_CYCLE_1)
	s_add_nc_u64 s[2:3], s[24:25], s[4:5]
	s_add_co_u32 s2, s30, s2
	s_cselect_b32 s4, -1, 0
	s_delay_alu instid0(SALU_CYCLE_1) | instskip(SKIP_1) | instid1(SALU_CYCLE_1)
	s_cmp_lg_u32 s4, 0
	s_add_co_ci_u32 s3, s31, s3
	s_mul_u64 s[4:5], s[34:35], s[2:3]
	s_delay_alu instid0(SALU_CYCLE_1)
	s_mul_hi_u32 s39, s2, s5
	s_mul_i32 s38, s2, s5
	s_mul_hi_u32 s24, s2, s4
	s_mul_hi_u32 s17, s3, s4
	s_mul_i32 s4, s3, s4
	s_add_nc_u64 s[38:39], s[24:25], s[38:39]
	s_mul_hi_u32 s21, s3, s5
	s_add_co_u32 s4, s38, s4
	s_add_co_ci_u32 s24, s39, s17
	s_mul_i32 s4, s3, s5
	s_add_co_ci_u32 s5, s21, 0
	s_delay_alu instid0(SALU_CYCLE_1) | instskip(NEXT) | instid1(SALU_CYCLE_1)
	s_add_nc_u64 s[4:5], s[24:25], s[4:5]
	s_add_co_u32 s17, s2, s4
	s_cselect_b32 s2, -1, 0
	s_delay_alu instid0(SALU_CYCLE_1) | instskip(SKIP_2) | instid1(SALU_CYCLE_1)
	s_cmp_lg_u32 s2, 0
	s_add_co_ci_u32 s21, s3, s5
	s_ashr_i32 s2, s1, 31
	s_mov_b32 s3, s2
	s_delay_alu instid0(SALU_CYCLE_1) | instskip(NEXT) | instid1(SALU_CYCLE_1)
	s_add_nc_u64 s[4:5], s[0:1], s[2:3]
	s_xor_b64 s[4:5], s[4:5], s[2:3]
	s_delay_alu instid0(SALU_CYCLE_1)
	s_mul_hi_u32 s39, s4, s21
	s_mul_i32 s38, s4, s21
	s_mul_hi_u32 s24, s4, s17
	s_mul_hi_u32 s29, s5, s17
	s_mul_i32 s17, s5, s17
	s_add_nc_u64 s[38:39], s[24:25], s[38:39]
	s_mul_hi_u32 s1, s5, s21
	s_add_co_u32 s17, s38, s17
	s_add_co_ci_u32 s24, s39, s29
	s_mul_i32 s40, s5, s21
	s_add_co_ci_u32 s41, s1, 0
	s_delay_alu instid0(SALU_CYCLE_1) | instskip(NEXT) | instid1(SALU_CYCLE_1)
	s_add_nc_u64 s[38:39], s[24:25], s[40:41]
	s_and_b64 s[40:41], s[38:39], 0xffffffff00000000
	s_delay_alu instid0(SALU_CYCLE_1) | instskip(NEXT) | instid1(SALU_CYCLE_1)
	s_or_b32 s40, s40, s38
	s_mul_u64 s[38:39], s[6:7], s[40:41]
	s_add_nc_u64 s[42:43], s[40:41], 1
	s_sub_co_u32 s1, s4, s38
	s_cselect_b32 s4, -1, 0
	s_sub_co_i32 s17, s5, s39
	s_cmp_lg_u32 s4, 0
	s_add_nc_u64 s[44:45], s[40:41], 2
	s_sub_co_ci_u32 s17, s17, s7
	s_sub_co_u32 s21, s1, s6
	s_cselect_b32 s24, -1, 0
	s_delay_alu instid0(SALU_CYCLE_1) | instskip(SKIP_1) | instid1(SALU_CYCLE_1)
	s_cmp_lg_u32 s24, 0
	s_sub_co_ci_u32 s17, s17, 0
	s_cmp_ge_u32 s17, s7
	s_cselect_b32 s24, -1, 0
	s_cmp_ge_u32 s21, s6
	s_cselect_b32 s21, -1, 0
	s_cmp_eq_u32 s17, s7
	s_cselect_b32 s17, s21, s24
	s_delay_alu instid0(SALU_CYCLE_1) | instskip(SKIP_4) | instid1(SALU_CYCLE_1)
	s_cmp_lg_u32 s17, 0
	s_cselect_b32 s17, s44, s42
	s_cselect_b32 s21, s45, s43
	s_cmp_lg_u32 s4, 0
	s_sub_co_ci_u32 s4, s5, s39
	s_cmp_ge_u32 s4, s7
	s_cselect_b32 s5, -1, 0
	s_cmp_ge_u32 s1, s6
	s_cselect_b32 s1, -1, 0
	s_cmp_eq_u32 s4, s7
	s_cselect_b32 s1, s1, s5
	s_delay_alu instid0(SALU_CYCLE_1) | instskip(SKIP_3) | instid1(SALU_CYCLE_1)
	s_cmp_lg_u32 s1, 0
	s_cselect_b32 s5, s21, s41
	s_cselect_b32 s4, s17, s40
	s_xor_b64 s[2:3], s[2:3], 0
	s_xor_b64 s[4:5], s[4:5], s[2:3]
	s_delay_alu instid0(SALU_CYCLE_1)
	s_sub_nc_u64 s[40:41], s[4:5], s[2:3]
	s_mov_b32 s2, 0
.LBB67_11:                              ;   in Loop: Header=BB67_9 Depth=1
	s_delay_alu instid0(SALU_CYCLE_1)
	s_and_not1_b32 vcc_lo, exec_lo, s2
	s_cbranch_vccnz .LBB67_13
; %bb.12:                               ;   in Loop: Header=BB67_9 Depth=1
	v_readfirstlane_b32 s1, v7
	s_sub_co_i32 s2, 0, s16
	s_delay_alu instid0(SALU_CYCLE_1) | instskip(NEXT) | instid1(SALU_CYCLE_1)
	s_mul_i32 s2, s2, s1
	s_mul_hi_u32 s2, s1, s2
	s_delay_alu instid0(SALU_CYCLE_1) | instskip(NEXT) | instid1(SALU_CYCLE_1)
	s_add_co_i32 s1, s1, s2
	s_mul_hi_u32 s1, s0, s1
	s_delay_alu instid0(SALU_CYCLE_1) | instskip(NEXT) | instid1(SALU_CYCLE_1)
	s_mul_i32 s2, s1, s16
	s_sub_co_i32 s0, s0, s2
	s_add_co_i32 s2, s1, 1
	s_sub_co_i32 s3, s0, s16
	s_cmp_ge_u32 s0, s16
	s_cselect_b32 s1, s2, s1
	s_cselect_b32 s0, s3, s0
	s_add_co_i32 s2, s1, 1
	s_cmp_ge_u32 s0, s16
	s_cselect_b32 s24, s2, s1
	s_delay_alu instid0(SALU_CYCLE_1)
	s_mov_b64 s[40:41], s[24:25]
.LBB67_13:                              ;   in Loop: Header=BB67_9 Depth=1
	s_delay_alu instid0(SALU_CYCLE_1)
	s_cmp_lg_u32 s20, s40
	s_mov_b32 s0, -1
                                        ; implicit-def: $vgpr4_vgpr5
                                        ; implicit-def: $sgpr24
                                        ; implicit-def: $sgpr17
                                        ; implicit-def: $sgpr21
                                        ; implicit-def: $sgpr29
	s_cbranch_scc0 .LBB67_18
; %bb.14:                               ;   in Loop: Header=BB67_9 Depth=1
	s_add_co_i32 s0, s36, s16
	v_max_num_f32_e64 v4, s28, s28
	s_lshl_b32 s0, s0, 2
	s_mov_b32 s29, s20
	s_add_co_i32 s0, s0, s15
	s_load_b64 s[38:39], s[10:11], s0 offset:0x0 scale_offset
	s_wait_xcnt 0x0
	v_readfirstlane_b32 s0, v4
	s_wait_kmcnt 0x0
	v_max_num_f32_e64 v5, s38, s38
	s_delay_alu instid0(VALU_DEP_1) | instskip(SKIP_1) | instid1(SALU_CYCLE_3)
	v_readfirstlane_b32 s1, v5
	s_max_num_f32 s17, s0, s1
	s_sub_f32 s33, s28, s17
	s_sub_f32 s37, s38, s17
	s_delay_alu instid0(SALU_CYCLE_2)
	s_cmp_nlt_f32 s33, 0xc2ce8ed0
	s_cselect_b32 s1, -1, 0
	s_cmp_ngt_f32 s33, 0x42b17218
	s_cselect_b32 s2, -1, 0
	s_cmp_ge_f32 s33, 0xc1a00000
	s_cselect_b32 s0, -1, 0
	s_cmp_nlt_f32 s37, 0xc2ce8ed0
	s_cselect_b32 s3, -1, 0
	s_cmp_ngt_f32 s37, 0x42b17218
	s_cselect_b32 s4, -1, 0
	s_cmp_ge_f32 s37, 0xc1a00000
	s_cselect_b32 s5, -1, 0
	s_and_b64 s[42:43], s[40:41], s[8:9]
	s_delay_alu instid0(SALU_CYCLE_1) | instskip(NEXT) | instid1(SALU_CYCLE_1)
	s_mul_u64 s[42:43], s[42:43], s[22:23]
	s_add_co_i32 s21, s43, s40
	s_delay_alu instid0(SALU_CYCLE_1) | instskip(NEXT) | instid1(SALU_CYCLE_1)
	s_lshr_b32 s21, s21, s13
	s_mul_i32 s24, s21, s14
	s_delay_alu instid0(SALU_CYCLE_1) | instskip(SKIP_3) | instid1(SALU_CYCLE_1)
	s_cmp_eq_u32 s24, s40
	s_cselect_b32 s24, -1, 0
	s_cmp_lt_u32 s21, s12
	s_cselect_b32 s21, -1, 0
	s_or_b32 s21, s21, s24
	s_mov_b32 s24, -1
	s_and_b32 vcc_lo, exec_lo, s21
	s_mov_b32 s21, s36
	s_cbranch_vccnz .LBB67_16
; %bb.15:                               ;   in Loop: Header=BB67_9 Depth=1
	s_add_co_i32 s21, s36, -1
	s_mov_b32 s24, 0
	s_mov_b32 s29, s40
.LBB67_16:                              ;   in Loop: Header=BB67_9 Depth=1
	v_lshl_add_u32 v4, s36, 9, v6
	s_mul_f32 s40, s33, 0x3fb8aa3b
	s_mul_f32 s38, s37, 0x3fb8aa3b
	s_delay_alu instid0(SALU_CYCLE_2)
	s_xor_b32 s42, s40, 0x80000000
	global_load_b32 v5, v4, s[26:27] scale_offset
	s_fmamk_f32 s42, s33, 0x3fb8aa3b, s42
	s_rndne_f32 s44, s40
	s_xor_b32 s41, s38, 0x80000000
	s_rndne_f32 s43, s38
	s_fmamk_f32 s33, s33, 0x32a5705f, s42
	s_sub_f32 s40, s40, s44
	s_fmamk_f32 s41, s37, 0x3fb8aa3b, s41
	s_sub_f32 s38, s38, s43
	s_delay_alu instid0(SALU_CYCLE_1) | instskip(NEXT) | instid1(SALU_CYCLE_1)
	s_add_f32 s33, s40, s33
	s_fmamk_f32 s37, s37, 0x32a5705f, s41
	s_cvt_i32_f32 s40, s44
	s_delay_alu instid0(SALU_CYCLE_1) | instskip(NEXT) | instid1(SALU_CYCLE_1)
	v_s_exp_f32 s33, s33
	s_add_f32 s37, s38, s37
	s_cvt_i32_f32 s38, s43
	s_delay_alu instid0(SALU_CYCLE_2) | instskip(NEXT) | instid1(TRANS32_DEP_2)
	v_s_exp_f32 s37, s37
	v_ldexp_f32 v8, s33, s40
	s_wait_xcnt 0x0
	s_delay_alu instid0(TRANS32_DEP_1) | instskip(NEXT) | instid1(VALU_DEP_2)
	v_ldexp_f32 v4, s37, s38
	v_cndmask_b32_e64 v8, 0, v8, s1
	s_delay_alu instid0(VALU_DEP_1) | instskip(NEXT) | instid1(VALU_DEP_1)
	v_cndmask_b32_e64 v9, 0x7f800000, v8, s2
	v_dual_cndmask_b32 v4, 0, v4, s3 :: v_dual_cndmask_b32 v10, 0, v9, s0
	s_delay_alu instid0(VALU_DEP_1) | instskip(NEXT) | instid1(VALU_DEP_1)
	v_cndmask_b32_e64 v4, 0x7f800000, v4, s4
	v_dual_cndmask_b32 v8, 0, v4, s5 :: v_dual_mov_b32 v4, s39
	s_wait_loadcnt 0x0
	s_delay_alu instid0(VALU_DEP_1) | instskip(NEXT) | instid1(VALU_DEP_1)
	v_pk_mul_f32 v[4:5], v[4:5], v[8:9] op_sel_hi:[1,0]
	v_pk_fma_f32 v[4:5], v[0:1], v[10:11], v[4:5] op_sel_hi:[1,0,1]
	s_cbranch_execz .LBB67_19
.LBB67_17:                              ;   in Loop: Header=BB67_9 Depth=1
	s_and_not1_b32 vcc_lo, exec_lo, s24
	s_cbranch_vccnz .LBB67_20
	s_branch .LBB67_23
.LBB67_18:                              ;   in Loop: Header=BB67_9 Depth=1
	s_and_not1_b32 vcc_lo, exec_lo, s0
	s_cbranch_vccnz .LBB67_17
.LBB67_19:                              ;   in Loop: Header=BB67_9 Depth=1
	s_wait_loadcnt 0x0
	v_mov_b64_e32 v[4:5], v[0:1]
	s_add_co_i32 s21, s36, -1
	s_mov_b32 s29, s20
	s_mov_b32 s17, s28
	s_cbranch_execz .LBB67_23
.LBB67_20:                              ;   in Loop: Header=BB67_9 Depth=1
	s_wait_loadcnt 0x0
	s_delay_alu instid0(VALU_DEP_1)
	v_mov_b64_e32 v[0:1], v[4:5]
	s_mov_b32 s20, s29
	s_mov_b32 s36, s21
	;; [unrolled: 1-line block ×3, first 2 shown]
	s_branch .LBB67_9
.LBB67_21:
                                        ; implicit-def: $sgpr20_sgpr21
	s_branch .LBB67_2
.LBB67_22:
                                        ; implicit-def: $sgpr24_sgpr25
	s_load_b96 s[12:14], s[0:1], 0x44
	s_branch .LBB67_5
.LBB67_23:
	s_delay_alu instid0(VALU_DEP_1) | instskip(SKIP_1) | instid1(VALU_DEP_1)
	v_div_scale_f32 v0, null, v4, v4, v5
	s_wait_loadcnt 0x0
	v_rcp_f32_e32 v1, v0
	v_nop
	s_delay_alu instid0(TRANS32_DEP_1) | instskip(NEXT) | instid1(VALU_DEP_1)
	v_fma_f32 v6, -v0, v1, 1.0
	v_fmac_f32_e32 v1, v6, v1
	v_div_scale_f32 v6, vcc_lo, v5, v4, v5
	s_delay_alu instid0(VALU_DEP_1) | instskip(NEXT) | instid1(VALU_DEP_1)
	v_mul_f32_e32 v7, v6, v1
	v_fma_f32 v8, -v0, v7, v6
	s_delay_alu instid0(VALU_DEP_1) | instskip(NEXT) | instid1(VALU_DEP_1)
	v_fmac_f32_e32 v7, v8, v1
	v_fma_f32 v0, -v0, v7, v6
	s_delay_alu instid0(VALU_DEP_1) | instskip(NEXT) | instid1(VALU_DEP_1)
	v_div_fmas_f32 v0, v0, v1, v7
	v_div_fixup_f32 v0, v0, v4, v5
	global_store_b32 v[2:3], v0, off
.LBB67_24:
	s_endpgm
	.section	.rodata,"a",@progbits
	.p2align	6, 0x0
	.amdhsa_kernel _ZL33flash_attn_stream_k_fixup_generalILi128ELi4ELi1EEvPfPK15HIP_vector_typeIfLj2EEiiiiS1_IjLj3EES5_S5_S5_
		.amdhsa_group_segment_fixed_size 0
		.amdhsa_private_segment_fixed_size 0
		.amdhsa_kernarg_size 336
		.amdhsa_user_sgpr_count 2
		.amdhsa_user_sgpr_dispatch_ptr 0
		.amdhsa_user_sgpr_queue_ptr 0
		.amdhsa_user_sgpr_kernarg_segment_ptr 1
		.amdhsa_user_sgpr_dispatch_id 0
		.amdhsa_user_sgpr_kernarg_preload_length 0
		.amdhsa_user_sgpr_kernarg_preload_offset 0
		.amdhsa_user_sgpr_private_segment_size 0
		.amdhsa_wavefront_size32 1
		.amdhsa_uses_dynamic_stack 0
		.amdhsa_enable_private_segment 0
		.amdhsa_system_sgpr_workgroup_id_x 1
		.amdhsa_system_sgpr_workgroup_id_y 1
		.amdhsa_system_sgpr_workgroup_id_z 1
		.amdhsa_system_sgpr_workgroup_info 0
		.amdhsa_system_vgpr_workitem_id 0
		.amdhsa_next_free_vgpr 12
		.amdhsa_next_free_sgpr 46
		.amdhsa_named_barrier_count 0
		.amdhsa_reserve_vcc 1
		.amdhsa_float_round_mode_32 0
		.amdhsa_float_round_mode_16_64 0
		.amdhsa_float_denorm_mode_32 3
		.amdhsa_float_denorm_mode_16_64 3
		.amdhsa_fp16_overflow 0
		.amdhsa_memory_ordered 1
		.amdhsa_forward_progress 1
		.amdhsa_inst_pref_size 27
		.amdhsa_round_robin_scheduling 0
		.amdhsa_exception_fp_ieee_invalid_op 0
		.amdhsa_exception_fp_denorm_src 0
		.amdhsa_exception_fp_ieee_div_zero 0
		.amdhsa_exception_fp_ieee_overflow 0
		.amdhsa_exception_fp_ieee_underflow 0
		.amdhsa_exception_fp_ieee_inexact 0
		.amdhsa_exception_int_div_zero 0
	.end_amdhsa_kernel
	.section	.text._ZL33flash_attn_stream_k_fixup_generalILi128ELi4ELi1EEvPfPK15HIP_vector_typeIfLj2EEiiiiS1_IjLj3EES5_S5_S5_,"axG",@progbits,_ZL33flash_attn_stream_k_fixup_generalILi128ELi4ELi1EEvPfPK15HIP_vector_typeIfLj2EEiiiiS1_IjLj3EES5_S5_S5_,comdat
.Lfunc_end67:
	.size	_ZL33flash_attn_stream_k_fixup_generalILi128ELi4ELi1EEvPfPK15HIP_vector_typeIfLj2EEiiiiS1_IjLj3EES5_S5_S5_, .Lfunc_end67-_ZL33flash_attn_stream_k_fixup_generalILi128ELi4ELi1EEvPfPK15HIP_vector_typeIfLj2EEiiiiS1_IjLj3EES5_S5_S5_
                                        ; -- End function
	.set _ZL33flash_attn_stream_k_fixup_generalILi128ELi4ELi1EEvPfPK15HIP_vector_typeIfLj2EEiiiiS1_IjLj3EES5_S5_S5_.num_vgpr, 12
	.set _ZL33flash_attn_stream_k_fixup_generalILi128ELi4ELi1EEvPfPK15HIP_vector_typeIfLj2EEiiiiS1_IjLj3EES5_S5_S5_.num_agpr, 0
	.set _ZL33flash_attn_stream_k_fixup_generalILi128ELi4ELi1EEvPfPK15HIP_vector_typeIfLj2EEiiiiS1_IjLj3EES5_S5_S5_.numbered_sgpr, 46
	.set _ZL33flash_attn_stream_k_fixup_generalILi128ELi4ELi1EEvPfPK15HIP_vector_typeIfLj2EEiiiiS1_IjLj3EES5_S5_S5_.num_named_barrier, 0
	.set _ZL33flash_attn_stream_k_fixup_generalILi128ELi4ELi1EEvPfPK15HIP_vector_typeIfLj2EEiiiiS1_IjLj3EES5_S5_S5_.private_seg_size, 0
	.set _ZL33flash_attn_stream_k_fixup_generalILi128ELi4ELi1EEvPfPK15HIP_vector_typeIfLj2EEiiiiS1_IjLj3EES5_S5_S5_.uses_vcc, 1
	.set _ZL33flash_attn_stream_k_fixup_generalILi128ELi4ELi1EEvPfPK15HIP_vector_typeIfLj2EEiiiiS1_IjLj3EES5_S5_S5_.uses_flat_scratch, 0
	.set _ZL33flash_attn_stream_k_fixup_generalILi128ELi4ELi1EEvPfPK15HIP_vector_typeIfLj2EEiiiiS1_IjLj3EES5_S5_S5_.has_dyn_sized_stack, 0
	.set _ZL33flash_attn_stream_k_fixup_generalILi128ELi4ELi1EEvPfPK15HIP_vector_typeIfLj2EEiiiiS1_IjLj3EES5_S5_S5_.has_recursion, 0
	.set _ZL33flash_attn_stream_k_fixup_generalILi128ELi4ELi1EEvPfPK15HIP_vector_typeIfLj2EEiiiiS1_IjLj3EES5_S5_S5_.has_indirect_call, 0
	.section	.AMDGPU.csdata,"",@progbits
; Kernel info:
; codeLenInByte = 3352
; TotalNumSgprs: 48
; NumVgprs: 12
; ScratchSize: 0
; MemoryBound: 0
; FloatMode: 240
; IeeeMode: 1
; LDSByteSize: 0 bytes/workgroup (compile time only)
; SGPRBlocks: 0
; VGPRBlocks: 0
; NumSGPRsForWavesPerEU: 48
; NumVGPRsForWavesPerEU: 12
; NamedBarCnt: 0
; Occupancy: 16
; WaveLimiterHint : 0
; COMPUTE_PGM_RSRC2:SCRATCH_EN: 0
; COMPUTE_PGM_RSRC2:USER_SGPR: 2
; COMPUTE_PGM_RSRC2:TRAP_HANDLER: 0
; COMPUTE_PGM_RSRC2:TGID_X_EN: 1
; COMPUTE_PGM_RSRC2:TGID_Y_EN: 1
; COMPUTE_PGM_RSRC2:TGID_Z_EN: 1
; COMPUTE_PGM_RSRC2:TIDIG_COMP_CNT: 0
	.section	.text._ZL15flash_attn_tileILi128ELi128ELi2ELi1ELb0EEvPKcS1_S1_S1_S1_PKiPfP15HIP_vector_typeIfLj2EEffffjfiS5_IjLj3EEiiiiiiiiiiiliiliiiiil,"axG",@progbits,_ZL15flash_attn_tileILi128ELi128ELi2ELi1ELb0EEvPKcS1_S1_S1_S1_PKiPfP15HIP_vector_typeIfLj2EEffffjfiS5_IjLj3EEiiiiiiiiiiiliiliiiiil,comdat
	.globl	_ZL15flash_attn_tileILi128ELi128ELi2ELi1ELb0EEvPKcS1_S1_S1_S1_PKiPfP15HIP_vector_typeIfLj2EEffffjfiS5_IjLj3EEiiiiiiiiiiiliiliiiiil ; -- Begin function _ZL15flash_attn_tileILi128ELi128ELi2ELi1ELb0EEvPKcS1_S1_S1_S1_PKiPfP15HIP_vector_typeIfLj2EEffffjfiS5_IjLj3EEiiiiiiiiiiiliiliiiiil
	.p2align	8
	.type	_ZL15flash_attn_tileILi128ELi128ELi2ELi1ELb0EEvPKcS1_S1_S1_S1_PKiPfP15HIP_vector_typeIfLj2EEffffjfiS5_IjLj3EEiiiiiiiiiiiliiliiiiil,@function
_ZL15flash_attn_tileILi128ELi128ELi2ELi1ELb0EEvPKcS1_S1_S1_S1_PKiPfP15HIP_vector_typeIfLj2EEffffjfiS5_IjLj3EEiiiiiiiiiiiliiliiiiil: ; @_ZL15flash_attn_tileILi128ELi128ELi2ELi1ELb0EEvPKcS1_S1_S1_S1_PKiPfP15HIP_vector_typeIfLj2EEffffjfiS5_IjLj3EEiiiiiiiiiiiliiliiiiil
; %bb.0:
	s_clause 0x1
	s_load_b128 s[20:23], s[0:1], 0x5c
	s_load_b64 s[2:3], s[0:1], 0x80
	s_bfe_u32 s6, ttmp6, 0x40014
	s_lshr_b32 s5, ttmp7, 16
	s_add_co_i32 s6, s6, 1
	s_bfe_u32 s7, ttmp6, 0x40008
	s_mul_i32 s6, s5, s6
	s_getreg_b32 s40, hwreg(HW_REG_IB_STS2, 6, 4)
	s_add_co_i32 s7, s7, s6
	s_load_b64 s[36:37], s[0:1], 0xb8
	s_mov_b32 s35, 0
	s_mov_b64 s[30:31], 0
	s_wait_kmcnt 0x0
	s_cvt_f32_u32 s4, s23
	s_sub_co_i32 s8, 0, s23
	s_delay_alu instid0(SALU_CYCLE_2) | instskip(SKIP_1) | instid1(TRANS32_DEP_1)
	v_rcp_iflag_f32_e32 v1, s4
	v_nop
	v_readfirstlane_b32 s4, v1
	s_mul_f32 s4, s4, 0x4f7ffffe
	s_delay_alu instid0(SALU_CYCLE_3) | instskip(NEXT) | instid1(SALU_CYCLE_3)
	s_cvt_u32_f32 s4, s4
	s_mul_i32 s8, s8, s4
	s_delay_alu instid0(SALU_CYCLE_1) | instskip(NEXT) | instid1(SALU_CYCLE_1)
	s_mul_hi_u32 s8, s4, s8
	s_add_co_i32 s4, s4, s8
	s_cmp_eq_u32 s40, 0
	s_cselect_b32 s5, s5, s7
	s_delay_alu instid0(SALU_CYCLE_1) | instskip(NEXT) | instid1(SALU_CYCLE_1)
	s_mul_hi_u32 s4, s5, s4
	s_mul_i32 s6, s4, s23
	s_add_co_i32 s7, s4, 1
	s_sub_co_i32 s6, s5, s6
	s_delay_alu instid0(SALU_CYCLE_1)
	s_sub_co_i32 s8, s6, s23
	s_cmp_ge_u32 s6, s23
	s_cselect_b32 s4, s7, s4
	s_cselect_b32 s6, s8, s6
	s_add_co_i32 s7, s4, 1
	s_cmp_ge_u32 s6, s23
	s_cselect_b32 s28, s7, s4
	s_abs_i32 s4, s3
	s_mul_i32 s8, s28, s23
	s_cvt_f32_u32 s6, s4
	s_sub_co_i32 s7, 0, s4
	s_abs_i32 s9, s23
	s_sub_co_i32 s33, s5, s8
	v_rcp_iflag_f32_e32 v1, s6
	s_xor_b32 s3, s23, s3
	s_delay_alu instid0(SALU_CYCLE_1) | instskip(SKIP_1) | instid1(TRANS32_DEP_1)
	s_ashr_i32 s3, s3, 31
	v_nop
	v_readfirstlane_b32 s6, v1
	s_mul_f32 s6, s6, 0x4f7ffffe
	s_delay_alu instid0(SALU_CYCLE_3) | instskip(NEXT) | instid1(SALU_CYCLE_3)
	s_cvt_u32_f32 s6, s6
	s_mul_i32 s7, s7, s6
	s_delay_alu instid0(SALU_CYCLE_1) | instskip(NEXT) | instid1(SALU_CYCLE_1)
	s_mul_hi_u32 s7, s6, s7
	s_add_co_i32 s6, s6, s7
	s_delay_alu instid0(SALU_CYCLE_1) | instskip(NEXT) | instid1(SALU_CYCLE_1)
	s_mul_hi_u32 s5, s9, s6
	s_mul_i32 s6, s5, s4
	s_add_co_i32 s7, s5, 1
	s_sub_co_i32 s6, s9, s6
	s_delay_alu instid0(SALU_CYCLE_1)
	s_sub_co_i32 s8, s6, s4
	s_cmp_ge_u32 s6, s4
	s_cselect_b32 s5, s7, s5
	s_cselect_b32 s6, s8, s6
	s_add_co_i32 s7, s5, 1
	s_cmp_ge_u32 s6, s4
	s_cselect_b32 s4, s7, s5
	s_abs_i32 s34, s33
	s_xor_b32 s4, s4, s3
	s_delay_alu instid0(SALU_CYCLE_1) | instskip(NEXT) | instid1(SALU_CYCLE_1)
	s_sub_co_i32 s29, s4, s3
	s_abs_i32 s3, s29
	s_delay_alu instid0(SALU_CYCLE_1) | instskip(SKIP_1) | instid1(SALU_CYCLE_2)
	s_cvt_f32_u32 s4, s3
	s_sub_co_i32 s25, 0, s3
	v_rcp_iflag_f32_e32 v1, s4
	s_load_b512 s[4:19], s[0:1], 0x0
	v_nop
	s_delay_alu instid0(TRANS32_DEP_1) | instskip(SKIP_1) | instid1(SALU_CYCLE_3)
	v_readfirstlane_b32 s24, v1
	s_mul_f32 s24, s24, 0x4f7ffffe
	s_cvt_u32_f32 s24, s24
	s_delay_alu instid0(SALU_CYCLE_3) | instskip(NEXT) | instid1(SALU_CYCLE_1)
	s_mul_i32 s25, s25, s24
	s_mul_hi_u32 s25, s24, s25
	s_delay_alu instid0(SALU_CYCLE_1)
	s_add_co_i32 s38, s24, s25
	s_wait_kmcnt 0x0
	s_cmp_eq_u64 s[10:11], 0
	s_cbranch_scc1 .LBB68_2
; %bb.1:
	s_abs_i32 s26, s36
	s_abs_i32 s27, s28
	s_cvt_f32_u32 s24, s26
	s_sub_co_i32 s25, 0, s26
	s_delay_alu instid0(SALU_CYCLE_2) | instskip(SKIP_1) | instid1(TRANS32_DEP_1)
	v_rcp_iflag_f32_e32 v1, s24
	v_nop
	v_readfirstlane_b32 s24, v1
	s_mul_f32 s24, s24, 0x4f7ffffe
	s_delay_alu instid0(SALU_CYCLE_3) | instskip(NEXT) | instid1(SALU_CYCLE_3)
	s_cvt_u32_f32 s24, s24
	s_mul_i32 s25, s25, s24
	s_delay_alu instid0(SALU_CYCLE_1) | instskip(NEXT) | instid1(SALU_CYCLE_1)
	s_mul_hi_u32 s25, s24, s25
	s_add_co_i32 s24, s24, s25
	s_delay_alu instid0(SALU_CYCLE_1) | instskip(SKIP_2) | instid1(SALU_CYCLE_1)
	s_mul_hi_u32 s30, s27, s24
	s_load_b64 s[24:25], s[0:1], 0xc8
	s_mul_i32 s30, s30, s26
	s_sub_co_i32 s27, s27, s30
	s_ashr_i32 s30, s28, 31
	s_sub_co_i32 s31, s27, s26
	s_cmp_ge_u32 s27, s26
	s_cselect_b32 s27, s31, s27
	s_delay_alu instid0(SALU_CYCLE_1) | instskip(SKIP_2) | instid1(SALU_CYCLE_1)
	s_sub_co_i32 s31, s27, s26
	s_cmp_ge_u32 s27, s26
	s_cselect_b32 s26, s31, s27
	s_xor_b32 s26, s26, s30
	s_delay_alu instid0(SALU_CYCLE_1) | instskip(NEXT) | instid1(SALU_CYCLE_1)
	s_sub_co_i32 s26, s26, s30
	s_ashr_i32 s27, s26, 31
	s_wait_kmcnt 0x0
	s_mul_u64 s[24:25], s[24:25], s[26:27]
	s_delay_alu instid0(SALU_CYCLE_1)
	s_add_nc_u64 s[30:31], s[10:11], s[24:25]
.LBB68_2:
	s_clause 0x1
	s_load_b128 s[24:27], s[0:1], 0x40
	s_load_b32 s10, s[0:1], 0x50
	v_mov_b32_e32 v27, 1.0
	s_mov_b32 s39, s35
	s_wait_kmcnt 0x0
	s_cmp_le_f32 s25, 0
	s_cbranch_scc1 .LBB68_4
; %bb.3:
	v_sub_co_u32 v1, s10, s33, s10
	s_and_b32 s36, s10, exec_lo
	s_cselect_b32 s26, s26, s27
	s_add_co_i32 s27, s33, 1
	v_readfirstlane_b32 s11, v1
	s_lshl_b32 s11, s11, 1
	s_delay_alu instid0(SALU_CYCLE_1) | instskip(SKIP_4) | instid1(SALU_CYCLE_3)
	s_or_b32 s11, s11, 1
	s_and_b32 s10, s10, exec_lo
	s_cselect_b32 s10, s27, s11
	s_cmp_neq_f32 s26, 1.0
	s_cvt_f32_i32 s10, s10
	s_cselect_b32 s11, s10, 1.0
	s_delay_alu instid0(SALU_CYCLE_1) | instskip(SKIP_1) | instid1(SALU_CYCLE_1)
	s_cmp_neq_f32 s11, 0
	s_cselect_b32 s10, s26, 1.0
	v_cvt_f64_f32_e64 v[2:3], |s10|
	s_delay_alu instid0(VALU_DEP_1) | instskip(SKIP_1) | instid1(VALU_DEP_1)
	v_frexp_exp_i32_f64_e32 v1, v[2:3]
	v_frexp_mant_f32_e64 v2, |s10|
	v_readfirstlane_b32 s26, v2
	s_cmp_lt_f32 s26, 0x3f2aaaab
	s_cselect_b32 vcc_lo, -1, 0
	s_delay_alu instid0(SALU_CYCLE_1) | instskip(SKIP_1) | instid1(SALU_CYCLE_1)
	s_and_b32 s27, vcc_lo, exec_lo
	s_cselect_b32 s27, 2.0, 1.0
	s_mul_f32 s26, s26, s27
	s_delay_alu instid0(SALU_CYCLE_3) | instskip(SKIP_1) | instid1(SALU_CYCLE_2)
	s_add_f32 s27, s26, 1.0
	s_add_f32 s41, s26, -1.0
	v_s_rcp_f32 s36, s27
	s_add_f32 s44, s27, -1.0
	v_subrev_co_ci_u32_e64 v1, null, 0, v1, vcc_lo
	s_delay_alu instid0(SALU_CYCLE_2) | instskip(NEXT) | instid1(TRANS32_DEP_1)
	s_sub_f32 s26, s26, s44
	s_mul_f32 s42, s41, s36
	v_cvt_f32_i32_e32 v1, v1
	s_delay_alu instid0(SALU_CYCLE_2) | instskip(NEXT) | instid1(SALU_CYCLE_3)
	s_mul_f32 s43, s27, s42
	v_dual_mov_b32 v3, s41 :: v_dual_mov_b32 v4, s43
	s_xor_b32 s45, s43, 0x80000000
	s_delay_alu instid0(SALU_CYCLE_1) | instskip(NEXT) | instid1(SALU_CYCLE_3)
	s_fmac_f32 s45, s42, s27
	s_fmac_f32 s45, s42, s26
	s_delay_alu instid0(SALU_CYCLE_3) | instskip(SKIP_2) | instid1(SALU_CYCLE_1)
	s_add_f32 s26, s43, s45
	v_mov_b32_e32 v6, s45
	s_mov_b32 s43, 0x3e76c4e1
	s_sub_f32 s27, s41, s26
	v_dual_mov_b32 v2, s26 :: v_dual_mov_b32 v7, s26
	s_delay_alu instid0(SALU_CYCLE_2) | instskip(NEXT) | instid1(VALU_DEP_1)
	v_mov_b32_e32 v5, s27
	v_pk_add_f32 v[2:3], v[2:3], v[4:5] neg_lo:[0,1] neg_hi:[0,1]
	s_delay_alu instid0(VALU_DEP_1) | instskip(NEXT) | instid1(VALU_DEP_1)
	v_pk_add_f32 v[2:3], v[2:3], v[6:7] neg_lo:[0,1] neg_hi:[0,1]
	v_readfirstlane_b32 s26, v3
	s_delay_alu instid0(VALU_DEP_2) | instskip(SKIP_1) | instid1(SALU_CYCLE_3)
	v_readfirstlane_b32 s41, v2
	s_add_f32 s26, s41, s26
	s_add_f32 s26, s27, s26
	s_delay_alu instid0(SALU_CYCLE_3) | instskip(NEXT) | instid1(SALU_CYCLE_3)
	s_mul_f32 s27, s36, s26
	s_add_f32 s26, s42, s27
	s_delay_alu instid0(SALU_CYCLE_3) | instskip(SKIP_1) | instid1(SALU_CYCLE_2)
	s_sub_f32 s36, s26, s42
	s_mul_f32 s41, s26, s26
	s_sub_f32 s36, s27, s36
	s_delay_alu instid0(SALU_CYCLE_2) | instskip(NEXT) | instid1(SALU_CYCLE_1)
	s_xor_b32 s27, s41, 0x80000000
	s_fmac_f32 s27, s26, s26
	s_delay_alu instid0(SALU_CYCLE_1) | instskip(NEXT) | instid1(SALU_CYCLE_3)
	s_add_f32 s42, s36, s36
	s_fmac_f32 s27, s26, s42
	s_delay_alu instid0(SALU_CYCLE_3) | instskip(NEXT) | instid1(SALU_CYCLE_3)
	s_add_f32 s42, s41, s27
	s_fmaak_f32 s43, s42, s43, 0x3e91f4c4
	s_sub_f32 s41, s42, s41
	s_delay_alu instid0(SALU_CYCLE_2) | instskip(NEXT) | instid1(SALU_CYCLE_2)
	s_fmaak_f32 s43, s42, s43, 0x3ecccdef
	s_sub_f32 s41, s27, s41
	s_delay_alu instid0(SALU_CYCLE_2) | instskip(NEXT) | instid1(SALU_CYCLE_3)
	s_mul_f32 s44, s42, s43
	s_xor_b32 s45, s44, 0x80000000
	s_delay_alu instid0(SALU_CYCLE_1) | instskip(NEXT) | instid1(SALU_CYCLE_3)
	s_fmac_f32 s45, s42, s43
	s_fmac_f32 s45, s41, s43
	s_delay_alu instid0(SALU_CYCLE_3) | instskip(NEXT) | instid1(SALU_CYCLE_3)
	s_add_f32 s43, s44, s45
	s_sub_f32 s27, s43, s44
	s_add_f32 s44, s43, 0x3f2aaaaa
	s_delay_alu instid0(SALU_CYCLE_2) | instskip(NEXT) | instid1(SALU_CYCLE_2)
	s_sub_f32 s27, s45, s27
	s_add_f32 s45, s44, 0xbf2aaaaa
	s_delay_alu instid0(SALU_CYCLE_2) | instskip(NEXT) | instid1(SALU_CYCLE_2)
	s_add_f32 s27, s27, 0x31739010
	s_sub_f32 s43, s43, s45
	s_delay_alu instid0(SALU_CYCLE_2) | instskip(NEXT) | instid1(SALU_CYCLE_2)
	v_mov_b64_e32 v[2:3], s[26:27]
	v_mov_b64_e32 v[4:5], s[42:43]
	s_delay_alu instid0(VALU_DEP_1) | instskip(SKIP_2) | instid1(VALU_DEP_3)
	v_pk_mul_f32 v[6:7], v[2:3], v[4:5]
	v_pk_add_f32 v[2:3], v[2:3], v[4:5]
	v_mov_b32_e32 v9, s44
	v_xor_b32_e32 v8, 0x80000000, v6
	s_delay_alu instid0(VALU_DEP_3) | instskip(NEXT) | instid1(VALU_DEP_2)
	v_mov_b32_e32 v7, v3
	v_fmac_f32_e64 v8, s42, s26
	s_delay_alu instid0(VALU_DEP_1) | instskip(NEXT) | instid1(VALU_DEP_1)
	v_fmac_f32_e64 v8, s42, s36
	v_fmac_f32_e64 v8, s41, s26
	s_delay_alu instid0(VALU_DEP_1) | instskip(NEXT) | instid1(VALU_DEP_1)
	v_pk_add_f32 v[4:5], v[6:7], v[8:9]
	v_dual_mov_b32 v2, v5 :: v_dual_sub_f32 v7, s44, v5
	v_mul_f32_e32 v12, 0x3f317218, v1
	s_delay_alu instid0(VALU_DEP_2) | instskip(NEXT) | instid1(VALU_DEP_3)
	v_pk_mul_f32 v[10:11], v[4:5], v[2:3]
	v_add_f32_e32 v3, v3, v7
	s_delay_alu instid0(VALU_DEP_3) | instskip(NEXT) | instid1(VALU_DEP_3)
	v_xor_b32_e32 v7, 0x80000000, v12
	v_xor_b32_e32 v2, 0x80000000, v10
	s_delay_alu instid0(VALU_DEP_2) | instskip(NEXT) | instid1(VALU_DEP_2)
	v_dual_sub_f32 v6, v4, v6 :: v_dual_fmac_f32 v7, 0x3f317218, v1
	v_fmac_f32_e32 v2, v4, v5
	s_delay_alu instid0(VALU_DEP_2) | instskip(NEXT) | instid1(VALU_DEP_2)
	v_sub_f32_e32 v6, v8, v6
	v_fmac_f32_e32 v2, v4, v3
	s_delay_alu instid0(VALU_DEP_1) | instskip(SKIP_3) | instid1(VALU_DEP_2)
	v_fmac_f32_e32 v2, v6, v5
	v_fmamk_f32 v4, v1, 0xb102e308, v7
	v_ldexp_f32 v5, s26, 1
	v_ldexp_f32 v1, s36, 1
	v_dual_add_f32 v13, v10, v2 :: v_dual_mov_b32 v11, v5
	s_delay_alu instid0(VALU_DEP_1) | instskip(SKIP_1) | instid1(VALU_DEP_2)
	v_pk_add_f32 v[6:7], v[12:13], v[4:5]
	v_dual_mov_b32 v8, v13 :: v_dual_mov_b32 v3, v13
	v_dual_mov_b32 v9, v7 :: v_dual_mov_b32 v5, v6
	v_mov_b32_e32 v14, v7
	s_delay_alu instid0(VALU_DEP_2) | instskip(NEXT) | instid1(VALU_DEP_1)
	v_pk_add_f32 v[8:9], v[8:9], v[10:11] neg_lo:[0,1] neg_hi:[0,1]
	v_pk_add_f32 v[2:3], v[2:3], v[8:9] neg_lo:[0,1] neg_hi:[0,1]
	s_delay_alu instid0(VALU_DEP_1) | instskip(NEXT) | instid1(VALU_DEP_1)
	v_add_f32_e32 v1, v1, v2
	v_add_f32_e32 v13, v1, v3
	s_delay_alu instid0(VALU_DEP_1) | instskip(SKIP_1) | instid1(VALU_DEP_2)
	v_pk_add_f32 v[2:3], v[6:7], v[12:13]
	v_pk_add_f32 v[8:9], v[6:7], v[12:13] neg_lo:[0,1] neg_hi:[0,1]
	v_mov_b32_e32 v9, v3
	s_delay_alu instid0(VALU_DEP_1) | instskip(SKIP_2) | instid1(VALU_DEP_3)
	v_pk_add_f32 v[10:11], v[4:5], v[8:9]
	v_pk_add_f32 v[4:5], v[4:5], v[8:9] neg_lo:[0,1] neg_hi:[0,1]
	v_dual_mov_b32 v16, v3 :: v_dual_mov_b32 v5, v6
	v_dual_mov_b32 v12, v11 :: v_dual_mov_b32 v17, v11
	s_delay_alu instid0(VALU_DEP_3) | instskip(NEXT) | instid1(VALU_DEP_2)
	v_readfirstlane_b32 s26, v4
	v_pk_add_f32 v[8:9], v[12:13], v[6:7] neg_lo:[0,1] neg_hi:[0,1]
	s_delay_alu instid0(VALU_DEP_2) | instskip(NEXT) | instid1(VALU_DEP_2)
	v_dual_mov_b32 v4, v13 :: v_dual_mov_b32 v10, s26
	v_dual_mov_b32 v15, v8 :: v_dual_mov_b32 v1, v8
	s_delay_alu instid0(VALU_DEP_1) | instskip(NEXT) | instid1(VALU_DEP_2)
	v_pk_add_f32 v[6:7], v[16:17], v[14:15] neg_lo:[0,1] neg_hi:[0,1]
	v_pk_add_f32 v[2:3], v[2:3], v[0:1] neg_lo:[0,1] neg_hi:[0,1]
	v_mov_b32_e32 v2, s26
	s_delay_alu instid0(VALU_DEP_3) | instskip(NEXT) | instid1(VALU_DEP_1)
	v_pk_add_f32 v[4:5], v[4:5], v[6:7] neg_lo:[0,1] neg_hi:[0,1]
	v_pk_add_f32 v[2:3], v[2:3], v[4:5]
	s_delay_alu instid0(VALU_DEP_1) | instskip(NEXT) | instid1(VALU_DEP_2)
	v_readfirstlane_b32 s27, v2
	v_mov_b32_e32 v6, v3
	s_delay_alu instid0(VALU_DEP_1) | instskip(NEXT) | instid1(VALU_DEP_3)
	v_pk_add_f32 v[6:7], v[2:3], v[6:7]
	v_mov_b32_e32 v2, s27
	s_delay_alu instid0(VALU_DEP_2) | instskip(SKIP_1) | instid1(VALU_DEP_2)
	v_pk_add_f32 v[8:9], v[12:13], v[6:7]
	v_mov_b32_e32 v5, v6
	v_readfirstlane_b32 s36, v8
	s_delay_alu instid0(VALU_DEP_1) | instskip(NEXT) | instid1(VALU_DEP_1)
	v_mov_b32_e32 v3, s36
	v_pk_add_f32 v[2:3], v[2:3], v[10:11] neg_lo:[0,1] neg_hi:[0,1]
	s_delay_alu instid0(VALU_DEP_1) | instskip(NEXT) | instid1(VALU_DEP_2)
	v_readfirstlane_b32 s41, v2
	v_pk_add_f32 v[2:3], v[4:5], v[2:3] neg_lo:[0,1] neg_hi:[0,1]
	s_sub_f32 s27, s27, s41
	s_delay_alu instid0(VALU_DEP_1) | instskip(NEXT) | instid1(SALU_CYCLE_2)
	v_readfirstlane_b32 s41, v2
	s_sub_f32 s26, s26, s27
	v_readfirstlane_b32 s27, v3
	s_delay_alu instid0(SALU_CYCLE_2) | instskip(NEXT) | instid1(SALU_CYCLE_3)
	s_add_f32 s26, s41, s26
	s_add_f32 s26, s26, s27
	s_delay_alu instid0(SALU_CYCLE_3) | instskip(NEXT) | instid1(SALU_CYCLE_3)
	s_add_f32 s27, s36, s26
	s_mul_f32 s41, s11, s27
	s_sub_f32 s36, s27, s36
	s_delay_alu instid0(SALU_CYCLE_2) | instskip(NEXT) | instid1(SALU_CYCLE_2)
	s_xor_b32 s42, s41, 0x80000000
	s_sub_f32 s26, s26, s36
	s_fmac_f32 s42, s11, s27
	s_delay_alu instid0(SALU_CYCLE_3) | instskip(SKIP_1) | instid1(SALU_CYCLE_2)
	s_fmac_f32 s42, s11, s26
	v_cmp_class_f32_e64 s26, s41, 0x204
	s_add_f32 s27, s41, s42
	s_and_b32 s26, s26, exec_lo
	s_delay_alu instid0(SALU_CYCLE_2) | instskip(SKIP_1) | instid1(SALU_CYCLE_1)
	s_sub_f32 s26, s27, s41
	s_cselect_b32 s27, s41, s27
	s_and_b32 s36, s27, 0x7fffffff
	s_delay_alu instid0(SALU_CYCLE_1) | instskip(SKIP_1) | instid1(SALU_CYCLE_2)
	s_sub_f32 s26, s42, s26
	s_cmp_neq_f32 s36, 0x7f800000
	s_cselect_b32 s26, s26, 0
	s_cmp_eq_f32 s27, 0x42b17218
	s_cselect_b32 s36, 0x37000000, 0
	s_delay_alu instid0(SALU_CYCLE_1) | instskip(SKIP_1) | instid1(SALU_CYCLE_2)
	s_sub_f32 s27, s27, s36
	s_add_f32 s26, s36, s26
	s_mul_f32 s41, s27, 0x3fb8aa3b
	s_delay_alu instid0(SALU_CYCLE_3) | instskip(SKIP_3) | instid1(SALU_CYCLE_1)
	s_xor_b32 s42, s41, 0x80000000
	s_rndne_f32 s43, s41
	s_fmamk_f32 s42, s27, 0x3fb8aa3b, s42
	s_cmp_nlt_f32 s27, 0xc2ce8ed0
	s_sub_f32 s41, s41, s43
	s_delay_alu instid0(SALU_CYCLE_1)
	s_fmamk_f32 s42, s27, 0x32a5705f, s42
	s_cselect_b32 vcc_lo, -1, 0
	s_cmp_ngt_f32 s27, 0x42b17218
	s_trunc_f32 s27, s11
	s_add_f32 s41, s41, s42
	s_cvt_i32_f32 s42, s43
	s_delay_alu instid0(SALU_CYCLE_2)
	v_s_exp_f32 s41, s41
	v_nop
	s_delay_alu instid0(TRANS32_DEP_1) | instid1(SALU_CYCLE_1)
	v_ldexp_f32 v1, s41, s42
	s_mul_f32 s41, s11, 0.5
	s_delay_alu instid0(VALU_DEP_1) | instskip(SKIP_3) | instid1(VALU_DEP_1)
	v_cndmask_b32_e32 v1, 0, v1, vcc_lo
	s_cselect_b32 vcc_lo, -1, 0
	s_cmp_eq_f32 s27, s11
	s_trunc_f32 s42, s41
	v_cndmask_b32_e32 v1, 0x7f800000, v1, vcc_lo
	s_cselect_b32 s43, -1, 0
	s_delay_alu instid0(SALU_CYCLE_1) | instskip(NEXT) | instid1(VALU_DEP_1)
	s_cmp_neq_f32 s42, s41
	v_fma_f32 v2, s26, v1, v1
	v_cmp_class_f32_e64 vcc_lo, v1, 0x204
	s_cselect_b32 s36, -1, 0
	s_delay_alu instid0(SALU_CYCLE_1)
	s_and_b32 s26, s43, s36
	v_cndmask_b32_e32 v1, v2, v1, vcc_lo
	s_and_b32 s36, s26, exec_lo
	s_cselect_b32 s36, s10, 1.0
	s_cmp_eq_f32 s27, s11
	v_cmp_class_f32_e64 s27, s10, 0x204
	v_bfi_b32 v1, 0x7fffffff, v1, s36
	s_cselect_b32 vcc_lo, -1, 0
	s_cmp_lt_f32 s10, 0
	s_delay_alu instid0(VALU_DEP_1) | instskip(SKIP_2) | instid1(VALU_DEP_1)
	v_cndmask_b32_e32 v2, 0x7fc00000, v1, vcc_lo
	s_cselect_b32 vcc_lo, -1, 0
	s_cmp_eq_f32 s10, 0
	v_cndmask_b32_e32 v1, v1, v2, vcc_lo
	s_cselect_b32 s36, -1, 0
	s_delay_alu instid0(SALU_CYCLE_1) | instskip(SKIP_2) | instid1(SALU_CYCLE_1)
	s_or_b32 vcc_lo, s36, s27
	s_cmp_lt_f32 s11, 0
	s_cselect_b32 s11, -1, 0
	s_xor_b32 s11, s11, s36
	s_delay_alu instid0(SALU_CYCLE_1)
	s_and_b32 s11, s11, exec_lo
	s_cselect_b32 s11, 0, 0x7f800000
	s_and_b32 s26, s26, exec_lo
	s_cselect_b32 s26, s10, 0
	s_cmp_o_f32 s10, s10
	v_mov_b32_e32 v2, s26
	s_delay_alu instid0(VALU_DEP_1) | instskip(NEXT) | instid1(VALU_DEP_1)
	v_bfi_b32 v2, 0x7fffffff, s11, v2
	v_cndmask_b32_e32 v1, v1, v2, vcc_lo
	s_cselect_b32 vcc_lo, -1, 0
	s_delay_alu instid0(VALU_DEP_1)
	v_cndmask_b32_e32 v27, 0x7fc00000, v1, vcc_lo
.LBB68_4:
	s_bfe_u32 s11, ttmp6, 0x4000c
	s_and_b32 s26, ttmp6, 15
	s_add_co_i32 s11, s11, 1
	s_ashr_i32 s10, s33, 31
	s_mul_i32 s27, ttmp9, s11
	s_ashr_i32 s11, s29, 31
	s_add_co_i32 s26, s26, s27
	v_bfe_u32 v23, v0, 10, 10
	s_cmp_eq_u32 s40, 0
	s_load_b96 s[44:46], s[0:1], 0x70
	s_cselect_b32 s26, ttmp9, s26
	v_and_b32_e32 v48, 0x3ff, v0
	v_lshl_add_u32 v49, s26, 1, v23
	v_lshl_add_u32 v54, v23, 8, 0x1200
	s_delay_alu instid0(VALU_DEP_3) | instskip(NEXT) | instid1(VALU_DEP_3)
	v_dual_mov_b32 v21, 0 :: v_dual_lshlrev_b32 v0, 4, v48
	v_mul_hi_u32 v1, s20, v49
	s_delay_alu instid0(VALU_DEP_1) | instskip(SKIP_3) | instid1(SALU_CYCLE_1)
	v_dual_lshlrev_b32 v51, 3, v48 :: v_dual_add_nc_u32 v1, v49, v1
	s_wait_kmcnt 0x0
	s_mul_i32 s20, s33, s45
	s_ashr_i32 s45, s44, 31
	s_lshr_b64 s[42:43], s[44:45], 2
	v_lshrrev_b32_e32 v1, s21, v1
	s_ashr_i32 s21, s20, 31
	s_delay_alu instid0(VALU_DEP_1) | instskip(NEXT) | instid1(VALU_DEP_1)
	v_mul_lo_u32 v1, v1, s22
	v_sub_nc_u32_e32 v20, v49, v1
	v_mov_b32_e32 v1, v21
	s_delay_alu instid0(VALU_DEP_2) | instskip(SKIP_1) | instid1(SALU_CYCLE_1)
	v_mul_u64_e32 v[2:3], s[42:43], v[20:21]
	s_mul_i32 s42, s28, s46
	s_ashr_i32 s43, s42, 31
	s_cmp_eq_u64 s[14:15], 0
	s_add_nc_u64 s[4:5], s[4:5], s[42:43]
	s_delay_alu instid0(SALU_CYCLE_1)
	s_add_nc_u64 s[4:5], s[4:5], s[20:21]
	s_delay_alu instid0(VALU_DEP_1) | instid1(SALU_CYCLE_1)
	v_lshl_add_u64 v[2:3], v[2:3], 2, s[4:5]
	s_mul_u64 s[4:5], s[34:35], s[38:39]
	s_delay_alu instid0(VALU_DEP_1) | instskip(SKIP_4) | instid1(VALU_DEP_1)
	v_add_nc_u64_e32 v[0:1], v[2:3], v[0:1]
	global_load_b128 v[0:3], v[0:1], off
	s_wait_loadcnt 0x0
	v_fma_mixlo_f16 v4, s24, v0, 0
	v_mov_b32_e32 v0, v3
	v_pk_mul_f32 v[0:1], s[24:25], v[0:1] op_sel_hi:[0,1]
	s_delay_alu instid0(VALU_DEP_1) | instskip(SKIP_2) | instid1(VALU_DEP_3)
	v_cvt_pk_f16_f32 v0, v0, v1
	v_fma_mixlo_f16 v1, s24, v2, 0
	v_and_b32_e32 v2, 0xffff, v4
	v_and_b32_e32 v3, 0xffff0000, v0
	s_delay_alu instid0(VALU_DEP_3) | instskip(NEXT) | instid1(VALU_DEP_2)
	v_and_b32_e32 v1, 0xffff, v1
	v_dual_lshlrev_b32 v0, 16, v0 :: v_dual_bitop2_b32 v2, v3, v2 bitop3:0x54
	v_add_nc_u32_e32 v3, v54, v51
	s_delay_alu instid0(VALU_DEP_2) | instskip(NEXT) | instid1(VALU_DEP_3)
	v_or3_b32 v1, v0, v1, 0
	v_or3_b32 v0, 0, 0, v2
	ds_store_b64 v3, v[0:1]
	s_wait_dscnt 0x0
	s_barrier_signal -1
	s_barrier_wait -1
	s_cbranch_scc1 .LBB68_6
; %bb.5:
	s_load_b32 s2, s[0:1], 0xd0
	s_wait_kmcnt 0x0
	s_mul_i32 s2, s2, s28
	s_delay_alu instid0(SALU_CYCLE_1)
	s_add_co_i32 s2, s2, s26
	s_load_b32 s2, s[14:15], s2 offset:0x0 scale_offset
.LBB68_6:
	s_wait_xcnt 0x0
	s_clause 0x2
	s_load_b64 s[14:15], s[0:1], 0x8c
	s_load_b128 s[24:27], s[0:1], 0x98
	s_load_b64 s[20:21], s[0:1], 0xa8
	s_mul_i32 s4, s5, s3
	s_ashr_i32 s35, s37, 1
	s_sub_co_i32 s34, s34, s4
	s_ashr_i32 s29, s28, 31
	s_xor_b32 s11, s10, s11
	s_add_co_i32 s36, s5, 1
	s_sub_co_i32 s37, s34, s3
	v_dual_lshlrev_b32 v50, 2, v48 :: v_dual_lshrrev_b32 v56, 3, v48
	v_mul_u32_u24_e32 v55, 0x90, v48
	v_lshrrev_b32_e32 v53, 4, v48
	v_mbcnt_lo_u32_b32 v25, -1, 0
	s_delay_alu instid0(VALU_DEP_4)
	v_and_b32_e32 v26, 28, v50
	v_and_b32_e32 v22, 60, v50
	s_wait_kmcnt 0x0
	s_ashr_i32 s4, s14, 2
	s_ashr_i32 s10, s26, 2
	s_cmp_ge_u32 s34, s3
	s_mul_u64 s[24:25], s[24:25], s[28:29]
	s_cselect_b32 s5, s36, s5
	s_cselect_b32 s14, s37, s34
	s_add_co_i32 s26, s5, 1
	s_cmp_ge_u32 s14, s3
	s_add_nc_u64 s[6:7], s[6:7], s[24:25]
	s_cselect_b32 s3, s26, s5
	s_bfe_u32 s14, ttmp6, 0x40010
	s_xor_b32 s3, s3, s11
	s_and_b32 s5, ttmp7, 0xffff
	s_add_co_i32 s14, s14, 1
	s_sub_co_i32 s3, s3, s11
	s_bfe_u32 s24, ttmp6, 0x40004
	s_mul_i32 s11, s5, s14
	s_mul_i32 s14, s3, s15
	;; [unrolled: 1-line block ×3, first 2 shown]
	s_add_co_i32 s24, s24, s11
	s_ashr_i32 s15, s14, 31
	s_ashr_i32 s27, s26, 31
	s_cmp_eq_u32 s40, 0
	s_mul_u64 s[20:21], s[20:21], s[28:29]
	s_cselect_b32 s24, s5, s24
	s_add_nc_u64 s[6:7], s[6:7], s[14:15]
	s_sub_co_i32 s3, s2, 32
	s_lshl_b32 s14, s24, 5
	s_add_nc_u64 s[8:9], s[8:9], s[20:21]
	s_cmp_ge_i32 s14, s3
	s_add_nc_u64 s[8:9], s[8:9], s[26:27]
	s_cbranch_scc1 .LBB68_12
; %bb.7:
	v_lshl_add_u32 v1, v23, 2, v56
	v_lshl_add_u32 v3, v23, 1, v53
	s_ashr_i32 s5, s4, 31
	v_dual_mov_b32 v29, 0 :: v_dual_lshlrev_b32 v2, 2, v26
	s_delay_alu instid0(VALU_DEP_3) | instskip(NEXT) | instid1(VALU_DEP_3)
	v_mul_lo_u32 v30, s4, v1
	v_mul_lo_u32 v0, s10, v3
	s_lshl_b32 s11, s4, 3
	s_cmp_lg_u64 s[30:31], 0
	v_mad_u32_u24 v59, 0x90, v1, v2
	s_cselect_b32 s25, -1, 0
	s_lshl_b32 s15, s10, 2
	v_lshlrev_b32_e32 v4, 2, v22
	v_mad_u32 v57, v20, s35, v48
	v_lshl_add_u32 v58, v23, 6, 0x1400
	v_dual_mov_b32 v39, v29 :: v_dual_add_nc_u32 v62, 0x480, v59
	v_dual_add_nc_u32 v32, s11, v30 :: v_dual_ashrrev_i32 v31, 31, v30
	v_add_nc_u32_e32 v2, s15, v0
	v_lshl_or_b32 v61, v3, 8, v4
	v_lshl_add_u32 v60, v48, 1, v58
	s_delay_alu instid0(VALU_DEP_4) | instskip(SKIP_2) | instid1(VALU_DEP_3)
	v_add_nc_u32_e32 v34, s11, v32
	v_dual_mov_b32 v52, v29 :: v_dual_add_nc_u32 v63, 0x900, v59
	v_dual_add_nc_u32 v4, s15, v2 :: v_dual_ashrrev_i32 v1, 31, v0
	v_add_nc_u32_e32 v36, s11, v34
	v_dual_mov_b32 v16, 0xfeffffff :: v_dual_ashrrev_i32 v3, 31, v2
	s_delay_alu instid0(VALU_DEP_3) | instskip(NEXT) | instid1(VALU_DEP_3)
	v_dual_ashrrev_i32 v5, 31, v4 :: v_dual_add_nc_u32 v6, s15, v4
	v_ashrrev_i32_e32 v37, 31, v36
	v_lshlrev_b64_e32 v[40:41], 2, v[0:1]
	s_delay_alu instid0(VALU_DEP_4) | instskip(NEXT) | instid1(VALU_DEP_4)
	v_lshlrev_b64_e32 v[42:43], 2, v[2:3]
	v_lshlrev_b64_e32 v[44:45], 2, v[4:5]
	v_ashrrev_i32_e32 v7, 31, v6
	v_dual_mov_b32 v19, v29 :: v_dual_add_nc_u32 v64, 0xd80, v59
	v_add_nc_u32_e32 v65, 0x400, v61
	v_dual_ashrrev_i32 v33, 31, v32 :: v_dual_ashrrev_i32 v35, 31, v34
	s_delay_alu instid0(VALU_DEP_4)
	v_lshlrev_b64_e32 v[46:47], 2, v[6:7]
	v_dual_mov_b32 v69, v29 :: v_dual_add_nc_u32 v66, 0x800, v61
	v_add_nc_u32_e32 v67, 0xc00, v61
	v_lshlrev_b32_e32 v38, 2, v26
	v_lshlrev_b32_e32 v28, 2, v22
	v_mbcnt_lo_u32_b32 v68, -1, 0
	s_ashr_i32 s11, s10, 31
	s_add_nc_u64 s[20:21], s[0:1], 0xd0
.LBB68_8:                               ; =>This Inner Loop Header: Depth=1
	s_ashr_i32 s15, s14, 31
	v_dual_mov_b32 v17, 0 :: v_dual_mov_b32 v18, 0
	s_mul_u64 s[26:27], s[14:15], s[4:5]
	s_and_not1_b32 vcc_lo, exec_lo, s25
	s_lshl_b64 s[26:27], s[26:27], 2
	s_delay_alu instid0(SALU_CYCLE_1) | instskip(NEXT) | instid1(SALU_CYCLE_1)
	s_add_nc_u64 s[26:27], s[6:7], s[26:27]
	v_lshl_add_u64 v[0:1], v[30:31], 2, s[26:27]
	v_lshl_add_u64 v[2:3], v[32:33], 2, s[26:27]
	v_lshl_add_u64 v[8:9], v[34:35], 2, s[26:27]
	v_lshl_add_u64 v[10:11], v[36:37], 2, s[26:27]
	s_delay_alu instid0(VALU_DEP_4) | instskip(NEXT) | instid1(VALU_DEP_4)
	v_add_nc_u64_e32 v[6:7], v[0:1], v[38:39]
	v_add_nc_u64_e32 v[4:5], v[2:3], v[38:39]
	s_delay_alu instid0(VALU_DEP_4) | instskip(NEXT) | instid1(VALU_DEP_4)
	v_add_nc_u64_e32 v[2:3], v[8:9], v[38:39]
	v_add_nc_u64_e32 v[0:1], v[10:11], v[38:39]
	s_clause 0x3
	global_load_b128 v[8:11], v[6:7], off
	global_load_b128 v[12:15], v[4:5], off
	;; [unrolled: 1-line block ×4, first 2 shown]
	s_wait_loadcnt 0x3
	ds_store_b128 v59, v[8:11]
	s_wait_loadcnt 0x2
	ds_store_b128 v62, v[12:15]
	;; [unrolled: 2-line block ×4, first 2 shown]
	s_wait_dscnt 0x0
	s_barrier_signal -1
	s_barrier_wait -1
	ds_load_b128 v[8:11], v55
	ds_load_b128 v[12:15], v54
	s_wait_dscnt 0x0
	;;#ASMSTART
	v_dot2_f32_f16 v17, v8, v12, v17
	;;#ASMEND
	;;#ASMSTART
	v_dot2_f32_f16 v17, v9, v13, v17
	;;#ASMEND
	;;#ASMSTART
	v_dot2_f32_f16 v17, v10, v14, v17
	;;#ASMEND
	;;#ASMSTART
	v_dot2_f32_f16 v17, v11, v15, v17
	;;#ASMEND
	ds_load_b128 v[8:11], v55 offset:16
	ds_load_b128 v[12:15], v54 offset:16
	s_wait_dscnt 0x0
	;;#ASMSTART
	v_dot2_f32_f16 v17, v8, v12, v17
	;;#ASMEND
	;;#ASMSTART
	v_dot2_f32_f16 v17, v9, v13, v17
	;;#ASMEND
	;;#ASMSTART
	v_dot2_f32_f16 v17, v10, v14, v17
	;;#ASMEND
	;;#ASMSTART
	v_dot2_f32_f16 v17, v11, v15, v17
	;;#ASMEND
	ds_load_b128 v[8:11], v55 offset:32
	ds_load_b128 v[12:15], v54 offset:32
	s_wait_dscnt 0x0
	;;#ASMSTART
	v_dot2_f32_f16 v17, v8, v12, v17
	;;#ASMEND
	;;#ASMSTART
	v_dot2_f32_f16 v17, v9, v13, v17
	;;#ASMEND
	;;#ASMSTART
	v_dot2_f32_f16 v17, v10, v14, v17
	;;#ASMEND
	;;#ASMSTART
	v_dot2_f32_f16 v17, v11, v15, v17
	;;#ASMEND
	ds_load_b128 v[8:11], v55 offset:48
	ds_load_b128 v[12:15], v54 offset:48
	s_wait_dscnt 0x0
	;;#ASMSTART
	v_dot2_f32_f16 v17, v8, v12, v17
	;;#ASMEND
	;;#ASMSTART
	v_dot2_f32_f16 v17, v9, v13, v17
	;;#ASMEND
	;;#ASMSTART
	v_dot2_f32_f16 v17, v10, v14, v17
	;;#ASMEND
	;;#ASMSTART
	v_dot2_f32_f16 v17, v11, v15, v17
	;;#ASMEND
	ds_load_b128 v[8:11], v55 offset:64
	ds_load_b128 v[12:15], v54 offset:64
	s_wait_dscnt 0x0
	;;#ASMSTART
	v_dot2_f32_f16 v17, v8, v12, v17
	;;#ASMEND
	;;#ASMSTART
	v_dot2_f32_f16 v17, v9, v13, v17
	;;#ASMEND
	;;#ASMSTART
	v_dot2_f32_f16 v17, v10, v14, v17
	;;#ASMEND
	;;#ASMSTART
	v_dot2_f32_f16 v17, v11, v15, v17
	;;#ASMEND
	ds_load_b128 v[8:11], v55 offset:80
	ds_load_b128 v[12:15], v54 offset:80
	s_wait_dscnt 0x0
	;;#ASMSTART
	v_dot2_f32_f16 v17, v8, v12, v17
	;;#ASMEND
	;;#ASMSTART
	v_dot2_f32_f16 v17, v9, v13, v17
	;;#ASMEND
	;;#ASMSTART
	v_dot2_f32_f16 v17, v10, v14, v17
	;;#ASMEND
	;;#ASMSTART
	v_dot2_f32_f16 v17, v11, v15, v17
	;;#ASMEND
	ds_load_b128 v[8:11], v55 offset:96
	ds_load_b128 v[12:15], v54 offset:96
	s_wait_dscnt 0x0
	;;#ASMSTART
	v_dot2_f32_f16 v17, v8, v12, v17
	;;#ASMEND
	;;#ASMSTART
	v_dot2_f32_f16 v17, v9, v13, v17
	;;#ASMEND
	;;#ASMSTART
	v_dot2_f32_f16 v17, v10, v14, v17
	;;#ASMEND
	;;#ASMSTART
	v_dot2_f32_f16 v17, v11, v15, v17
	;;#ASMEND
	ds_load_b128 v[8:11], v55 offset:112
	ds_load_b128 v[12:15], v54 offset:112
	s_wait_dscnt 0x0
	;;#ASMSTART
	v_dot2_f32_f16 v17, v8, v12, v17
	;;#ASMEND
	;;#ASMSTART
	v_dot2_f32_f16 v17, v9, v13, v17
	;;#ASMEND
	;;#ASMSTART
	v_dot2_f32_f16 v17, v10, v14, v17
	;;#ASMEND
	;;#ASMSTART
	v_dot2_f32_f16 v17, v11, v15, v17
	;;#ASMEND
	s_barrier_signal -1
	s_barrier_wait -1
	s_clause 0x3
	global_load_b128 v[6:9], v[6:7], off offset:128
	global_load_b128 v[10:13], v[4:5], off offset:128
	;; [unrolled: 1-line block ×4, first 2 shown]
	s_wait_loadcnt 0x3
	ds_store_b128 v59, v[6:9]
	s_wait_loadcnt 0x2
	ds_store_b128 v62, v[10:13]
	;; [unrolled: 2-line block ×4, first 2 shown]
	s_wait_dscnt 0x0
	s_barrier_signal -1
	s_barrier_wait -1
	ds_load_b128 v[0:3], v55
	ds_load_b128 v[4:7], v54 offset:128
	s_wait_dscnt 0x0
	;;#ASMSTART
	v_dot2_f32_f16 v17, v0, v4, v17
	;;#ASMEND
	;;#ASMSTART
	v_dot2_f32_f16 v17, v1, v5, v17
	;;#ASMEND
	;;#ASMSTART
	v_dot2_f32_f16 v17, v2, v6, v17
	;;#ASMEND
	;;#ASMSTART
	v_dot2_f32_f16 v17, v3, v7, v17
	;;#ASMEND
	ds_load_b128 v[0:3], v55 offset:16
	ds_load_b128 v[4:7], v54 offset:144
	s_wait_dscnt 0x0
	;;#ASMSTART
	v_dot2_f32_f16 v17, v0, v4, v17
	;;#ASMEND
	;;#ASMSTART
	v_dot2_f32_f16 v17, v1, v5, v17
	;;#ASMEND
	;;#ASMSTART
	v_dot2_f32_f16 v17, v2, v6, v17
	;;#ASMEND
	;;#ASMSTART
	v_dot2_f32_f16 v17, v3, v7, v17
	;;#ASMEND
	ds_load_b128 v[0:3], v55 offset:32
	;; [unrolled: 15-line block ×7, first 2 shown]
	ds_load_b128 v[4:7], v54 offset:240
	s_wait_dscnt 0x0
	;;#ASMSTART
	v_dot2_f32_f16 v17, v0, v4, v17
	;;#ASMEND
	;;#ASMSTART
	v_dot2_f32_f16 v17, v1, v5, v17
	;;#ASMEND
	;; [unrolled: 3-line block ×4, first 2 shown]
	s_cbranch_vccnz .LBB68_10
; %bb.9:                                ;   in Loop: Header=BB68_8 Depth=1
	v_add_nc_u32_e32 v0, s14, v57
	global_load_u16 v0, v0, s[30:31] scale_offset
	s_wait_loadcnt 0x0
	v_cvt_f32_f16_e32 v0, v0
	s_delay_alu instid0(VALU_DEP_1)
	v_mul_f32_e32 v18, v27, v0
.LBB68_10:                              ;   in Loop: Header=BB68_8 Depth=1
	s_mul_u64 s[26:27], s[14:15], s[10:11]
	s_delay_alu instid0(SALU_CYCLE_1)
	s_lshl_b64 s[26:27], s[26:27], 2
	s_barrier_signal -1
	s_add_nc_u64 s[26:27], s[8:9], s[26:27]
	s_barrier_wait -1
	v_add_nc_u64_e32 v[0:1], s[26:27], v[40:41]
	v_add_nc_u64_e32 v[2:3], s[26:27], v[42:43]
	;; [unrolled: 1-line block ×4, first 2 shown]
	v_dual_add_f32 v17, v17, v18 :: v_dual_bitop2_b32 v18, 16, v68 bitop3:0x14
	v_add_nc_u64_e32 v[0:1], v[0:1], v[28:29]
	v_add_nc_u64_e32 v[8:9], v[2:3], v[28:29]
	;; [unrolled: 1-line block ×4, first 2 shown]
	v_cmp_gt_i32_e32 vcc_lo, 32, v18
	v_dual_max_num_f32 v21, v16, v16 :: v_dual_add_f32 v24, 0x40051340, v17
	s_clause 0x3
	global_load_b128 v[0:3], v[0:1], off
	global_load_b128 v[4:7], v[8:9], off
	;; [unrolled: 1-line block ×4, first 2 shown]
	s_or_b32 s26, s14, 16
	v_cndmask_b32_e32 v18, v68, v18, vcc_lo
	s_ashr_i32 s27, s26, 31
	v_max_num_f32_e32 v21, v21, v24
	v_xor_b32_e32 v24, 8, v68
	s_mul_u64 s[26:27], s[26:27], s[10:11]
	v_lshlrev_b32_e32 v18, 2, v18
	s_lshl_b64 s[26:27], s[26:27], 2
	s_delay_alu instid0(VALU_DEP_2)
	v_cmp_gt_i32_e32 vcc_lo, 32, v24
	s_add_nc_u64 s[26:27], s[8:9], s[26:27]
	ds_bpermute_b32 v18, v18, v21
	v_add_nc_u64_e32 v[72:73], s[26:27], v[40:41]
	v_add_nc_u64_e32 v[74:75], s[26:27], v[42:43]
	v_cndmask_b32_e32 v24, v68, v24, vcc_lo
	v_add_nc_u64_e32 v[76:77], s[26:27], v[44:45]
	v_add_nc_u64_e32 v[78:79], s[26:27], v[46:47]
	;; [unrolled: 1-line block ×4, first 2 shown]
	s_delay_alu instid0(VALU_DEP_4) | instskip(NEXT) | instid1(VALU_DEP_4)
	v_add_nc_u64_e32 v[104:105], v[76:77], v[28:29]
	v_add_nc_u64_e32 v[108:109], v[78:79], v[28:29]
	s_wait_dscnt 0x0
	v_dual_max_num_f32 v18, v18, v18 :: v_dual_lshlrev_b32 v24, 2, v24
	s_delay_alu instid0(VALU_DEP_1) | instskip(SKIP_3) | instid1(VALU_DEP_1)
	v_max_num_f32_e32 v18, v21, v18
	ds_bpermute_b32 v21, v24, v18
	s_wait_dscnt 0x0
	v_dual_max_num_f32 v21, v21, v21 :: v_dual_bitop2_b32 v24, 4, v68 bitop3:0x14
	v_cmp_gt_i32_e32 vcc_lo, 32, v24
	s_delay_alu instid0(VALU_DEP_2) | instskip(NEXT) | instid1(VALU_DEP_1)
	v_dual_max_num_f32 v18, v18, v21 :: v_dual_cndmask_b32 v24, v68, v24, vcc_lo
	v_lshlrev_b32_e32 v24, 2, v24
	ds_bpermute_b32 v21, v24, v18
	s_wait_dscnt 0x0
	v_dual_max_num_f32 v21, v21, v21 :: v_dual_bitop2_b32 v24, 2, v68 bitop3:0x14
	s_delay_alu instid0(VALU_DEP_1) | instskip(NEXT) | instid1(VALU_DEP_2)
	v_max_num_f32_e32 v18, v18, v21
	v_cmp_gt_i32_e32 vcc_lo, 32, v24
	v_cndmask_b32_e32 v24, v68, v24, vcc_lo
	s_delay_alu instid0(VALU_DEP_1) | instskip(SKIP_2) | instid1(VALU_DEP_1)
	v_lshlrev_b32_e32 v24, 2, v24
	ds_bpermute_b32 v21, v24, v18
	v_xor_b32_e32 v24, 1, v68
	v_cmp_gt_i32_e32 vcc_lo, 32, v24
	v_cndmask_b32_e32 v24, v68, v24, vcc_lo
	s_wait_dscnt 0x0
	s_delay_alu instid0(VALU_DEP_1) | instskip(NEXT) | instid1(VALU_DEP_1)
	v_dual_max_num_f32 v21, v21, v21 :: v_dual_lshlrev_b32 v24, 2, v24
	v_max_num_f32_e32 v18, v18, v21
	ds_bpermute_b32 v21, v24, v18
	s_wait_dscnt 0x0
	v_max_num_f32_e32 v21, v21, v21
	s_delay_alu instid0(VALU_DEP_1) | instskip(NEXT) | instid1(VALU_DEP_1)
	v_max_num_f32_e32 v24, v18, v21
	v_sub_f32_e32 v17, v17, v24
	s_delay_alu instid0(VALU_DEP_1) | instskip(SKIP_1) | instid1(VALU_DEP_2)
	v_mul_f32_e32 v18, 0x3fb8aa3b, v17
	v_cmp_ngt_f32_e32 vcc_lo, 0xc2ce8ed0, v17
	v_fma_f32 v21, 0x3fb8aa3b, v17, -v18
	v_rndne_f32_e32 v70, v18
	s_delay_alu instid0(VALU_DEP_1) | instskip(NEXT) | instid1(VALU_DEP_1)
	v_dual_fmac_f32 v21, 0x32a5705f, v17 :: v_dual_sub_f32 v18, v18, v70
	v_add_f32_e32 v18, v18, v21
	v_cvt_i32_f32_e32 v21, v70
	v_sub_f32_e32 v16, v16, v24
	s_delay_alu instid0(VALU_DEP_3) | instskip(SKIP_1) | instid1(TRANS32_DEP_1)
	v_exp_f32_e32 v18, v18
	v_nop
	v_ldexp_f32 v18, v18, v21
	s_delay_alu instid0(VALU_DEP_1) | instskip(SKIP_1) | instid1(VALU_DEP_2)
	v_cndmask_b32_e32 v18, 0, v18, vcc_lo
	v_cmp_nlt_f32_e32 vcc_lo, 0x42b17218, v17
	v_cndmask_b32_e32 v21, 0x7f800000, v18, vcc_lo
	v_cmp_ngt_f32_e32 vcc_lo, 0xc2ce8ed0, v16
	s_delay_alu instid0(VALU_DEP_2)
	v_cvt_f16_f32_e32 v17, v21
	ds_store_b16 v60, v17
	s_wait_loadcnt 0x3
	ds_store_b128 v61, v[0:3]
	s_wait_loadcnt 0x2
	ds_store_b128 v65, v[4:7]
	;; [unrolled: 2-line block ×4, first 2 shown]
	v_mul_f32_e32 v17, 0x3fb8aa3b, v16
	s_wait_dscnt 0x0
	s_barrier_signal -1
	s_barrier_wait -1
	s_delay_alu instid0(VALU_DEP_1) | instskip(SKIP_1) | instid1(VALU_DEP_1)
	v_fma_f32 v18, 0x3fb8aa3b, v16, -v17
	v_rndne_f32_e32 v71, v17
	v_dual_fmac_f32 v18, 0x32a5705f, v16 :: v_dual_sub_f32 v17, v17, v71
	s_delay_alu instid0(VALU_DEP_1)
	v_dual_add_f32 v17, v17, v18 :: v_dual_add_nc_u32 v70, 0x800, v51
	ds_load_2addr_b64 v[72:75], v51 offset1:32
	ds_load_b128 v[76:79], v58
	ds_load_b128 v[4:7], v58 offset:16
	ds_load_2addr_b64 v[80:83], v51 offset0:64 offset1:96
	ds_load_2addr_b64 v[84:87], v51 offset0:128 offset1:160
	;; [unrolled: 1-line block ×3, first 2 shown]
	ds_load_2addr_b64 v[92:95], v70 offset1:32
	ds_load_2addr_b64 v[12:15], v70 offset0:64 offset1:96
	ds_load_2addr_b64 v[8:11], v70 offset0:128 offset1:160
	;; [unrolled: 1-line block ×3, first 2 shown]
	s_wait_dscnt 0x0
	s_barrier_signal -1
	s_barrier_wait -1
	s_clause 0x3
	global_load_b128 v[96:99], v[96:97], off
	global_load_b128 v[100:103], v[100:101], off
	global_load_b128 v[104:107], v[104:105], off
	global_load_b128 v[108:111], v[108:109], off
	v_exp_f32_e32 v17, v17
	v_cvt_i32_f32_e32 v18, v71
	s_wait_loadcnt 0x3
	ds_store_b128 v61, v[96:99]
	s_wait_loadcnt 0x2
	ds_store_b128 v65, v[100:103]
	;; [unrolled: 2-line block ×4, first 2 shown]
	v_ldexp_f32 v17, v17, v18
	v_lshrrev_b32_e32 v18, 16, v76
	s_wait_dscnt 0x0
	s_barrier_signal -1
	s_barrier_wait -1
	v_cndmask_b32_e32 v17, 0, v17, vcc_lo
	v_cmp_nlt_f32_e32 vcc_lo, 0x42b17218, v16
	v_mul_u32_u24_e32 v18, 0x10001, v18
	s_delay_alu instid0(VALU_DEP_3) | instskip(SKIP_2) | instid1(VALU_DEP_3)
	v_cndmask_b32_e32 v71, 0x7f800000, v17, vcc_lo
	v_and_b32_e32 v17, 0xffff, v76
	v_and_b32_e32 v76, 0xffff, v77
	v_cvt_f16_f32_e32 v16, v71
	s_delay_alu instid0(VALU_DEP_3) | instskip(NEXT) | instid1(VALU_DEP_2)
	v_mul_u32_u24_e32 v17, 0x10001, v17
	v_and_b32_e32 v16, 0xffff, v16
	s_delay_alu instid0(VALU_DEP_2) | instskip(SKIP_2) | instid1(VALU_DEP_4)
	v_pk_mul_f16 v72, v72, v17
	v_pk_mul_f16 v17, v73, v17
	v_mul_u32_u24_e32 v73, 0x10001, v76
	v_mul_u32_u24_e32 v16, 0x10001, v16
	s_delay_alu instid0(VALU_DEP_1) | instskip(NEXT) | instid1(VALU_DEP_4)
	v_pk_fma_f16 v52, v52, v16, v72
	v_pk_fma_f16 v16, v19, v16, v17
	v_lshrrev_b32_e32 v72, 16, v77
	v_and_b32_e32 v19, 0xffff, v78
	s_delay_alu instid0(VALU_DEP_4) | instskip(NEXT) | instid1(VALU_DEP_4)
	v_pk_fma_f16 v17, v74, v18, v52
	v_pk_fma_f16 v16, v75, v18, v16
	s_delay_alu instid0(VALU_DEP_4)
	v_mul_u32_u24_e32 v52, 0x10001, v72
	v_lshrrev_b32_e32 v18, 16, v78
	v_mul_u32_u24_e32 v19, 0x10001, v19
	v_pk_fma_f16 v17, v80, v73, v17
	v_pk_fma_f16 v16, v81, v73, v16
	v_and_b32_e32 v72, 0xffff, v79
	v_mul_u32_u24_e32 v18, 0x10001, v18
	v_fmac_f32_e32 v21, v69, v71
	v_pk_fma_f16 v17, v82, v52, v17
	v_pk_fma_f16 v16, v83, v52, v16
	v_lshrrev_b32_e32 v52, 16, v79
	v_mul_u32_u24_e32 v72, 0x10001, v72
	s_delay_alu instid0(VALU_DEP_4) | instskip(NEXT) | instid1(VALU_DEP_4)
	v_pk_fma_f16 v17, v84, v19, v17
	v_pk_fma_f16 v16, v85, v19, v16
	v_and_b32_e32 v19, 0xffff, v4
	v_mul_u32_u24_e32 v52, 0x10001, v52
	v_lshrrev_b32_e32 v4, 16, v4
	v_pk_fma_f16 v17, v86, v18, v17
	v_pk_fma_f16 v16, v87, v18, v16
	v_mul_u32_u24_e32 v18, 0x10001, v19
	v_and_b32_e32 v19, 0xffff, v5
	v_lshrrev_b32_e32 v5, 16, v5
	v_pk_fma_f16 v17, v88, v72, v17
	v_pk_fma_f16 v16, v89, v72, v16
	v_mul_u32_u24_e32 v4, 0x10001, v4
	v_mul_u32_u24_e32 v72, 0x10001, v19
	;; [unrolled: 1-line block ×3, first 2 shown]
	v_pk_fma_f16 v17, v90, v52, v17
	v_pk_fma_f16 v16, v91, v52, v16
	v_and_b32_e32 v52, 0xffff, v6
	v_lshrrev_b32_e32 v6, 16, v6
	s_delay_alu instid0(VALU_DEP_4) | instskip(NEXT) | instid1(VALU_DEP_4)
	v_pk_fma_f16 v17, v92, v18, v17
	v_pk_fma_f16 v16, v93, v18, v16
	s_delay_alu instid0(VALU_DEP_4) | instskip(NEXT) | instid1(VALU_DEP_3)
	v_mul_u32_u24_e32 v52, 0x10001, v52
	v_pk_fma_f16 v17, v94, v4, v17
	s_delay_alu instid0(VALU_DEP_3) | instskip(NEXT) | instid1(VALU_DEP_2)
	v_pk_fma_f16 v4, v95, v4, v16
	v_pk_fma_f16 v12, v12, v72, v17
	ds_load_b128 v[16:19], v58 offset:32
	v_pk_fma_f16 v4, v13, v72, v4
	v_and_b32_e32 v13, 0xffff, v7
	v_lshrrev_b32_e32 v7, 16, v7
	v_pk_fma_f16 v12, v14, v5, v12
	v_mul_u32_u24_e32 v6, 0x10001, v6
	v_pk_fma_f16 v4, v15, v5, v4
	v_mul_u32_u24_e32 v72, 0x10001, v13
	s_delay_alu instid0(VALU_DEP_4) | instskip(SKIP_4) | instid1(VALU_DEP_3)
	v_pk_fma_f16 v5, v8, v52, v12
	ds_load_2addr_b64 v[12:15], v51 offset1:32
	v_pk_fma_f16 v4, v9, v52, v4
	v_mul_u32_u24_e32 v52, 0x10001, v7
	v_pk_fma_f16 v5, v10, v6, v5
	v_pk_fma_f16 v73, v11, v6, v4
	s_delay_alu instid0(VALU_DEP_2) | instskip(SKIP_2) | instid1(VALU_DEP_3)
	v_pk_fma_f16 v0, v0, v72, v5
	s_wait_dscnt 0x1
	v_and_b32_e32 v74, 0xffff, v16
	v_pk_fma_f16 v1, v1, v72, v73
	ds_load_2addr_b64 v[8:11], v51 offset0:64 offset1:96
	ds_load_b128 v[4:7], v58 offset:48
	v_lshrrev_b32_e32 v16, 16, v16
	v_pk_fma_f16 v72, v2, v52, v0
	v_mul_u32_u24_e32 v73, 0x10001, v74
	v_pk_fma_f16 v52, v3, v52, v1
	ds_load_2addr_b64 v[0:3], v51 offset0:128 offset1:160
	v_and_b32_e32 v74, 0xffff, v17
	v_lshrrev_b32_e32 v17, 16, v17
	v_mul_u32_u24_e32 v16, 0x10001, v16
	s_wait_dscnt 0x3
	v_pk_fma_f16 v12, v12, v73, v72
	v_pk_fma_f16 v13, v13, v73, v52
	v_mul_u32_u24_e32 v52, 0x10001, v74
	v_and_b32_e32 v76, 0xffff, v18
	v_mul_u32_u24_e32 v17, 0x10001, v17
	v_pk_fma_f16 v72, v14, v16, v12
	v_pk_fma_f16 v16, v15, v16, v13
	ds_load_2addr_b64 v[12:15], v51 offset0:192 offset1:224
	v_and_b32_e32 v80, 0xffff, v19
	s_wait_dscnt 0x3
	v_pk_fma_f16 v8, v8, v52, v72
	v_pk_fma_f16 v9, v9, v52, v16
	v_lshrrev_b32_e32 v16, 16, v18
	v_mul_u32_u24_e32 v18, 0x10001, v76
	ds_load_2addr_b64 v[72:75], v70 offset1:32
	v_pk_fma_f16 v52, v10, v17, v8
	v_pk_fma_f16 v17, v11, v17, v9
	ds_load_2addr_b64 v[8:11], v70 offset0:64 offset1:96
	ds_load_2addr_b64 v[76:79], v70 offset0:128 offset1:160
	s_wait_dscnt 0x4
	v_pk_fma_f16 v0, v0, v18, v52
	v_pk_fma_f16 v1, v1, v18, v17
	v_lshrrev_b32_e32 v17, 16, v19
	v_mul_u32_u24_e32 v16, 0x10001, v16
	v_mul_u32_u24_e32 v18, 0x10001, v80
	v_and_b32_e32 v52, 0xffff, v4
	v_lshrrev_b32_e32 v4, 16, v4
	v_mul_u32_u24_e32 v17, 0x10001, v17
	v_pk_fma_f16 v19, v2, v16, v0
	v_pk_fma_f16 v16, v3, v16, v1
	ds_load_2addr_b64 v[0:3], v70 offset0:192 offset1:224
	s_wait_dscnt 0x0
	s_barrier_signal -1
	v_pk_fma_f16 v12, v12, v18, v19
	v_pk_fma_f16 v13, v13, v18, v16
	v_mul_u32_u24_e32 v16, 0x10001, v52
	s_barrier_wait -1
	s_delay_alu instid0(VALU_DEP_3) | instskip(NEXT) | instid1(VALU_DEP_3)
	v_pk_fma_f16 v12, v14, v17, v12
	v_pk_fma_f16 v13, v15, v17, v13
	v_and_b32_e32 v14, 0xffff, v5
	v_lshrrev_b32_e32 v5, 16, v5
	v_mul_u32_u24_e32 v4, 0x10001, v4
	v_pk_fma_f16 v12, v72, v16, v12
	v_pk_fma_f16 v13, v73, v16, v13
	v_mul_u32_u24_e32 v14, 0x10001, v14
	v_mul_u32_u24_e32 v5, 0x10001, v5
	s_load_b32 s15, s[20:21], 0x4
	v_pk_fma_f16 v12, v74, v4, v12
	v_pk_fma_f16 v4, v75, v4, v13
	v_and_b32_e32 v13, 0xffff, v6
	v_lshrrev_b32_e32 v6, 16, v6
	s_delay_alu instid0(VALU_DEP_4) | instskip(NEXT) | instid1(VALU_DEP_4)
	v_pk_fma_f16 v8, v8, v14, v12
	v_pk_fma_f16 v4, v9, v14, v4
	s_delay_alu instid0(VALU_DEP_4) | instskip(NEXT) | instid1(VALU_DEP_3)
	v_mul_u32_u24_e32 v9, 0x10001, v13
	v_pk_fma_f16 v8, v10, v5, v8
	s_delay_alu instid0(VALU_DEP_3)
	v_pk_fma_f16 v4, v11, v5, v4
	v_and_b32_e32 v5, 0xffff, v7
	v_lshrrev_b32_e32 v7, 16, v7
	v_mul_u32_u24_e32 v6, 0x10001, v6
	v_pk_fma_f16 v8, v76, v9, v8
	v_pk_fma_f16 v4, v77, v9, v4
	v_mul_u32_u24_e32 v5, 0x10001, v5
	s_wait_kmcnt 0x0
	s_lshl_b32 s15, s15, 5
	v_pk_fma_f16 v8, v78, v6, v8
	v_pk_fma_f16 v4, v79, v6, v4
	v_mul_u32_u24_e32 v6, 0x10001, v7
	s_add_co_i32 s14, s15, s14
	s_delay_alu instid0(VALU_DEP_3) | instskip(NEXT) | instid1(VALU_DEP_3)
	v_pk_fma_f16 v0, v0, v5, v8
	v_pk_fma_f16 v1, v1, v5, v4
	s_cmp_lt_i32 s14, s3
	s_delay_alu instid0(VALU_DEP_2) | instskip(NEXT) | instid1(VALU_DEP_2)
	v_pk_fma_f16 v52, v2, v6, v0
	v_pk_fma_f16 v19, v3, v6, v1
	s_cbranch_scc0 .LBB68_13
; %bb.11:                               ;   in Loop: Header=BB68_8 Depth=1
	v_dual_mov_b32 v16, v24 :: v_dual_mov_b32 v69, v21
	s_branch .LBB68_8
.LBB68_12:
	v_dual_mov_b32 v19, 0 :: v_dual_mov_b32 v24, 0xfeffffff
	v_mov_b32_e32 v52, 0
.LBB68_13:
	s_cmp_gt_i32 s2, s14
	s_cbranch_scc1 .LBB68_16
; %bb.14:
	v_mbcnt_lo_u32_b32 v1, -1, 0
	v_mov_b32_e32 v0, 32
	s_delay_alu instid0(VALU_DEP_2)
	v_xor_b32_e32 v36, 16, v1
	v_xor_b32_e32 v34, 8, v1
	;; [unrolled: 1-line block ×5, first 2 shown]
	s_cbranch_execz .LBB68_17
; %bb.15:
	v_mov_b32_e32 v25, v1
	s_branch .LBB68_22
.LBB68_16:
                                        ; implicit-def: $vgpr1
                                        ; implicit-def: $vgpr0
                                        ; implicit-def: $vgpr36
                                        ; implicit-def: $vgpr34
                                        ; implicit-def: $vgpr35
                                        ; implicit-def: $vgpr37
                                        ; implicit-def: $vgpr38
.LBB68_17:
	v_lshl_add_u32 v18, v23, 2, v56
	s_ashr_i32 s15, s14, 31
	s_ashr_i32 s5, s4, 31
	s_mov_b32 s36, 0
	s_mul_u64 s[20:21], s[14:15], s[4:5]
	v_mul_lo_u32 v10, s4, v18
	s_lshl_b64 s[20:21], s[20:21], 2
	v_dual_mov_b32 v2, 0 :: v_dual_lshlrev_b32 v3, 20, v25
	s_add_nc_u64 s[20:21], s[6:7], s[20:21]
	s_mov_b32 s37, s36
	s_mov_b32 s38, s36
	v_lshlrev_b32_e32 v4, 2, v26
	v_add_nc_u64_e32 v[6:7], src_flat_scratch_base_lo, v[2:3]
	s_sub_co_i32 s7, s2, s14
	s_lshl_b32 s4, s4, 3
	s_delay_alu instid0(VALU_DEP_4) | instskip(SKIP_2) | instid1(VALU_DEP_3)
	v_dual_ashrrev_i32 v11, 31, v10 :: v_dual_mov_b32 v5, 0
	v_cmp_gt_i32_e32 vcc_lo, s7, v18
	v_add_nc_u32_e32 v16, 8, v18
	v_lshl_add_u64 v[0:1], v[10:11], 2, s[20:21]
	s_delay_alu instid0(VALU_DEP_2) | instskip(SKIP_1) | instid1(VALU_DEP_3)
	v_cmp_gt_i32_e64 s2, s7, v16
	v_add_nc_u32_e32 v28, s4, v10
	v_add_nc_u64_e32 v[8:9], v[0:1], v[4:5]
	v_dual_mov_b32 v0, s36 :: v_dual_mov_b32 v1, s37
	s_delay_alu instid0(VALU_DEP_3)
	v_dual_mov_b32 v2, s38 :: v_dual_ashrrev_i32 v29, 31, v28
	s_clause 0x1
	scratch_store_b32 off, v5, off
	scratch_store_b96 off, v[0:2], off offset:4
	v_dual_cndmask_b32 v13, v7, v9 :: v_dual_cndmask_b32 v12, v6, v8
	v_lshl_add_u64 v[10:11], v[28:29], 2, s[20:21]
	v_mad_u32_u24 v26, 0x90, v18, v4
	v_add_nc_u64_e32 v[8:9], 0x80, v[8:9]
	flat_load_b128 v[12:15], v[12:13]
	v_add_nc_u64_e32 v[10:11], v[10:11], v[4:5]
	s_clause 0x1
	scratch_store_b32 off, v5, off
	scratch_store_b96 off, v[0:2], off offset:4
	v_dual_cndmask_b32 v9, v7, v9 :: v_dual_cndmask_b32 v8, v6, v8
	v_dual_cndmask_b32 v17, v7, v11, s2 :: v_dual_cndmask_b32 v16, v6, v10, s2
	v_dual_add_nc_u32 v32, s4, v28 :: v_dual_add_nc_u32 v28, 16, v18
	s_delay_alu instid0(VALU_DEP_1) | instskip(NEXT) | instid1(VALU_DEP_2)
	v_ashrrev_i32_e32 v33, 31, v32
	v_cmp_gt_i32_e64 s3, s7, v28
	s_wait_loadcnt_dscnt 0x0
	ds_store_b128 v26, v[12:15]
	flat_load_b128 v[14:17], v[16:17]
	s_wait_xcnt 0x3
	v_lshl_add_u64 v[12:13], v[32:33], 2, s[20:21]
	s_clause 0x1
	scratch_store_b32 off, v5, off
	scratch_store_b96 off, v[0:2], off offset:4
	v_add_nc_u64_e32 v[12:13], v[12:13], v[4:5]
	s_delay_alu instid0(VALU_DEP_1) | instskip(SKIP_1) | instid1(VALU_DEP_1)
	v_dual_cndmask_b32 v29, v7, v13, s3 :: v_dual_cndmask_b32 v28, v6, v12, s3
	v_add_nc_u64_e32 v[12:13], 0x80, v[12:13]
	v_dual_cndmask_b32 v13, v7, v13, s3 :: v_dual_cndmask_b32 v12, v6, v12, s3
	s_wait_loadcnt_dscnt 0x0
	ds_store_b128 v26, v[14:17] offset:1152
	flat_load_b128 v[28:31], v[28:29]
	s_wait_xcnt 0x3
	v_dual_add_nc_u32 v14, s4, v32 :: v_dual_add_nc_u32 v16, 24, v18
	s_clause 0x1
	scratch_store_b32 off, v5, off
	scratch_store_b96 off, v[0:2], off offset:4
	v_cmp_gt_i32_e64 s4, s7, v16
	v_ashrrev_i32_e32 v15, 31, v14
	s_delay_alu instid0(VALU_DEP_1) | instskip(NEXT) | instid1(VALU_DEP_1)
	v_lshl_add_u64 v[14:15], v[14:15], 2, s[20:21]
	v_add_nc_u64_e32 v[14:15], v[14:15], v[4:5]
	s_delay_alu instid0(VALU_DEP_1) | instskip(NEXT) | instid1(VALU_DEP_2)
	v_dual_mov_b32 v4, v5 :: v_dual_cndmask_b32 v17, v7, v15, s4
	v_cndmask_b32_e64 v16, v6, v14, s4
	s_wait_loadcnt_dscnt 0x0
	ds_store_b128 v26, v[28:31] offset:2304
	flat_load_b128 v[28:31], v[16:17]
	s_wait_loadcnt_dscnt 0x0
	ds_store_b128 v26, v[28:31] offset:3456
	s_wait_storecnt_dscnt 0x0
	s_barrier_signal -1
	s_barrier_wait -1
	ds_load_b128 v[28:31], v55
	ds_load_b128 v[32:35], v54
	s_wait_dscnt 0x0
	;;#ASMSTART
	v_dot2_f32_f16 v4, v28, v32, v4
	;;#ASMEND
	;;#ASMSTART
	v_dot2_f32_f16 v4, v29, v33, v4
	;;#ASMEND
	;;#ASMSTART
	v_dot2_f32_f16 v4, v30, v34, v4
	;;#ASMEND
	;;#ASMSTART
	v_dot2_f32_f16 v4, v31, v35, v4
	;;#ASMEND
	ds_load_b128 v[28:31], v55 offset:16
	ds_load_b128 v[32:35], v54 offset:16
	s_wait_dscnt 0x0
	;;#ASMSTART
	v_dot2_f32_f16 v4, v28, v32, v4
	;;#ASMEND
	;;#ASMSTART
	v_dot2_f32_f16 v4, v29, v33, v4
	;;#ASMEND
	;;#ASMSTART
	v_dot2_f32_f16 v4, v30, v34, v4
	;;#ASMEND
	;;#ASMSTART
	v_dot2_f32_f16 v4, v31, v35, v4
	;;#ASMEND
	ds_load_b128 v[28:31], v55 offset:32
	ds_load_b128 v[32:35], v54 offset:32
	;; [unrolled: 15-line block ×7, first 2 shown]
	s_wait_dscnt 0x0
	;;#ASMSTART
	v_dot2_f32_f16 v4, v28, v32, v4
	;;#ASMEND
	;;#ASMSTART
	v_dot2_f32_f16 v4, v29, v33, v4
	;;#ASMEND
	;; [unrolled: 3-line block ×4, first 2 shown]
	s_barrier_signal -1
	s_barrier_wait -1
	s_clause 0x1
	scratch_store_b32 off, v5, off
	scratch_store_b96 off, v[0:2], off offset:4
	flat_load_b128 v[28:31], v[8:9]
	s_wait_xcnt 0x0
	v_add_nc_u64_e32 v[8:9], 0x80, v[10:11]
	s_clause 0x1
	scratch_store_b32 off, v5, off
	scratch_store_b96 off, v[0:2], off offset:4
	v_dual_cndmask_b32 v9, v7, v9, s2 :: v_dual_cndmask_b32 v8, v6, v8, s2
	s_mov_b32 s2, exec_lo
	s_wait_loadcnt_dscnt 0x0
	ds_store_b128 v26, v[28:31]
	flat_load_b128 v[8:11], v[8:9]
	s_clause 0x1
	scratch_store_b32 off, v5, off
	scratch_store_b96 off, v[0:2], off offset:4
	s_wait_loadcnt_dscnt 0x0
	ds_store_b128 v26, v[8:11] offset:1152
	flat_load_b128 v[8:11], v[12:13]
	s_wait_xcnt 0x0
	v_add_nc_u64_e32 v[12:13], 0x80, v[14:15]
	s_clause 0x1
	scratch_store_b32 off, v5, off
	scratch_store_b96 off, v[0:2], off offset:4
	s_wait_xcnt 0x0
	v_dual_mov_b32 v0, v24 :: v_dual_cndmask_b32 v7, v7, v13, s4
	v_cndmask_b32_e64 v6, v6, v12, s4
	s_wait_loadcnt_dscnt 0x0
	ds_store_b128 v26, v[8:11] offset:2304
	flat_load_b128 v[6:9], v[6:7]
	s_wait_loadcnt_dscnt 0x0
	ds_store_b128 v26, v[6:9] offset:3456
	s_wait_storecnt_dscnt 0x0
	s_barrier_signal -1
	s_barrier_wait -1
	s_wait_xcnt 0x0
	ds_load_b128 v[6:9], v55
	ds_load_b128 v[10:13], v54 offset:128
	s_wait_dscnt 0x0
	;;#ASMSTART
	v_dot2_f32_f16 v4, v6, v10, v4
	;;#ASMEND
	;;#ASMSTART
	v_dot2_f32_f16 v4, v7, v11, v4
	;;#ASMEND
	;;#ASMSTART
	v_dot2_f32_f16 v4, v8, v12, v4
	;;#ASMEND
	;;#ASMSTART
	v_dot2_f32_f16 v4, v9, v13, v4
	;;#ASMEND
	ds_load_b128 v[6:9], v55 offset:16
	ds_load_b128 v[10:13], v54 offset:144
	s_wait_dscnt 0x0
	;;#ASMSTART
	v_dot2_f32_f16 v4, v6, v10, v4
	;;#ASMEND
	;;#ASMSTART
	v_dot2_f32_f16 v4, v7, v11, v4
	;;#ASMEND
	;;#ASMSTART
	v_dot2_f32_f16 v4, v8, v12, v4
	;;#ASMEND
	;;#ASMSTART
	v_dot2_f32_f16 v4, v9, v13, v4
	;;#ASMEND
	ds_load_b128 v[6:9], v55 offset:32
	;; [unrolled: 15-line block ×7, first 2 shown]
	ds_load_b128 v[10:13], v54 offset:240
	s_wait_dscnt 0x0
	;;#ASMSTART
	v_dot2_f32_f16 v4, v6, v10, v4
	;;#ASMEND
	;;#ASMSTART
	v_dot2_f32_f16 v4, v7, v11, v4
	;;#ASMEND
	;; [unrolled: 3-line block ×4, first 2 shown]
	v_cmpx_gt_i32_e64 s7, v48
	s_cbranch_execz .LBB68_21
; %bb.18:
	s_cmp_eq_u64 s[30:31], 0
	s_cbranch_scc1 .LBB68_20
; %bb.19:
	v_mul_lo_u32 v0, v20, s35
	s_delay_alu instid0(VALU_DEP_1) | instskip(SKIP_3) | instid1(VALU_DEP_1)
	v_add3_u32 v0, v0, v48, s14
	global_load_u16 v0, v0, s[30:31] scale_offset
	s_wait_loadcnt 0x0
	v_cvt_f32_f16_e32 v0, v0
	v_mul_f32_e32 v5, v27, v0
.LBB68_20:
	v_max_num_f32_e32 v1, v24, v24
	s_delay_alu instid0(VALU_DEP_2) | instskip(NEXT) | instid1(VALU_DEP_1)
	v_add_f32_e32 v4, v4, v5
	v_add_f32_e32 v0, 0x40051340, v4
	s_delay_alu instid0(VALU_DEP_1)
	v_max_num_f32_e32 v0, v1, v0
.LBB68_21:
	s_or_b32 exec_lo, exec_lo, s2
	v_xor_b32_e32 v36, 16, v25
	v_xor_b32_e32 v35, 4, v25
	;; [unrolled: 1-line block ×4, first 2 shown]
	s_ashr_i32 s11, s10, 31
	v_cmp_gt_i32_e32 vcc_lo, 32, v36
	s_mul_u64 s[2:3], s[14:15], s[10:11]
	v_lshlrev_b32_e32 v22, 2, v22
	s_lshl_b64 s[2:3], s[2:3], 2
	s_mov_b32 s4, 0
	v_dual_cndmask_b32 v1, v25, v36, vcc_lo :: v_dual_bitop2_b32 v34, 8, v25 bitop3:0x14
	s_add_nc_u64 s[2:3], s[8:9], s[2:3]
	s_mov_b32 s5, s4
	s_mov_b32 s6, s4
	s_delay_alu instid0(VALU_DEP_1)
	v_cmp_gt_i32_e32 vcc_lo, 32, v34
	v_lshlrev_b32_e32 v1, 2, v1
	s_barrier_signal -1
	s_barrier_wait -1
	v_cndmask_b32_e32 v2, v25, v34, vcc_lo
	ds_bpermute_b32 v1, v1, v0
	v_max_num_f32_e32 v0, v0, v0
	v_cmp_gt_i32_e32 vcc_lo, 32, v35
	v_dual_lshlrev_b32 v40, 6, v23 :: v_dual_lshlrev_b32 v2, 2, v2
	v_dual_lshlrev_b32 v8, 1, v48 :: v_dual_mov_b32 v18, s6
	v_dual_mov_b32 v17, s5 :: v_dual_mov_b32 v16, s4
	s_lshl_b32 s4, s10, 2
	s_wait_dscnt 0x0
	v_max_num_f32_e32 v1, v1, v1
	s_delay_alu instid0(VALU_DEP_1) | instskip(SKIP_4) | instid1(VALU_DEP_2)
	v_max_num_f32_e32 v0, v0, v1
	ds_bpermute_b32 v1, v2, v0
	v_cndmask_b32_e32 v2, v25, v35, vcc_lo
	v_cmp_gt_i32_e32 vcc_lo, 32, v37
	s_wait_dscnt 0x0
	v_dual_max_num_f32 v1, v1, v1 :: v_dual_lshlrev_b32 v2, 2, v2
	s_delay_alu instid0(VALU_DEP_1) | instskip(SKIP_4) | instid1(VALU_DEP_2)
	v_max_num_f32_e32 v0, v0, v1
	ds_bpermute_b32 v1, v2, v0
	v_cndmask_b32_e32 v2, v25, v37, vcc_lo
	v_cmp_gt_i32_e32 vcc_lo, 32, v38
	s_wait_dscnt 0x0
	v_dual_max_num_f32 v1, v1, v1 :: v_dual_lshlrev_b32 v2, 2, v2
	s_delay_alu instid0(VALU_DEP_1) | instskip(SKIP_3) | instid1(VALU_DEP_1)
	v_max_num_f32_e32 v0, v0, v1
	ds_bpermute_b32 v1, v2, v0
	v_cndmask_b32_e32 v2, v25, v38, vcc_lo
	s_wait_dscnt 0x0
	v_dual_max_num_f32 v1, v1, v1 :: v_dual_lshlrev_b32 v2, 2, v2
	s_delay_alu instid0(VALU_DEP_1) | instskip(SKIP_3) | instid1(VALU_DEP_1)
	v_max_num_f32_e32 v0, v0, v1
	ds_bpermute_b32 v1, v2, v0
	s_wait_dscnt 0x0
	v_max_num_f32_e32 v1, v1, v1
	v_max_num_f32_e32 v20, v0, v1
	s_delay_alu instid0(VALU_DEP_1)
	v_sub_f32_e32 v5, v4, v20
	v_lshl_add_u32 v4, v23, 1, v53
	v_mov_b32_e32 v23, 0
	s_clause 0x1
	scratch_store_b32 off, v23, off
	scratch_store_b96 off, v[16:18], off offset:4
	v_mul_lo_u32 v10, s10, v4
	v_mul_f32_e32 v0, 0x3fb8aa3b, v5
	v_cmp_ngt_f32_e32 vcc_lo, 0xc2ce8ed0, v5
	v_lshl_or_b32 v78, v4, 8, v22
	v_dual_add_nc_u32 v53, 4, v4 :: v_dual_add_nc_u32 v79, 8, v4
	v_add_nc_u32_e32 v81, 12, v4
	s_delay_alu instid0(VALU_DEP_2) | instskip(NEXT) | instid1(VALU_DEP_3)
	v_lshl_or_b32 v80, v53, 8, v22
	v_lshl_or_b32 v82, v79, 8, v22
	v_ashrrev_i32_e32 v11, 31, v10
	v_fma_f32 v1, 0x3fb8aa3b, v5, -v0
	v_rndne_f32_e32 v2, v0
	v_lshl_or_b32 v83, v81, 8, v22
	s_delay_alu instid0(VALU_DEP_2) | instskip(SKIP_1) | instid1(VALU_DEP_2)
	v_dual_fmac_f32 v1, 0x32a5705f, v5 :: v_dual_sub_f32 v0, v0, v2
	v_cvt_i32_f32_e32 v2, v2
	v_add_f32_e32 v0, v0, v1
	s_delay_alu instid0(VALU_DEP_1) | instskip(SKIP_2) | instid1(TRANS32_DEP_1)
	v_exp_f32_e32 v6, v0
	v_nop
	v_lshlrev_b64_e32 v[0:1], 2, v[10:11]
	v_ldexp_f32 v9, v6, v2
	v_mov_b32_e32 v2, 0
	s_delay_alu instid0(VALU_DEP_3) | instskip(NEXT) | instid1(VALU_DEP_3)
	v_add_nc_u64_e32 v[6:7], s[2:3], v[0:1]
	v_cndmask_b32_e32 v9, 0, v9, vcc_lo
	v_cmp_nlt_f32_e32 vcc_lo, 0x42b17218, v5
	s_delay_alu instid0(VALU_DEP_4) | instskip(NEXT) | instid1(VALU_DEP_4)
	v_add_nc_u64_e32 v[26:27], src_flat_scratch_base_lo, v[2:3]
	v_add_nc_u64_e32 v[2:3], v[6:7], v[22:23]
	s_delay_alu instid0(VALU_DEP_4) | instskip(SKIP_1) | instid1(VALU_DEP_2)
	v_cndmask_b32_e32 v5, 0x7f800000, v9, vcc_lo
	v_cmp_gt_u32_e32 vcc_lo, s7, v48
	v_cndmask_b32_e32 v39, 0, v5, vcc_lo
	v_cmp_gt_i32_e32 vcc_lo, s7, v4
	v_add3_u32 v5, 0x1400, v40, v8
	s_delay_alu instid0(VALU_DEP_3)
	v_cvt_f16_f32_e32 v6, v39
	v_dual_cndmask_b32 v3, v27, v3 :: v_dual_cndmask_b32 v2, v26, v2
	v_cmp_gt_i32_e32 vcc_lo, s7, v53
	ds_store_b16 v5, v6
	flat_load_b128 v[6:9], v[2:3]
	s_wait_xcnt 0x0
	v_add_nc_u32_e32 v2, s4, v10
	s_clause 0x1
	scratch_store_b32 off, v23, off
	scratch_store_b96 off, v[16:18], off offset:4
	v_ashrrev_i32_e32 v3, 31, v2
	s_delay_alu instid0(VALU_DEP_1) | instskip(NEXT) | instid1(VALU_DEP_1)
	v_lshlrev_b64_e32 v[28:29], 2, v[2:3]
	v_add_nc_u64_e32 v[10:11], s[2:3], v[28:29]
	s_delay_alu instid0(VALU_DEP_1) | instskip(NEXT) | instid1(VALU_DEP_1)
	v_add_nc_u64_e32 v[10:11], v[10:11], v[22:23]
	v_dual_cndmask_b32 v11, v27, v11 :: v_dual_cndmask_b32 v10, v26, v10
	v_cmp_gt_i32_e32 vcc_lo, s7, v79
	v_add_nc_u32_e32 v2, s4, v2
	s_delay_alu instid0(VALU_DEP_1) | instskip(NEXT) | instid1(VALU_DEP_1)
	v_ashrrev_i32_e32 v3, 31, v2
	v_lshlrev_b64_e32 v[30:31], 2, v[2:3]
	s_wait_loadcnt_dscnt 0x0
	ds_store_b128 v78, v[6:9]
	flat_load_b128 v[6:9], v[10:11]
	s_wait_xcnt 0x0
	v_add_nc_u64_e32 v[10:11], s[2:3], v[30:31]
	s_clause 0x1
	scratch_store_b32 off, v23, off
	scratch_store_b96 off, v[16:18], off offset:4
	v_add_nc_u64_e32 v[10:11], v[10:11], v[22:23]
	s_delay_alu instid0(VALU_DEP_1) | instskip(SKIP_3) | instid1(VALU_DEP_2)
	v_dual_cndmask_b32 v11, v27, v11 :: v_dual_cndmask_b32 v10, v26, v10
	v_add_nc_u32_e32 v2, s4, v2
	v_cmp_gt_i32_e32 vcc_lo, s7, v81
	s_add_co_i32 s7, s7, -16
	v_ashrrev_i32_e32 v3, 31, v2
	s_delay_alu instid0(VALU_DEP_1) | instskip(NEXT) | instid1(VALU_DEP_1)
	v_lshlrev_b64_e32 v[32:33], 2, v[2:3]
	v_add_nc_u64_e32 v[2:3], s[2:3], v[32:33]
	s_or_b32 s2, s14, 16
	s_delay_alu instid0(SALU_CYCLE_1) | instskip(NEXT) | instid1(SALU_CYCLE_1)
	s_ashr_i32 s3, s2, 31
	s_mul_u64 s[2:3], s[2:3], s[10:11]
	s_delay_alu instid0(SALU_CYCLE_1) | instskip(NEXT) | instid1(VALU_DEP_1)
	s_lshl_b64 s[2:3], s[2:3], 2
	v_add_nc_u64_e32 v[2:3], v[2:3], v[22:23]
	s_add_nc_u64 s[2:3], s[8:9], s[2:3]
	s_delay_alu instid0(SALU_CYCLE_1) | instskip(SKIP_2) | instid1(VALU_DEP_4)
	v_add_nc_u64_e32 v[0:1], s[2:3], v[0:1]
	v_add_nc_u64_e32 v[28:29], s[2:3], v[28:29]
	;; [unrolled: 1-line block ×3, first 2 shown]
	v_cndmask_b32_e32 v2, v26, v2, vcc_lo
	s_delay_alu instid0(VALU_DEP_4)
	v_add_nc_u64_e32 v[0:1], v[0:1], v[22:23]
	v_cndmask_b32_e32 v3, v27, v3, vcc_lo
	v_cmp_gt_i32_e32 vcc_lo, s7, v4
	v_add_nc_u32_e32 v41, 0x800, v51
	v_add_nc_u64_e32 v[28:29], v[28:29], v[22:23]
	v_add_nc_u64_e32 v[32:33], v[32:33], v[22:23]
	v_dual_cndmask_b32 v47, v27, v1 :: v_dual_cndmask_b32 v46, v26, v0
	v_cmp_gt_i32_e32 vcc_lo, s7, v53
	s_delay_alu instid0(VALU_DEP_4)
	v_dual_cndmask_b32 v29, v27, v29 :: v_dual_cndmask_b32 v28, v26, v28
	v_cmp_gt_i32_e32 vcc_lo, s7, v79
	s_wait_loadcnt_dscnt 0x0
	ds_store_b128 v80, v[6:9]
	flat_load_b128 v[6:9], v[10:11]
	s_clause 0x1
	scratch_store_b32 off, v23, off
	scratch_store_b96 off, v[16:18], off offset:4
	s_wait_loadcnt_dscnt 0x0
	ds_store_b128 v82, v[6:9]
	flat_load_b128 v[6:9], v[2:3]
	s_wait_loadcnt_dscnt 0x0
	ds_store_b128 v83, v[6:9]
	s_wait_storecnt_dscnt 0x0
	s_barrier_signal -1
	s_barrier_wait -1
	ds_load_2addr_b64 v[42:45], v51 offset1:32
	ds_load_b128 v[54:57], v40 offset:5120
	ds_load_b128 v[4:7], v40 offset:5136
	ds_load_2addr_b64 v[58:61], v51 offset0:64 offset1:96
	ds_load_2addr_b64 v[62:65], v51 offset0:128 offset1:160
	;; [unrolled: 1-line block ×3, first 2 shown]
	ds_load_2addr_b64 v[70:73], v41 offset1:32
	ds_load_2addr_b64 v[12:15], v41 offset0:64 offset1:96
	s_wait_xcnt 0x3
	ds_load_2addr_b64 v[8:11], v41 offset0:128 offset1:160
	s_wait_xcnt 0x0
	ds_load_2addr_b64 v[0:3], v41 offset0:192 offset1:224
	s_wait_dscnt 0x0
	s_barrier_signal -1
	s_barrier_wait -1
	s_clause 0x1
	scratch_store_b32 off, v23, off
	scratch_store_b96 off, v[16:18], off offset:4
	flat_load_b128 v[74:77], v[46:47]
	s_clause 0x1
	scratch_store_b32 off, v23, off
	scratch_store_b96 off, v[16:18], off offset:4
	s_wait_loadcnt_dscnt 0x0
	ds_store_b128 v78, v[74:77]
	flat_load_b128 v[74:77], v[28:29]
	s_wait_xcnt 0x0
	v_add_nc_u64_e32 v[28:29], s[2:3], v[30:31]
	s_clause 0x1
	scratch_store_b32 off, v23, off
	scratch_store_b96 off, v[16:18], off offset:4
	v_add_nc_u64_e32 v[28:29], v[28:29], v[22:23]
	s_delay_alu instid0(VALU_DEP_1)
	v_dual_cndmask_b32 v29, v27, v29 :: v_dual_cndmask_b32 v28, v26, v28
	v_cmp_gt_i32_e32 vcc_lo, s7, v81
	v_dual_cndmask_b32 v27, v27, v33 :: v_dual_cndmask_b32 v26, v26, v32
	s_wait_loadcnt_dscnt 0x0
	ds_store_b128 v80, v[74:77]
	flat_load_b128 v[28:31], v[28:29]
	s_clause 0x1
	scratch_store_b32 off, v23, off
	scratch_store_b96 off, v[16:18], off offset:4
	s_wait_xcnt 0x0
	v_sub_f32_e32 v16, v24, v20
	v_and_b32_e32 v24, 0xffff, v55
	s_delay_alu instid0(VALU_DEP_2) | instskip(SKIP_1) | instid1(VALU_DEP_3)
	v_mul_f32_e32 v17, 0x3fb8aa3b, v16
	v_cmp_ngt_f32_e32 vcc_lo, 0xc2ce8ed0, v16
	v_mul_u32_u24_e32 v24, 0x10001, v24
	s_delay_alu instid0(VALU_DEP_3) | instskip(SKIP_1) | instid1(VALU_DEP_1)
	v_fma_f32 v18, 0x3fb8aa3b, v16, -v17
	v_rndne_f32_e32 v22, v17
	v_dual_fmac_f32 v18, 0x32a5705f, v16 :: v_dual_sub_f32 v17, v17, v22
	s_delay_alu instid0(VALU_DEP_1)
	v_add_f32_e32 v17, v17, v18
	v_cvt_i32_f32_e32 v18, v22
	s_wait_loadcnt_dscnt 0x0
	ds_store_b128 v82, v[28:31]
	flat_load_b128 v[26:29], v[26:27]
	v_lshrrev_b32_e32 v30, 16, v55
	v_exp_f32_e32 v17, v17
	v_nop
	s_delay_alu instid0(TRANS32_DEP_1) | instskip(NEXT) | instid1(VALU_DEP_1)
	v_ldexp_f32 v17, v17, v18
	v_dual_cndmask_b32 v17, 0, v17 :: v_dual_lshrrev_b32 v18, 16, v54
	v_cmp_nlt_f32_e32 vcc_lo, 0x42b17218, v16
	s_delay_alu instid0(VALU_DEP_2) | instskip(NEXT) | instid1(VALU_DEP_3)
	v_mul_u32_u24_e32 v18, 0x10001, v18
	v_cndmask_b32_e32 v22, 0x7f800000, v17, vcc_lo
	v_and_b32_e32 v17, 0xffff, v54
	s_delay_alu instid0(VALU_DEP_2) | instskip(NEXT) | instid1(VALU_DEP_2)
	v_cvt_f16_f32_e32 v16, v22
	v_mul_u32_u24_e32 v17, 0x10001, v17
	s_delay_alu instid0(VALU_DEP_2) | instskip(NEXT) | instid1(VALU_DEP_2)
	v_and_b32_e32 v16, 0xffff, v16
	v_pk_mul_f16 v23, v42, v17
	v_pk_mul_f16 v17, v43, v17
	s_delay_alu instid0(VALU_DEP_3) | instskip(NEXT) | instid1(VALU_DEP_1)
	v_mul_u32_u24_e32 v16, 0x10001, v16
	v_pk_fma_f16 v23, v52, v16, v23
	s_delay_alu instid0(VALU_DEP_3) | instskip(SKIP_1) | instid1(VALU_DEP_3)
	v_pk_fma_f16 v16, v19, v16, v17
	v_and_b32_e32 v19, 0xffff, v56
	v_pk_fma_f16 v17, v44, v18, v23
	s_delay_alu instid0(VALU_DEP_3)
	v_pk_fma_f16 v16, v45, v18, v16
	v_mul_u32_u24_e32 v23, 0x10001, v30
	v_lshrrev_b32_e32 v18, 16, v56
	v_mul_u32_u24_e32 v19, 0x10001, v19
	v_pk_fma_f16 v17, v58, v24, v17
	v_pk_fma_f16 v16, v59, v24, v16
	v_and_b32_e32 v24, 0xffff, v57
	v_mul_u32_u24_e32 v18, 0x10001, v18
	s_delay_alu instid0(VALU_DEP_4) | instskip(NEXT) | instid1(VALU_DEP_4)
	v_pk_fma_f16 v17, v60, v23, v17
	v_pk_fma_f16 v16, v61, v23, v16
	v_lshrrev_b32_e32 v23, 16, v57
	v_mul_u32_u24_e32 v24, 0x10001, v24
	s_delay_alu instid0(VALU_DEP_4) | instskip(NEXT) | instid1(VALU_DEP_4)
	v_pk_fma_f16 v17, v62, v19, v17
	v_pk_fma_f16 v16, v63, v19, v16
	v_and_b32_e32 v19, 0xffff, v4
	v_lshrrev_b32_e32 v4, 16, v4
	v_mul_u32_u24_e32 v23, 0x10001, v23
	v_pk_fma_f16 v17, v64, v18, v17
	v_pk_fma_f16 v16, v65, v18, v16
	v_mul_u32_u24_e32 v18, 0x10001, v19
	v_and_b32_e32 v19, 0xffff, v5
	v_mul_u32_u24_e32 v4, 0x10001, v4
	v_pk_fma_f16 v17, v66, v24, v17
	v_pk_fma_f16 v16, v67, v24, v16
	v_lshrrev_b32_e32 v5, 16, v5
	v_mul_u32_u24_e32 v24, 0x10001, v19
	s_delay_alu instid0(VALU_DEP_4) | instskip(NEXT) | instid1(VALU_DEP_4)
	v_pk_fma_f16 v17, v68, v23, v17
	v_pk_fma_f16 v16, v69, v23, v16
	v_and_b32_e32 v23, 0xffff, v6
	v_lshrrev_b32_e32 v6, 16, v6
	v_mul_u32_u24_e32 v5, 0x10001, v5
	v_pk_fma_f16 v17, v70, v18, v17
	v_pk_fma_f16 v16, v71, v18, v16
	v_mul_u32_u24_e32 v23, 0x10001, v23
	v_mul_u32_u24_e32 v6, 0x10001, v6
	s_delay_alu instid0(VALU_DEP_4) | instskip(NEXT) | instid1(VALU_DEP_4)
	v_pk_fma_f16 v17, v72, v4, v17
	v_pk_fma_f16 v4, v73, v4, v16
	s_delay_alu instid0(VALU_DEP_2) | instskip(NEXT) | instid1(VALU_DEP_2)
	v_pk_fma_f16 v12, v12, v24, v17
	v_pk_fma_f16 v4, v13, v24, v4
	v_and_b32_e32 v13, 0xffff, v7
	v_dual_lshrrev_b32 v7, 16, v7 :: v_dual_fmac_f32 v39, v21, v22
	s_delay_alu instid0(VALU_DEP_4) | instskip(NEXT) | instid1(VALU_DEP_4)
	v_pk_fma_f16 v12, v14, v5, v12
	v_pk_fma_f16 v4, v15, v5, v4
	s_delay_alu instid0(VALU_DEP_4) | instskip(NEXT) | instid1(VALU_DEP_4)
	v_mul_u32_u24_e32 v24, 0x10001, v13
	v_mov_b32_e32 v21, v39
	s_delay_alu instid0(VALU_DEP_4) | instskip(NEXT) | instid1(VALU_DEP_4)
	v_pk_fma_f16 v5, v8, v23, v12
	v_pk_fma_f16 v4, v9, v23, v4
	v_mul_u32_u24_e32 v23, 0x10001, v7
	s_delay_alu instid0(VALU_DEP_3) | instskip(NEXT) | instid1(VALU_DEP_1)
	v_pk_fma_f16 v5, v10, v6, v5
	v_pk_fma_f16 v0, v0, v24, v5
	s_wait_loadcnt_dscnt 0x0
	ds_store_b128 v83, v[26:29]
	s_wait_storecnt_dscnt 0x0
	s_barrier_signal -1
	s_barrier_wait -1
	ds_load_b128 v[16:19], v40 offset:5152
	ds_load_2addr_b64 v[12:15], v51 offset1:32
	s_wait_xcnt 0x0
	v_pk_fma_f16 v26, v11, v6, v4
	ds_load_b128 v[4:7], v40 offset:5168
	ds_load_2addr_b64 v[8:11], v51 offset0:64 offset1:96
	v_pk_fma_f16 v1, v1, v24, v26
	v_pk_fma_f16 v24, v2, v23, v0
	s_delay_alu instid0(VALU_DEP_2) | instskip(SKIP_4) | instid1(VALU_DEP_2)
	v_pk_fma_f16 v23, v3, v23, v1
	ds_load_2addr_b64 v[0:3], v51 offset0:128 offset1:160
	s_wait_dscnt 0x4
	v_and_b32_e32 v27, 0xffff, v16
	v_lshrrev_b32_e32 v16, 16, v16
	v_mul_u32_u24_e32 v26, 0x10001, v27
	v_and_b32_e32 v27, 0xffff, v17
	v_lshrrev_b32_e32 v17, 16, v17
	s_delay_alu instid0(VALU_DEP_4)
	v_mul_u32_u24_e32 v16, 0x10001, v16
	s_wait_dscnt 0x3
	v_pk_fma_f16 v12, v12, v26, v24
	v_pk_fma_f16 v13, v13, v26, v23
	v_mul_u32_u24_e32 v23, 0x10001, v27
	v_and_b32_e32 v26, 0xffff, v18
	v_mul_u32_u24_e32 v17, 0x10001, v17
	v_pk_fma_f16 v24, v14, v16, v12
	v_pk_fma_f16 v16, v15, v16, v13
	ds_load_2addr_b64 v[12:15], v51 offset0:192 offset1:224
	s_wait_dscnt 0x2
	v_pk_fma_f16 v8, v8, v23, v24
	v_pk_fma_f16 v9, v9, v23, v16
	v_lshrrev_b32_e32 v16, 16, v18
	v_mul_u32_u24_e32 v18, 0x10001, v26
	v_and_b32_e32 v24, 0xffff, v19
	v_pk_fma_f16 v23, v10, v17, v8
	v_pk_fma_f16 v17, v11, v17, v9
	ds_load_2addr_b64 v[8:11], v41 offset1:32
	s_wait_dscnt 0x2
	v_pk_fma_f16 v0, v0, v18, v23
	v_pk_fma_f16 v1, v1, v18, v17
	v_lshrrev_b32_e32 v17, 16, v19
	v_mul_u32_u24_e32 v16, 0x10001, v16
	v_mul_u32_u24_e32 v18, 0x10001, v24
	v_and_b32_e32 v23, 0xffff, v4
	v_lshrrev_b32_e32 v4, 16, v4
	v_mul_u32_u24_e32 v17, 0x10001, v17
	v_pk_fma_f16 v19, v2, v16, v0
	v_pk_fma_f16 v16, v3, v16, v1
	ds_load_2addr_b64 v[0:3], v41 offset0:64 offset1:96
	v_mov_b32_e32 v24, v20
	s_wait_dscnt 0x2
	v_pk_fma_f16 v12, v12, v18, v19
	v_pk_fma_f16 v13, v13, v18, v16
	v_mul_u32_u24_e32 v16, 0x10001, v23
	v_and_b32_e32 v19, 0xffff, v5
	v_lshrrev_b32_e32 v5, 16, v5
	v_pk_fma_f16 v18, v14, v17, v12
	v_pk_fma_f16 v17, v15, v17, v13
	ds_load_2addr_b64 v[12:15], v41 offset0:128 offset1:160
	v_mul_u32_u24_e32 v4, 0x10001, v4
	v_mul_u32_u24_e32 v5, 0x10001, v5
	s_wait_dscnt 0x2
	v_pk_fma_f16 v8, v8, v16, v18
	v_pk_fma_f16 v9, v9, v16, v17
	v_mul_u32_u24_e32 v16, 0x10001, v19
	v_and_b32_e32 v18, 0xffff, v6
	s_delay_alu instid0(VALU_DEP_4) | instskip(NEXT) | instid1(VALU_DEP_4)
	v_pk_fma_f16 v17, v10, v4, v8
	v_pk_fma_f16 v4, v11, v4, v9
	ds_load_2addr_b64 v[8:11], v41 offset0:192 offset1:224
	s_wait_dscnt 0x0
	s_barrier_signal -1
	v_pk_fma_f16 v0, v0, v16, v17
	v_pk_fma_f16 v1, v1, v16, v4
	v_lshrrev_b32_e32 v4, 16, v6
	v_mul_u32_u24_e32 v6, 0x10001, v18
	s_barrier_wait -1
	v_pk_fma_f16 v0, v2, v5, v0
	v_pk_fma_f16 v1, v3, v5, v1
	v_and_b32_e32 v2, 0xffff, v7
	v_mul_u32_u24_e32 v3, 0x10001, v4
	v_lshrrev_b32_e32 v4, 16, v7
	v_pk_fma_f16 v0, v12, v6, v0
	v_pk_fma_f16 v1, v13, v6, v1
	v_mul_u32_u24_e32 v2, 0x10001, v2
	s_delay_alu instid0(VALU_DEP_3) | instskip(NEXT) | instid1(VALU_DEP_3)
	v_pk_fma_f16 v0, v14, v3, v0
	v_pk_fma_f16 v1, v15, v3, v1
	v_mul_u32_u24_e32 v3, 0x10001, v4
	s_delay_alu instid0(VALU_DEP_3) | instskip(NEXT) | instid1(VALU_DEP_3)
	v_pk_fma_f16 v4, v8, v2, v0
	v_pk_fma_f16 v1, v9, v2, v1
	v_mov_b32_e32 v0, 32
	s_delay_alu instid0(VALU_DEP_3) | instskip(NEXT) | instid1(VALU_DEP_3)
	v_pk_fma_f16 v52, v10, v3, v4
	v_pk_fma_f16 v19, v11, v3, v1
.LBB68_22:
	s_delay_alu instid0(VALU_DEP_3)
	v_cmp_lt_i32_e32 vcc_lo, v36, v0
	s_cmp_eq_u64 s[12:13], 0
	s_cselect_b32 s2, -1, 0
	s_cmp_lg_u32 s24, 0
	v_cndmask_b32_e32 v1, v25, v36, vcc_lo
	v_cmp_lt_i32_e32 vcc_lo, v34, v0
	s_cselect_b32 s3, -1, 0
	s_delay_alu instid0(SALU_CYCLE_1) | instskip(NEXT) | instid1(VALU_DEP_2)
	s_or_b32 s2, s3, s2
	v_dual_cndmask_b32 v2, v25, v34 :: v_dual_lshlrev_b32 v1, 2, v1
	v_cmp_lt_i32_e32 vcc_lo, v35, v0
	s_delay_alu instid0(VALU_DEP_2) | instskip(SKIP_4) | instid1(VALU_DEP_2)
	v_lshlrev_b32_e32 v2, 2, v2
	ds_bpermute_b32 v1, v1, v21
	v_cndmask_b32_e32 v3, v25, v35, vcc_lo
	v_cmp_lt_i32_e32 vcc_lo, v37, v0
	s_wait_dscnt 0x0
	v_dual_lshlrev_b32 v3, 2, v3 :: v_dual_add_f32 v1, v21, v1
	ds_bpermute_b32 v2, v2, v1
	s_wait_dscnt 0x0
	v_add_f32_e32 v1, v1, v2
	ds_bpermute_b32 v2, v3, v1
	v_cndmask_b32_e32 v3, v25, v37, vcc_lo
	v_cmp_lt_i32_e32 vcc_lo, v38, v0
	v_cndmask_b32_e32 v0, v25, v38, vcc_lo
	s_and_b32 vcc_lo, exec_lo, s2
	s_delay_alu instid0(VALU_DEP_1)
	v_dual_lshlrev_b32 v0, 2, v0 :: v_dual_lshlrev_b32 v3, 2, v3
	s_wait_dscnt 0x0
	v_add_f32_e32 v1, v1, v2
	ds_bpermute_b32 v2, v3, v1
	s_wait_dscnt 0x0
	v_add_f32_e32 v1, v1, v2
	ds_bpermute_b32 v0, v0, v1
	s_wait_dscnt 0x0
	v_add_f32_e32 v25, v1, v0
	s_cbranch_vccnz .LBB68_25
; %bb.23:
	v_mov_b32_e32 v0, s33
	global_load_b32 v1, v0, s[12:13] scale_offset
	s_wait_loadcnt 0x0
	v_dual_max_num_f32 v0, v24, v24 :: v_dual_max_num_f32 v2, v1, v1
	s_delay_alu instid0(VALU_DEP_1) | instskip(NEXT) | instid1(VALU_DEP_1)
	v_max_num_f32_e32 v0, v0, v2
	v_sub_f32_e32 v2, v24, v0
	s_delay_alu instid0(VALU_DEP_1) | instskip(NEXT) | instid1(VALU_DEP_1)
	v_mul_f32_e32 v3, 0x3fb8aa3b, v2
	v_fma_f32 v4, 0x3fb8aa3b, v2, -v3
	v_rndne_f32_e32 v5, v3
	s_delay_alu instid0(VALU_DEP_1) | instskip(NEXT) | instid1(VALU_DEP_3)
	v_dual_sub_f32 v3, v3, v5 :: v_dual_sub_f32 v1, v1, v0
	v_fmac_f32_e32 v4, 0x32a5705f, v2
	v_cvt_i32_f32_e32 v5, v5
	v_cmp_ngt_f32_e32 vcc_lo, 0xc2ce8ed0, v2
	s_delay_alu instid0(VALU_DEP_3) | instskip(NEXT) | instid1(VALU_DEP_1)
	v_dual_mul_f32 v6, 0x3fb8aa3b, v1 :: v_dual_add_f32 v3, v3, v4
	v_fma_f32 v7, 0x3fb8aa3b, v1, -v6
	s_delay_alu instid0(VALU_DEP_2) | instskip(SKIP_1) | instid1(VALU_DEP_2)
	v_exp_f32_e32 v3, v3
	v_rndne_f32_e32 v8, v6
	v_fmac_f32_e32 v7, 0x32a5705f, v1
	s_delay_alu instid0(TRANS32_DEP_1) | instskip(NEXT) | instid1(VALU_DEP_3)
	v_ldexp_f32 v3, v3, v5
	v_sub_f32_e32 v4, v6, v8
	v_cvt_i32_f32_e32 v5, v8
	s_delay_alu instid0(VALU_DEP_3) | instskip(SKIP_1) | instid1(VALU_DEP_2)
	v_cndmask_b32_e32 v3, 0, v3, vcc_lo
	v_cmp_nlt_f32_e32 vcc_lo, 0x42b17218, v2
	v_cndmask_b32_e32 v2, 0x7f800000, v3, vcc_lo
	v_add_f32_e32 v4, v4, v7
	v_cmp_ngt_f32_e32 vcc_lo, 0xc2ce8ed0, v1
	s_delay_alu instid0(VALU_DEP_2) | instskip(SKIP_1) | instid1(TRANS32_DEP_1)
	v_exp_f32_e32 v4, v4
	v_nop
	v_ldexp_f32 v3, v4, v5
	v_cvt_f16_f32_e32 v4, v2
	s_delay_alu instid0(VALU_DEP_2) | instskip(SKIP_1) | instid1(VALU_DEP_3)
	v_cndmask_b32_e32 v3, 0, v3, vcc_lo
	v_cmp_nlt_f32_e32 vcc_lo, 0x42b17218, v1
	v_and_b32_e32 v4, 0xffff, v4
	s_delay_alu instid0(VALU_DEP_3) | instskip(NEXT) | instid1(VALU_DEP_2)
	v_cndmask_b32_e32 v1, 0x7f800000, v3, vcc_lo
	v_mul_u32_u24_e32 v3, 0x10001, v4
	s_delay_alu instid0(VALU_DEP_2) | instskip(NEXT) | instid1(VALU_DEP_2)
	v_fmac_f32_e32 v1, v25, v2
	v_pk_mul_f16 v52, v52, v3
	v_pk_mul_f16 v19, v19, v3
	s_delay_alu instid0(VALU_DEP_3)
	v_mov_b64_e32 v[24:25], v[0:1]
	s_mov_b32 s2, exec_lo
	v_cmpx_gt_i32_e64 s22, v49
	s_cbranch_execnz .LBB68_26
.LBB68_24:
	s_sendmsg sendmsg(MSG_DEALLOC_VGPRS)
	s_endpgm
.LBB68_25:
	s_delay_alu instid0(VALU_DEP_1)
	v_mov_b32_e32 v1, v25
	s_mov_b32 s2, exec_lo
	v_cmpx_gt_i32_e64 s22, v49
	s_cbranch_execz .LBB68_24
.LBB68_26:
	s_delay_alu instid0(VALU_DEP_2) | instskip(SKIP_2) | instid1(VALU_DEP_3)
	v_div_scale_f32 v0, null, v1, v1, 1.0
	v_div_scale_f32 v4, vcc_lo, 1.0, v1, 1.0
	v_mad_u32 v5, s28, s22, v49
	v_rcp_f32_e32 v2, v0
	s_load_b32 s0, s[0:1], 0xd4
	v_lshrrev_b32_e32 v7, 16, v19
	s_delay_alu instid0(TRANS32_DEP_1) | instskip(NEXT) | instid1(VALU_DEP_2)
	v_fma_f32 v3, -v0, v2, 1.0
	v_cvt_f32_f16_e32 v7, v7
	s_delay_alu instid0(VALU_DEP_4) | instskip(NEXT) | instid1(VALU_DEP_3)
	v_mad_u32 v5, v5, s23, s33
	v_fmac_f32_e32 v2, v3, v2
	s_delay_alu instid0(VALU_DEP_1) | instskip(SKIP_2) | instid1(VALU_DEP_1)
	v_mul_f32_e32 v6, v4, v2
	s_wait_kmcnt 0x0
	s_cmp_lg_u32 s0, 1
	v_fma_f32 v3, -v0, v6, v4
	s_delay_alu instid0(VALU_DEP_1) | instskip(NEXT) | instid1(VALU_DEP_1)
	v_dual_fmac_f32 v6, v3, v2 :: v_dual_mov_b32 v3, 0
	v_fma_f32 v4, -v0, v6, v4
	v_mad_u32 v0, s0, v5, s24
	v_lshrrev_b32_e32 v5, 16, v52
	s_cselect_b32 s0, -1, 0
	s_delay_alu instid0(VALU_DEP_3)
	v_div_fmas_f32 v2, v4, v2, v6
	v_cvt_f32_f16_e32 v4, v52
	v_cvt_f32_f16_e32 v6, v19
	;; [unrolled: 1-line block ×3, first 2 shown]
	v_cmp_eq_u32_e32 vcc_lo, 0, v48
	v_div_fixup_f32 v1, v2, v1, 1.0
	v_lshl_add_u32 v2, v0, 7, v50
	s_delay_alu instid0(VALU_DEP_2) | instskip(SKIP_1) | instid1(VALU_DEP_2)
	v_cndmask_b32_e64 v8, v1, 1.0, s0
	s_and_b32 s0, vcc_lo, s0
	v_lshl_add_u64 v[10:11], v[2:3], 2, s[16:17]
	s_delay_alu instid0(VALU_DEP_2)
	v_pk_mul_f32 v[2:3], v[8:9], v[4:5] op_sel_hi:[0,1]
	v_pk_mul_f32 v[4:5], v[8:9], v[6:7] op_sel_hi:[0,1]
	global_store_b128 v[10:11], v[2:5], off
	s_wait_xcnt 0x0
	s_and_b32 exec_lo, exec_lo, s0
	s_cbranch_execz .LBB68_24
; %bb.27:
	global_store_b64 v0, v[24:25], s[18:19] scale_offset
	s_sendmsg sendmsg(MSG_DEALLOC_VGPRS)
	s_endpgm
	.section	.rodata,"a",@progbits
	.p2align	6, 0x0
	.amdhsa_kernel _ZL15flash_attn_tileILi128ELi128ELi2ELi1ELb0EEvPKcS1_S1_S1_S1_PKiPfP15HIP_vector_typeIfLj2EEffffjfiS5_IjLj3EEiiiiiiiiiiiliiliiiiil
		.amdhsa_group_segment_fixed_size 5248
		.amdhsa_private_segment_fixed_size 32
		.amdhsa_kernarg_size 464
		.amdhsa_user_sgpr_count 2
		.amdhsa_user_sgpr_dispatch_ptr 0
		.amdhsa_user_sgpr_queue_ptr 0
		.amdhsa_user_sgpr_kernarg_segment_ptr 1
		.amdhsa_user_sgpr_dispatch_id 0
		.amdhsa_user_sgpr_kernarg_preload_length 0
		.amdhsa_user_sgpr_kernarg_preload_offset 0
		.amdhsa_user_sgpr_private_segment_size 0
		.amdhsa_wavefront_size32 1
		.amdhsa_uses_dynamic_stack 0
		.amdhsa_enable_private_segment 1
		.amdhsa_system_sgpr_workgroup_id_x 1
		.amdhsa_system_sgpr_workgroup_id_y 1
		.amdhsa_system_sgpr_workgroup_id_z 1
		.amdhsa_system_sgpr_workgroup_info 0
		.amdhsa_system_vgpr_workitem_id 1
		.amdhsa_next_free_vgpr 112
		.amdhsa_next_free_sgpr 47
		.amdhsa_named_barrier_count 0
		.amdhsa_reserve_vcc 1
		.amdhsa_float_round_mode_32 0
		.amdhsa_float_round_mode_16_64 0
		.amdhsa_float_denorm_mode_32 3
		.amdhsa_float_denorm_mode_16_64 3
		.amdhsa_fp16_overflow 0
		.amdhsa_memory_ordered 1
		.amdhsa_forward_progress 1
		.amdhsa_inst_pref_size 84
		.amdhsa_round_robin_scheduling 0
		.amdhsa_exception_fp_ieee_invalid_op 0
		.amdhsa_exception_fp_denorm_src 0
		.amdhsa_exception_fp_ieee_div_zero 0
		.amdhsa_exception_fp_ieee_overflow 0
		.amdhsa_exception_fp_ieee_underflow 0
		.amdhsa_exception_fp_ieee_inexact 0
		.amdhsa_exception_int_div_zero 0
	.end_amdhsa_kernel
	.section	.text._ZL15flash_attn_tileILi128ELi128ELi2ELi1ELb0EEvPKcS1_S1_S1_S1_PKiPfP15HIP_vector_typeIfLj2EEffffjfiS5_IjLj3EEiiiiiiiiiiiliiliiiiil,"axG",@progbits,_ZL15flash_attn_tileILi128ELi128ELi2ELi1ELb0EEvPKcS1_S1_S1_S1_PKiPfP15HIP_vector_typeIfLj2EEffffjfiS5_IjLj3EEiiiiiiiiiiiliiliiiiil,comdat
.Lfunc_end68:
	.size	_ZL15flash_attn_tileILi128ELi128ELi2ELi1ELb0EEvPKcS1_S1_S1_S1_PKiPfP15HIP_vector_typeIfLj2EEffffjfiS5_IjLj3EEiiiiiiiiiiiliiliiiiil, .Lfunc_end68-_ZL15flash_attn_tileILi128ELi128ELi2ELi1ELb0EEvPKcS1_S1_S1_S1_PKiPfP15HIP_vector_typeIfLj2EEffffjfiS5_IjLj3EEiiiiiiiiiiiliiliiiiil
                                        ; -- End function
	.set _ZL15flash_attn_tileILi128ELi128ELi2ELi1ELb0EEvPKcS1_S1_S1_S1_PKiPfP15HIP_vector_typeIfLj2EEffffjfiS5_IjLj3EEiiiiiiiiiiiliiliiiiil.num_vgpr, 112
	.set _ZL15flash_attn_tileILi128ELi128ELi2ELi1ELb0EEvPKcS1_S1_S1_S1_PKiPfP15HIP_vector_typeIfLj2EEffffjfiS5_IjLj3EEiiiiiiiiiiiliiliiiiil.num_agpr, 0
	.set _ZL15flash_attn_tileILi128ELi128ELi2ELi1ELb0EEvPKcS1_S1_S1_S1_PKiPfP15HIP_vector_typeIfLj2EEffffjfiS5_IjLj3EEiiiiiiiiiiiliiliiiiil.numbered_sgpr, 47
	.set _ZL15flash_attn_tileILi128ELi128ELi2ELi1ELb0EEvPKcS1_S1_S1_S1_PKiPfP15HIP_vector_typeIfLj2EEffffjfiS5_IjLj3EEiiiiiiiiiiiliiliiiiil.num_named_barrier, 0
	.set _ZL15flash_attn_tileILi128ELi128ELi2ELi1ELb0EEvPKcS1_S1_S1_S1_PKiPfP15HIP_vector_typeIfLj2EEffffjfiS5_IjLj3EEiiiiiiiiiiiliiliiiiil.private_seg_size, 32
	.set _ZL15flash_attn_tileILi128ELi128ELi2ELi1ELb0EEvPKcS1_S1_S1_S1_PKiPfP15HIP_vector_typeIfLj2EEffffjfiS5_IjLj3EEiiiiiiiiiiiliiliiiiil.uses_vcc, 1
	.set _ZL15flash_attn_tileILi128ELi128ELi2ELi1ELb0EEvPKcS1_S1_S1_S1_PKiPfP15HIP_vector_typeIfLj2EEffffjfiS5_IjLj3EEiiiiiiiiiiiliiliiiiil.uses_flat_scratch, 1
	.set _ZL15flash_attn_tileILi128ELi128ELi2ELi1ELb0EEvPKcS1_S1_S1_S1_PKiPfP15HIP_vector_typeIfLj2EEffffjfiS5_IjLj3EEiiiiiiiiiiiliiliiiiil.has_dyn_sized_stack, 0
	.set _ZL15flash_attn_tileILi128ELi128ELi2ELi1ELb0EEvPKcS1_S1_S1_S1_PKiPfP15HIP_vector_typeIfLj2EEffffjfiS5_IjLj3EEiiiiiiiiiiiliiliiiiil.has_recursion, 0
	.set _ZL15flash_attn_tileILi128ELi128ELi2ELi1ELb0EEvPKcS1_S1_S1_S1_PKiPfP15HIP_vector_typeIfLj2EEffffjfiS5_IjLj3EEiiiiiiiiiiiliiliiiiil.has_indirect_call, 0
	.section	.AMDGPU.csdata,"",@progbits
; Kernel info:
; codeLenInByte = 10720
; TotalNumSgprs: 49
; NumVgprs: 112
; ScratchSize: 32
; MemoryBound: 0
; FloatMode: 240
; IeeeMode: 1
; LDSByteSize: 5248 bytes/workgroup (compile time only)
; SGPRBlocks: 0
; VGPRBlocks: 6
; NumSGPRsForWavesPerEU: 49
; NumVGPRsForWavesPerEU: 112
; NamedBarCnt: 0
; Occupancy: 9
; WaveLimiterHint : 1
; COMPUTE_PGM_RSRC2:SCRATCH_EN: 1
; COMPUTE_PGM_RSRC2:USER_SGPR: 2
; COMPUTE_PGM_RSRC2:TRAP_HANDLER: 0
; COMPUTE_PGM_RSRC2:TGID_X_EN: 1
; COMPUTE_PGM_RSRC2:TGID_Y_EN: 1
; COMPUTE_PGM_RSRC2:TGID_Z_EN: 1
; COMPUTE_PGM_RSRC2:TIDIG_COMP_CNT: 1
	.section	.text._ZL33flash_attn_stream_k_fixup_uniformILi128ELi2ELi1EEvPfPK15HIP_vector_typeIfLj2EEiiiiiiS1_IjLj3EES5_S5_,"axG",@progbits,_ZL33flash_attn_stream_k_fixup_uniformILi128ELi2ELi1EEvPfPK15HIP_vector_typeIfLj2EEiiiiiiS1_IjLj3EES5_S5_,comdat
	.globl	_ZL33flash_attn_stream_k_fixup_uniformILi128ELi2ELi1EEvPfPK15HIP_vector_typeIfLj2EEiiiiiiS1_IjLj3EES5_S5_ ; -- Begin function _ZL33flash_attn_stream_k_fixup_uniformILi128ELi2ELi1EEvPfPK15HIP_vector_typeIfLj2EEiiiiiiS1_IjLj3EES5_S5_
	.p2align	8
	.type	_ZL33flash_attn_stream_k_fixup_uniformILi128ELi2ELi1EEvPfPK15HIP_vector_typeIfLj2EEiiiiiiS1_IjLj3EES5_S5_,@function
_ZL33flash_attn_stream_k_fixup_uniformILi128ELi2ELi1EEvPfPK15HIP_vector_typeIfLj2EEiiiiiiS1_IjLj3EES5_S5_: ; @_ZL33flash_attn_stream_k_fixup_uniformILi128ELi2ELi1EEvPfPK15HIP_vector_typeIfLj2EEiiiiiiS1_IjLj3EES5_S5_
; %bb.0:
	s_load_b256 s[4:11], s[0:1], 0x1c
	s_bfe_u32 s2, ttmp6, 0x40014
	s_lshr_b32 s3, ttmp7, 16
	s_add_co_i32 s2, s2, 1
	s_bfe_u32 s13, ttmp6, 0x40010
	s_mul_i32 s2, s3, s2
	s_bfe_u32 s12, ttmp6, 0x40008
	s_and_b32 s14, ttmp7, 0xffff
	s_add_co_i32 s13, s13, 1
	s_bfe_u32 s15, ttmp6, 0x4000c
	s_add_co_i32 s2, s12, s2
	s_mul_i32 s12, s14, s13
	s_bfe_u32 s13, ttmp6, 0x40004
	s_add_co_i32 s15, s15, 1
	s_add_co_i32 s13, s13, s12
	s_and_b32 s12, ttmp6, 15
	s_mul_i32 s15, ttmp9, s15
	s_getreg_b32 s20, hwreg(HW_REG_IB_STS2, 6, 4)
	s_add_co_i32 s12, s12, s15
	s_load_b128 s[16:19], s[0:1], 0x3c
	s_cmp_eq_u32 s20, 0
	s_cselect_b32 s12, ttmp9, s12
	s_cselect_b32 s13, s14, s13
	s_wait_kmcnt 0x0
	s_mul_hi_u32 s7, s7, s12
	s_cselect_b32 s14, s3, s2
	s_add_co_i32 s2, s12, s7
	s_delay_alu instid0(SALU_CYCLE_1) | instskip(NEXT) | instid1(SALU_CYCLE_1)
	s_lshr_b32 s7, s2, s8
	s_mul_i32 s2, s7, s9
	s_delay_alu instid0(SALU_CYCLE_1) | instskip(NEXT) | instid1(SALU_CYCLE_1)
	s_sub_co_i32 s8, s12, s2
	s_mul_hi_u32 s2, s8, s10
	s_delay_alu instid0(SALU_CYCLE_1) | instskip(SKIP_2) | instid1(SALU_CYCLE_1)
	s_add_co_i32 s9, s8, s2
	s_load_b64 s[2:3], s[0:1], 0x10
	s_lshr_b32 s15, s9, s11
	s_mul_i32 s9, s15, s16
	s_delay_alu instid0(SALU_CYCLE_1) | instskip(NEXT) | instid1(SALU_CYCLE_1)
	s_sub_co_i32 s8, s8, s9
	s_mul_hi_u32 s9, s8, s17
	s_delay_alu instid0(SALU_CYCLE_1) | instskip(NEXT) | instid1(SALU_CYCLE_1)
	s_add_co_i32 s9, s8, s9
	s_lshr_b32 s16, s9, s18
	s_delay_alu instid0(SALU_CYCLE_1) | instskip(NEXT) | instid1(SALU_CYCLE_1)
	s_mul_i32 s9, s16, s19
	s_sub_co_i32 s17, s8, s9
	s_delay_alu instid0(SALU_CYCLE_1) | instskip(NEXT) | instid1(SALU_CYCLE_1)
	s_lshl_b32 s8, s17, 1
	s_add_co_i32 s8, s8, s13
	s_wait_kmcnt 0x0
	s_cmp_lt_i32 s8, s2
	s_cselect_b32 s8, -1, 0
	s_add_co_i32 s9, s16, s14
	s_delay_alu instid0(SALU_CYCLE_1) | instskip(SKIP_1) | instid1(SALU_CYCLE_1)
	s_cmp_lt_i32 s9, s5
	s_cselect_b32 s9, -1, 0
	s_and_b32 s8, s8, s9
	s_delay_alu instid0(SALU_CYCLE_1)
	s_and_not1_b32 vcc_lo, exec_lo, s8
	s_cbranch_vccnz .LBB69_6
; %bb.1:
	s_mul_i32 s2, s7, s2
	s_load_b128 s[8:11], s[0:1], 0x0
	s_wait_xcnt 0x0
	s_add_co_i32 s0, s2, s13
	s_mul_i32 s15, s15, s5
	s_mul_i32 s0, s0, s3
	;; [unrolled: 1-line block ×3, first 2 shown]
	s_add_co_i32 s0, s0, s14
	s_lshl_b32 s1, s1, 8
	s_add_co_i32 s0, s0, s15
	s_mul_i32 s7, s6, s12
	s_add_co_i32 s0, s0, s16
	s_add_co_i32 s5, s7, s6
	s_lshl_b32 s0, s0, 7
	s_add_co_i32 s13, s13, s14
	s_add_co_i32 s1, s1, s0
	s_lshl_b32 s0, s5, 1
	v_or_b32_e32 v4, s1, v0
	s_add_co_i32 s0, s13, s0
	s_add_co_i32 s2, s5, -2
	s_add_co_i32 s0, s0, -2
	s_delay_alu instid0(SALU_CYCLE_1)
	s_ashr_i32 s1, s0, 31
	s_wait_kmcnt 0x0
	global_load_b32 v3, v4, s[8:9] scale_offset
	s_lshl_b64 s[0:1], s[0:1], 3
	v_ashrrev_i32_e32 v5, 31, v4
	s_add_nc_u64 s[0:1], s[10:11], s[0:1]
	s_cmp_lt_i32 s2, s7
	s_load_b32 s14, s[0:1], 0x4
	s_cbranch_scc1 .LBB69_4
; %bb.2:
	s_wait_xcnt 0x0
	s_load_b32 s0, s[0:1], 0x0
	s_add_co_i32 s12, s12, 1
	s_lshl_b32 s3, s13, 7
	s_wait_xcnt 0x0
	s_mul_i32 s1, s6, s12
	s_lshl_b32 s2, s4, 3
	s_lshl_b32 s6, s1, 8
	;; [unrolled: 1-line block ×3, first 2 shown]
	s_add_co_i32 s6, s3, s6
	s_ashr_i32 s3, s2, 31
	s_wait_kmcnt 0x0
	v_dual_mov_b32 v2, s14 :: v_dual_bitop2_b32 v0, s6, v0 bitop3:0x54
	s_add_co_i32 s1, s13, s1
	s_lshl_b32 s4, s4, 1
	s_lshl_b64 s[2:3], s[2:3], 2
	s_delay_alu instid0(VALU_DEP_1)
	v_add_nc_u32_e32 v0, 0xfffffe00, v0
	s_add_co_i32 s4, s1, s4
	s_add_nc_u64 s[2:3], s[10:11], s[2:3]
	s_add_co_i32 s1, s5, -1
	s_add_co_i32 s4, s4, -4
.LBB69_3:                               ; =>This Inner Loop Header: Depth=1
	global_load_b32 v7, v0, s[2:3] scale_offset
	s_ashr_i32 s5, s4, 31
	v_max_num_f32_e64 v1, s0, s0
	s_lshl_b64 s[12:13], s[4:5], 3
	s_delay_alu instid0(SALU_CYCLE_1) | instskip(SKIP_1) | instid1(VALU_DEP_1)
	s_add_nc_u64 s[12:13], s[10:11], s[12:13]
	s_load_b64 s[12:13], s[12:13], 0x0
	v_readfirstlane_b32 s5, v1
	v_add_nc_u32_e32 v0, 0xffffff00, v0
	s_wait_kmcnt 0x0
	v_max_num_f32_e64 v1, s12, s12
	s_delay_alu instid0(VALU_DEP_1) | instskip(SKIP_1) | instid1(SALU_CYCLE_3)
	v_readfirstlane_b32 s6, v1
	s_max_num_f32 s5, s5, s6
	s_sub_f32 s0, s0, s5
	s_sub_f32 s6, s12, s5
	s_delay_alu instid0(SALU_CYCLE_2) | instskip(NEXT) | instid1(SALU_CYCLE_2)
	s_mul_f32 s12, s0, 0x3fb8aa3b
	s_mul_f32 s14, s6, 0x3fb8aa3b
	s_delay_alu instid0(SALU_CYCLE_2)
	s_xor_b32 s15, s12, 0x80000000
	s_rndne_f32 s16, s12
	s_fmamk_f32 s15, s0, 0x3fb8aa3b, s15
	s_cmp_nlt_f32 s0, 0xc2ce8ed0
	s_rndne_f32 s17, s14
	s_sub_f32 s12, s12, s16
	s_fmamk_f32 s15, s0, 0x32a5705f, s15
	s_cselect_b32 vcc_lo, -1, 0
	s_cmp_ngt_f32 s0, 0x42b17218
	s_delay_alu instid0(SALU_CYCLE_1) | instskip(SKIP_2) | instid1(SALU_CYCLE_1)
	s_add_f32 s12, s12, s15
	s_cvt_i32_f32 s15, s16
	s_sub_f32 s16, s14, s17
	v_s_exp_f32 s12, s12
	v_nop
	s_delay_alu instid0(TRANS32_DEP_1) | instskip(SKIP_1) | instid1(VALU_DEP_1)
	v_ldexp_f32 v1, s12, s15
	s_cvt_i32_f32 s12, s17
	v_cndmask_b32_e32 v1, 0, v1, vcc_lo
	s_cselect_b32 vcc_lo, -1, 0
	s_cmp_ge_f32 s0, 0xc1a00000
	s_delay_alu instid0(VALU_DEP_1)
	v_cndmask_b32_e32 v1, 0x7f800000, v1, vcc_lo
	s_cselect_b32 vcc_lo, -1, 0
	s_xor_b32 s0, s14, 0x80000000
	s_cmp_nlt_f32 s6, 0xc2ce8ed0
	s_fmamk_f32 s0, s6, 0x3fb8aa3b, s0
	v_cndmask_b32_e32 v10, 0, v1, vcc_lo
	s_delay_alu instid0(SALU_CYCLE_2) | instskip(NEXT) | instid1(SALU_CYCLE_3)
	s_fmamk_f32 s0, s6, 0x32a5705f, s0
	s_add_f32 s0, s16, s0
	s_delay_alu instid0(SALU_CYCLE_3) | instskip(SKIP_1) | instid1(TRANS32_DEP_1)
	v_s_exp_f32 s0, s0
	v_nop
	v_ldexp_f32 v6, s0, s12
	s_cselect_b32 s0, -1, 0
	s_cmp_ngt_f32 s6, 0x42b17218
	s_delay_alu instid0(VALU_DEP_1) | instskip(SKIP_2) | instid1(VALU_DEP_1)
	v_cndmask_b32_e64 v6, 0, v6, s0
	s_cselect_b32 s0, -1, 0
	s_cmp_ge_f32 s6, 0xc1a00000
	v_cndmask_b32_e64 v8, 0x7f800000, v6, s0
	s_cselect_b32 s0, -1, 0
	v_mov_b32_e32 v6, s13
	s_add_co_i32 s1, s1, -1
	s_add_co_i32 s4, s4, -2
	v_cndmask_b32_e64 v8, 0, v8, s0
	s_cmp_le_i32 s1, s7
	s_mov_b32 s0, s5
	s_wait_loadcnt 0x0
	s_delay_alu instid0(VALU_DEP_1) | instskip(NEXT) | instid1(VALU_DEP_1)
	v_pk_mul_f32 v[6:7], v[6:7], v[8:9] op_sel_hi:[1,0]
	v_pk_fma_f32 v[2:3], v[2:3], v[10:11], v[6:7] op_sel_hi:[1,0,1]
	s_cbranch_scc0 .LBB69_3
	s_branch .LBB69_5
.LBB69_4:
	s_wait_kmcnt 0x0
	v_mov_b32_e32 v2, s14
.LBB69_5:
	v_lshl_add_u64 v[0:1], v[4:5], 2, s[8:9]
	s_wait_loadcnt 0x0
	s_delay_alu instid0(VALU_DEP_2) | instskip(NEXT) | instid1(VALU_DEP_1)
	v_div_scale_f32 v4, null, v2, v2, v3
	v_rcp_f32_e32 v5, v4
	v_nop
	s_delay_alu instid0(TRANS32_DEP_1) | instskip(NEXT) | instid1(VALU_DEP_1)
	v_fma_f32 v6, -v4, v5, 1.0
	v_fmac_f32_e32 v5, v6, v5
	v_div_scale_f32 v6, vcc_lo, v3, v2, v3
	s_delay_alu instid0(VALU_DEP_1) | instskip(NEXT) | instid1(VALU_DEP_1)
	v_mul_f32_e32 v7, v6, v5
	v_fma_f32 v8, -v4, v7, v6
	s_delay_alu instid0(VALU_DEP_1) | instskip(NEXT) | instid1(VALU_DEP_1)
	v_fmac_f32_e32 v7, v8, v5
	v_fma_f32 v4, -v4, v7, v6
	s_delay_alu instid0(VALU_DEP_1) | instskip(NEXT) | instid1(VALU_DEP_1)
	v_div_fmas_f32 v4, v4, v5, v7
	v_div_fixup_f32 v2, v4, v2, v3
	global_store_b32 v[0:1], v2, off
.LBB69_6:
	s_endpgm
	.section	.rodata,"a",@progbits
	.p2align	6, 0x0
	.amdhsa_kernel _ZL33flash_attn_stream_k_fixup_uniformILi128ELi2ELi1EEvPfPK15HIP_vector_typeIfLj2EEiiiiiiS1_IjLj3EES5_S5_
		.amdhsa_group_segment_fixed_size 0
		.amdhsa_private_segment_fixed_size 0
		.amdhsa_kernarg_size 76
		.amdhsa_user_sgpr_count 2
		.amdhsa_user_sgpr_dispatch_ptr 0
		.amdhsa_user_sgpr_queue_ptr 0
		.amdhsa_user_sgpr_kernarg_segment_ptr 1
		.amdhsa_user_sgpr_dispatch_id 0
		.amdhsa_user_sgpr_kernarg_preload_length 0
		.amdhsa_user_sgpr_kernarg_preload_offset 0
		.amdhsa_user_sgpr_private_segment_size 0
		.amdhsa_wavefront_size32 1
		.amdhsa_uses_dynamic_stack 0
		.amdhsa_enable_private_segment 0
		.amdhsa_system_sgpr_workgroup_id_x 1
		.amdhsa_system_sgpr_workgroup_id_y 1
		.amdhsa_system_sgpr_workgroup_id_z 1
		.amdhsa_system_sgpr_workgroup_info 0
		.amdhsa_system_vgpr_workitem_id 0
		.amdhsa_next_free_vgpr 12
		.amdhsa_next_free_sgpr 21
		.amdhsa_named_barrier_count 0
		.amdhsa_reserve_vcc 1
		.amdhsa_float_round_mode_32 0
		.amdhsa_float_round_mode_16_64 0
		.amdhsa_float_denorm_mode_32 3
		.amdhsa_float_denorm_mode_16_64 3
		.amdhsa_fp16_overflow 0
		.amdhsa_memory_ordered 1
		.amdhsa_forward_progress 1
		.amdhsa_inst_pref_size 9
		.amdhsa_round_robin_scheduling 0
		.amdhsa_exception_fp_ieee_invalid_op 0
		.amdhsa_exception_fp_denorm_src 0
		.amdhsa_exception_fp_ieee_div_zero 0
		.amdhsa_exception_fp_ieee_overflow 0
		.amdhsa_exception_fp_ieee_underflow 0
		.amdhsa_exception_fp_ieee_inexact 0
		.amdhsa_exception_int_div_zero 0
	.end_amdhsa_kernel
	.section	.text._ZL33flash_attn_stream_k_fixup_uniformILi128ELi2ELi1EEvPfPK15HIP_vector_typeIfLj2EEiiiiiiS1_IjLj3EES5_S5_,"axG",@progbits,_ZL33flash_attn_stream_k_fixup_uniformILi128ELi2ELi1EEvPfPK15HIP_vector_typeIfLj2EEiiiiiiS1_IjLj3EES5_S5_,comdat
.Lfunc_end69:
	.size	_ZL33flash_attn_stream_k_fixup_uniformILi128ELi2ELi1EEvPfPK15HIP_vector_typeIfLj2EEiiiiiiS1_IjLj3EES5_S5_, .Lfunc_end69-_ZL33flash_attn_stream_k_fixup_uniformILi128ELi2ELi1EEvPfPK15HIP_vector_typeIfLj2EEiiiiiiS1_IjLj3EES5_S5_
                                        ; -- End function
	.set _ZL33flash_attn_stream_k_fixup_uniformILi128ELi2ELi1EEvPfPK15HIP_vector_typeIfLj2EEiiiiiiS1_IjLj3EES5_S5_.num_vgpr, 12
	.set _ZL33flash_attn_stream_k_fixup_uniformILi128ELi2ELi1EEvPfPK15HIP_vector_typeIfLj2EEiiiiiiS1_IjLj3EES5_S5_.num_agpr, 0
	.set _ZL33flash_attn_stream_k_fixup_uniformILi128ELi2ELi1EEvPfPK15HIP_vector_typeIfLj2EEiiiiiiS1_IjLj3EES5_S5_.numbered_sgpr, 21
	.set _ZL33flash_attn_stream_k_fixup_uniformILi128ELi2ELi1EEvPfPK15HIP_vector_typeIfLj2EEiiiiiiS1_IjLj3EES5_S5_.num_named_barrier, 0
	.set _ZL33flash_attn_stream_k_fixup_uniformILi128ELi2ELi1EEvPfPK15HIP_vector_typeIfLj2EEiiiiiiS1_IjLj3EES5_S5_.private_seg_size, 0
	.set _ZL33flash_attn_stream_k_fixup_uniformILi128ELi2ELi1EEvPfPK15HIP_vector_typeIfLj2EEiiiiiiS1_IjLj3EES5_S5_.uses_vcc, 1
	.set _ZL33flash_attn_stream_k_fixup_uniformILi128ELi2ELi1EEvPfPK15HIP_vector_typeIfLj2EEiiiiiiS1_IjLj3EES5_S5_.uses_flat_scratch, 0
	.set _ZL33flash_attn_stream_k_fixup_uniformILi128ELi2ELi1EEvPfPK15HIP_vector_typeIfLj2EEiiiiiiS1_IjLj3EES5_S5_.has_dyn_sized_stack, 0
	.set _ZL33flash_attn_stream_k_fixup_uniformILi128ELi2ELi1EEvPfPK15HIP_vector_typeIfLj2EEiiiiiiS1_IjLj3EES5_S5_.has_recursion, 0
	.set _ZL33flash_attn_stream_k_fixup_uniformILi128ELi2ELi1EEvPfPK15HIP_vector_typeIfLj2EEiiiiiiS1_IjLj3EES5_S5_.has_indirect_call, 0
	.section	.AMDGPU.csdata,"",@progbits
; Kernel info:
; codeLenInByte = 1080
; TotalNumSgprs: 23
; NumVgprs: 12
; ScratchSize: 0
; MemoryBound: 0
; FloatMode: 240
; IeeeMode: 1
; LDSByteSize: 0 bytes/workgroup (compile time only)
; SGPRBlocks: 0
; VGPRBlocks: 0
; NumSGPRsForWavesPerEU: 23
; NumVGPRsForWavesPerEU: 12
; NamedBarCnt: 0
; Occupancy: 16
; WaveLimiterHint : 0
; COMPUTE_PGM_RSRC2:SCRATCH_EN: 0
; COMPUTE_PGM_RSRC2:USER_SGPR: 2
; COMPUTE_PGM_RSRC2:TRAP_HANDLER: 0
; COMPUTE_PGM_RSRC2:TGID_X_EN: 1
; COMPUTE_PGM_RSRC2:TGID_Y_EN: 1
; COMPUTE_PGM_RSRC2:TGID_Z_EN: 1
; COMPUTE_PGM_RSRC2:TIDIG_COMP_CNT: 0
	.section	.text._ZL33flash_attn_stream_k_fixup_generalILi128ELi2ELi1EEvPfPK15HIP_vector_typeIfLj2EEiiiiS1_IjLj3EES5_S5_S5_,"axG",@progbits,_ZL33flash_attn_stream_k_fixup_generalILi128ELi2ELi1EEvPfPK15HIP_vector_typeIfLj2EEiiiiS1_IjLj3EES5_S5_S5_,comdat
	.globl	_ZL33flash_attn_stream_k_fixup_generalILi128ELi2ELi1EEvPfPK15HIP_vector_typeIfLj2EEiiiiS1_IjLj3EES5_S5_S5_ ; -- Begin function _ZL33flash_attn_stream_k_fixup_generalILi128ELi2ELi1EEvPfPK15HIP_vector_typeIfLj2EEiiiiS1_IjLj3EES5_S5_S5_
	.p2align	8
	.type	_ZL33flash_attn_stream_k_fixup_generalILi128ELi2ELi1EEvPfPK15HIP_vector_typeIfLj2EEiiiiS1_IjLj3EES5_S5_S5_,@function
_ZL33flash_attn_stream_k_fixup_generalILi128ELi2ELi1EEvPfPK15HIP_vector_typeIfLj2EEiiiiS1_IjLj3EES5_S5_S5_: ; @_ZL33flash_attn_stream_k_fixup_generalILi128ELi2ELi1EEvPfPK15HIP_vector_typeIfLj2EEiiiiS1_IjLj3EES5_S5_S5_
; %bb.0:
	s_clause 0x1
	s_load_b128 s[4:7], s[0:1], 0x10
	s_load_b32 s16, s[0:1], 0x50
	s_bfe_u32 s2, ttmp6, 0x4000c
	s_and_b32 s3, ttmp6, 15
	s_add_co_i32 s2, s2, 1
	s_getreg_b32 s15, hwreg(HW_REG_IB_STS2, 6, 4)
	s_mul_i32 s2, ttmp9, s2
	s_mov_b32 s17, 0
	s_add_co_i32 s3, s3, s2
	s_cmp_eq_u32 s15, 0
	s_cselect_b32 s2, ttmp9, s3
	s_delay_alu instid0(SALU_CYCLE_1) | instskip(SKIP_3) | instid1(SALU_CYCLE_1)
	s_ashr_i32 s3, s2, 31
	s_wait_kmcnt 0x0
	s_ashr_i32 s19, s7, 31
	s_mov_b32 s18, s7
	s_mul_u64 s[8:9], s[18:19], s[2:3]
	s_delay_alu instid0(SALU_CYCLE_1) | instskip(NEXT) | instid1(SALU_CYCLE_1)
	s_and_b64 s[10:11], s[8:9], 0xffffffff00000000
	s_cmp_lg_u64 s[10:11], 0
	s_cbranch_scc0 .LBB70_21
; %bb.1:
	s_add_nc_u64 s[10:11], s[16:17], 0
	s_mov_b32 s23, s17
	s_xor_b64 s[10:11], s[10:11], 0
	s_mov_b32 s27, s17
	s_cvt_f32_u32 s3, s10
	s_cvt_f32_u32 s7, s11
	s_sub_nc_u64 s[20:21], 0, s[10:11]
	s_delay_alu instid0(SALU_CYCLE_2) | instskip(NEXT) | instid1(SALU_CYCLE_3)
	s_fmamk_f32 s3, s7, 0x4f800000, s3
	v_s_rcp_f32 s3, s3
	s_delay_alu instid0(TRANS32_DEP_1) | instskip(NEXT) | instid1(SALU_CYCLE_3)
	s_mul_f32 s3, s3, 0x5f7ffffc
	s_mul_f32 s7, s3, 0x2f800000
	s_delay_alu instid0(SALU_CYCLE_3) | instskip(NEXT) | instid1(SALU_CYCLE_3)
	s_trunc_f32 s7, s7
	s_fmamk_f32 s3, s7, 0xcf800000, s3
	s_cvt_u32_f32 s13, s7
	s_delay_alu instid0(SALU_CYCLE_2) | instskip(NEXT) | instid1(SALU_CYCLE_3)
	s_cvt_u32_f32 s12, s3
	s_mul_u64 s[24:25], s[20:21], s[12:13]
	s_delay_alu instid0(SALU_CYCLE_1)
	s_mul_hi_u32 s29, s12, s25
	s_mul_i32 s28, s12, s25
	s_mul_hi_u32 s22, s12, s24
	s_mul_i32 s7, s13, s24
	s_add_nc_u64 s[22:23], s[22:23], s[28:29]
	s_mul_hi_u32 s3, s13, s24
	s_mul_hi_u32 s14, s13, s25
	s_add_co_u32 s7, s22, s7
	s_add_co_ci_u32 s26, s23, s3
	s_mul_i32 s24, s13, s25
	s_add_co_ci_u32 s25, s14, 0
	s_delay_alu instid0(SALU_CYCLE_1) | instskip(SKIP_3) | instid1(SALU_CYCLE_1)
	s_add_nc_u64 s[22:23], s[26:27], s[24:25]
	s_mov_b32 s25, s17
	s_add_co_u32 s12, s12, s22
	s_cselect_b32 s3, -1, 0
	s_cmp_lg_u32 s3, 0
	s_add_co_ci_u32 s13, s13, s23
	s_mov_b32 s23, s17
	s_mul_u64 s[20:21], s[20:21], s[12:13]
	s_delay_alu instid0(SALU_CYCLE_1)
	s_mul_hi_u32 s27, s12, s21
	s_mul_i32 s26, s12, s21
	s_mul_hi_u32 s22, s12, s20
	s_mul_i32 s7, s13, s20
	s_add_nc_u64 s[22:23], s[22:23], s[26:27]
	s_mul_hi_u32 s3, s13, s20
	s_mul_hi_u32 s14, s13, s21
	s_add_co_u32 s7, s22, s7
	s_add_co_ci_u32 s24, s23, s3
	s_mul_i32 s20, s13, s21
	s_add_co_ci_u32 s21, s14, 0
	s_mov_b32 s23, s17
	s_add_nc_u64 s[20:21], s[24:25], s[20:21]
	s_delay_alu instid0(SALU_CYCLE_1) | instskip(SKIP_1) | instid1(SALU_CYCLE_1)
	s_add_co_u32 s3, s12, s20
	s_cselect_b32 s7, -1, 0
	s_cmp_lg_u32 s7, 0
	s_add_co_ci_u32 s7, s13, s21
	s_ashr_i32 s12, s9, 31
	s_delay_alu instid0(SALU_CYCLE_1) | instskip(NEXT) | instid1(SALU_CYCLE_1)
	s_mov_b32 s13, s12
	s_add_nc_u64 s[20:21], s[8:9], s[12:13]
	s_delay_alu instid0(SALU_CYCLE_1) | instskip(NEXT) | instid1(SALU_CYCLE_1)
	s_xor_b64 s[20:21], s[20:21], s[12:13]
	s_mul_hi_u32 s27, s20, s7
	s_mul_i32 s26, s20, s7
	s_mul_hi_u32 s22, s20, s3
	s_mul_hi_u32 s14, s21, s3
	s_mul_i32 s3, s21, s3
	s_add_nc_u64 s[22:23], s[22:23], s[26:27]
	s_mul_hi_u32 s9, s21, s7
	s_add_co_u32 s3, s22, s3
	s_add_co_ci_u32 s24, s23, s14
	s_mul_i32 s26, s21, s7
	s_add_co_ci_u32 s27, s9, 0
	s_delay_alu instid0(SALU_CYCLE_1) | instskip(NEXT) | instid1(SALU_CYCLE_1)
	s_add_nc_u64 s[22:23], s[24:25], s[26:27]
	s_and_b64 s[24:25], s[22:23], 0xffffffff00000000
	s_delay_alu instid0(SALU_CYCLE_1) | instskip(NEXT) | instid1(SALU_CYCLE_1)
	s_or_b32 s24, s24, s22
	s_mul_u64 s[22:23], s[10:11], s[24:25]
	s_add_nc_u64 s[26:27], s[24:25], 1
	s_sub_co_u32 s3, s20, s22
	s_cselect_b32 s7, -1, 0
	s_sub_co_i32 s9, s21, s23
	s_cmp_lg_u32 s7, 0
	s_add_nc_u64 s[28:29], s[24:25], 2
	s_sub_co_ci_u32 s9, s9, s11
	s_sub_co_u32 s14, s3, s10
	s_cselect_b32 s20, -1, 0
	s_delay_alu instid0(SALU_CYCLE_1) | instskip(SKIP_1) | instid1(SALU_CYCLE_1)
	s_cmp_lg_u32 s20, 0
	s_sub_co_ci_u32 s9, s9, 0
	s_cmp_ge_u32 s9, s11
	s_cselect_b32 s20, -1, 0
	s_cmp_ge_u32 s14, s10
	s_cselect_b32 s14, -1, 0
	s_cmp_eq_u32 s9, s11
	s_cselect_b32 s9, s14, s20
	s_delay_alu instid0(SALU_CYCLE_1) | instskip(SKIP_4) | instid1(SALU_CYCLE_1)
	s_cmp_lg_u32 s9, 0
	s_cselect_b32 s9, s28, s26
	s_cselect_b32 s14, s29, s27
	s_cmp_lg_u32 s7, 0
	s_sub_co_ci_u32 s7, s21, s23
	s_cmp_ge_u32 s7, s11
	s_cselect_b32 s20, -1, 0
	s_cmp_ge_u32 s3, s10
	s_cselect_b32 s3, -1, 0
	s_cmp_eq_u32 s7, s11
	s_cselect_b32 s3, s3, s20
	s_delay_alu instid0(SALU_CYCLE_1) | instskip(SKIP_4) | instid1(SALU_CYCLE_1)
	s_cmp_lg_u32 s3, 0
	s_mov_b32 s3, s17
	s_cselect_b32 s11, s14, s25
	s_cselect_b32 s10, s9, s24
	s_xor_b64 s[12:13], s[12:13], 0
	s_xor_b64 s[10:11], s[10:11], s[12:13]
	s_delay_alu instid0(SALU_CYCLE_1)
	s_sub_nc_u64 s[20:21], s[10:11], s[12:13]
	s_and_not1_b32 vcc_lo, exec_lo, s3
	s_cbranch_vccnz .LBB70_3
.LBB70_2:
	v_cvt_f32_u32_e32 v1, s16
	s_sub_co_i32 s7, 0, s16
	s_mov_b32 s21, 0
	s_delay_alu instid0(VALU_DEP_1) | instskip(SKIP_1) | instid1(TRANS32_DEP_1)
	v_rcp_iflag_f32_e32 v1, v1
	v_nop
	v_mul_f32_e32 v1, 0x4f7ffffe, v1
	s_delay_alu instid0(VALU_DEP_1) | instskip(NEXT) | instid1(VALU_DEP_1)
	v_cvt_u32_f32_e32 v1, v1
	v_readfirstlane_b32 s3, v1
	s_mul_i32 s7, s7, s3
	s_delay_alu instid0(SALU_CYCLE_1) | instskip(NEXT) | instid1(SALU_CYCLE_1)
	s_mul_hi_u32 s7, s3, s7
	s_add_co_i32 s3, s3, s7
	s_delay_alu instid0(SALU_CYCLE_1) | instskip(NEXT) | instid1(SALU_CYCLE_1)
	s_mul_hi_u32 s3, s8, s3
	s_mul_i32 s7, s3, s16
	s_delay_alu instid0(SALU_CYCLE_1)
	s_sub_co_i32 s7, s8, s7
	s_add_co_i32 s8, s3, 1
	s_sub_co_i32 s9, s7, s16
	s_cmp_ge_u32 s7, s16
	s_cselect_b32 s3, s8, s3
	s_cselect_b32 s7, s9, s7
	s_add_co_i32 s8, s3, 1
	s_cmp_ge_u32 s7, s16
	s_cselect_b32 s20, s8, s3
.LBB70_3:
	s_add_co_i32 s8, s2, 1
	s_delay_alu instid0(SALU_CYCLE_1) | instskip(NEXT) | instid1(SALU_CYCLE_1)
	s_ashr_i32 s9, s8, 31
	s_mul_u64 s[8:9], s[18:19], s[8:9]
	s_delay_alu instid0(SALU_CYCLE_1) | instskip(NEXT) | instid1(SALU_CYCLE_1)
	s_and_b64 s[10:11], s[8:9], 0xffffffff00000000
	s_cmp_lg_u64 s[10:11], 0
	s_cbranch_scc0 .LBB70_22
; %bb.4:
	s_add_nc_u64 s[10:11], s[16:17], 0
	s_delay_alu instid0(SALU_CYCLE_1) | instskip(SKIP_4) | instid1(SALU_CYCLE_2)
	s_xor_b64 s[12:13], s[10:11], 0
	s_mov_b32 s11, 0
	s_cvt_f32_u32 s3, s12
	s_cvt_f32_u32 s7, s13
	s_sub_nc_u64 s[24:25], 0, s[12:13]
	s_fmamk_f32 s3, s7, 0x4f800000, s3
	s_delay_alu instid0(SALU_CYCLE_3) | instskip(NEXT) | instid1(TRANS32_DEP_1)
	v_s_rcp_f32 s3, s3
	s_mul_f32 s3, s3, 0x5f7ffffc
	s_delay_alu instid0(SALU_CYCLE_3) | instskip(NEXT) | instid1(SALU_CYCLE_3)
	s_mul_f32 s7, s3, 0x2f800000
	s_trunc_f32 s7, s7
	s_delay_alu instid0(SALU_CYCLE_3) | instskip(SKIP_1) | instid1(SALU_CYCLE_2)
	s_fmamk_f32 s3, s7, 0xcf800000, s3
	s_cvt_u32_f32 s23, s7
	s_cvt_u32_f32 s22, s3
	s_delay_alu instid0(SALU_CYCLE_3) | instskip(NEXT) | instid1(SALU_CYCLE_1)
	s_mul_u64 s[26:27], s[24:25], s[22:23]
	s_mul_hi_u32 s29, s22, s27
	s_mul_i32 s28, s22, s27
	s_mul_hi_u32 s10, s22, s26
	s_mul_i32 s7, s23, s26
	s_add_nc_u64 s[28:29], s[10:11], s[28:29]
	s_mul_hi_u32 s3, s23, s26
	s_mul_hi_u32 s14, s23, s27
	s_add_co_u32 s7, s28, s7
	s_add_co_ci_u32 s10, s29, s3
	s_mul_i32 s26, s23, s27
	s_add_co_ci_u32 s27, s14, 0
	s_delay_alu instid0(SALU_CYCLE_1) | instskip(NEXT) | instid1(SALU_CYCLE_1)
	s_add_nc_u64 s[26:27], s[10:11], s[26:27]
	s_add_co_u32 s22, s22, s26
	s_cselect_b32 s3, -1, 0
	s_delay_alu instid0(SALU_CYCLE_1) | instskip(SKIP_1) | instid1(SALU_CYCLE_1)
	s_cmp_lg_u32 s3, 0
	s_add_co_ci_u32 s23, s23, s27
	s_mul_u64 s[24:25], s[24:25], s[22:23]
	s_delay_alu instid0(SALU_CYCLE_1)
	s_mul_hi_u32 s27, s22, s25
	s_mul_i32 s26, s22, s25
	s_mul_hi_u32 s10, s22, s24
	s_mul_i32 s7, s23, s24
	s_add_nc_u64 s[26:27], s[10:11], s[26:27]
	s_mul_hi_u32 s3, s23, s24
	s_mul_hi_u32 s14, s23, s25
	s_add_co_u32 s7, s26, s7
	s_add_co_ci_u32 s10, s27, s3
	s_mul_i32 s24, s23, s25
	s_add_co_ci_u32 s25, s14, 0
	s_delay_alu instid0(SALU_CYCLE_1) | instskip(NEXT) | instid1(SALU_CYCLE_1)
	s_add_nc_u64 s[24:25], s[10:11], s[24:25]
	s_add_co_u32 s3, s22, s24
	s_cselect_b32 s7, -1, 0
	s_delay_alu instid0(SALU_CYCLE_1) | instskip(SKIP_2) | instid1(SALU_CYCLE_1)
	s_cmp_lg_u32 s7, 0
	s_add_co_ci_u32 s7, s23, s25
	s_ashr_i32 s22, s9, 31
	s_mov_b32 s23, s22
	s_delay_alu instid0(SALU_CYCLE_1) | instskip(NEXT) | instid1(SALU_CYCLE_1)
	s_add_nc_u64 s[24:25], s[8:9], s[22:23]
	s_xor_b64 s[24:25], s[24:25], s[22:23]
	s_delay_alu instid0(SALU_CYCLE_1)
	s_mul_hi_u32 s27, s24, s7
	s_mul_i32 s26, s24, s7
	s_mul_hi_u32 s10, s24, s3
	s_mul_hi_u32 s14, s25, s3
	s_mul_i32 s3, s25, s3
	s_add_nc_u64 s[26:27], s[10:11], s[26:27]
	s_mul_hi_u32 s9, s25, s7
	s_add_co_u32 s3, s26, s3
	s_add_co_ci_u32 s10, s27, s14
	s_mul_i32 s28, s25, s7
	s_add_co_ci_u32 s29, s9, 0
	s_delay_alu instid0(SALU_CYCLE_1) | instskip(NEXT) | instid1(SALU_CYCLE_1)
	s_add_nc_u64 s[26:27], s[10:11], s[28:29]
	s_and_b64 s[28:29], s[26:27], 0xffffffff00000000
	s_delay_alu instid0(SALU_CYCLE_1) | instskip(NEXT) | instid1(SALU_CYCLE_1)
	s_or_b32 s28, s28, s26
	s_mul_u64 s[26:27], s[12:13], s[28:29]
	s_add_nc_u64 s[30:31], s[28:29], 1
	s_sub_co_u32 s3, s24, s26
	s_cselect_b32 s7, -1, 0
	s_sub_co_i32 s9, s25, s27
	s_cmp_lg_u32 s7, 0
	s_add_nc_u64 s[34:35], s[28:29], 2
	s_sub_co_ci_u32 s9, s9, s13
	s_sub_co_u32 s10, s3, s12
	s_cselect_b32 s14, -1, 0
	s_delay_alu instid0(SALU_CYCLE_1) | instskip(SKIP_1) | instid1(SALU_CYCLE_1)
	s_cmp_lg_u32 s14, 0
	s_sub_co_ci_u32 s9, s9, 0
	s_cmp_ge_u32 s9, s13
	s_cselect_b32 s14, -1, 0
	s_cmp_ge_u32 s10, s12
	s_cselect_b32 s10, -1, 0
	s_cmp_eq_u32 s9, s13
	s_cselect_b32 s9, s10, s14
	s_delay_alu instid0(SALU_CYCLE_1) | instskip(SKIP_4) | instid1(SALU_CYCLE_1)
	s_cmp_lg_u32 s9, 0
	s_cselect_b32 s9, s34, s30
	s_cselect_b32 s10, s35, s31
	s_cmp_lg_u32 s7, 0
	s_sub_co_ci_u32 s7, s25, s27
	s_cmp_ge_u32 s7, s13
	s_cselect_b32 s14, -1, 0
	s_cmp_ge_u32 s3, s12
	s_cselect_b32 s3, -1, 0
	s_cmp_eq_u32 s7, s13
	s_cselect_b32 s3, s3, s14
	s_delay_alu instid0(SALU_CYCLE_1) | instskip(SKIP_3) | instid1(SALU_CYCLE_1)
	s_cmp_lg_u32 s3, 0
	s_cselect_b32 s13, s10, s29
	s_cselect_b32 s12, s9, s28
	s_xor_b64 s[22:23], s[22:23], 0
	s_xor_b64 s[12:13], s[12:13], s[22:23]
	s_delay_alu instid0(SALU_CYCLE_1)
	s_sub_nc_u64 s[24:25], s[12:13], s[22:23]
	s_load_b96 s[12:14], s[0:1], 0x44
	s_cbranch_execnz .LBB70_6
.LBB70_5:
	v_cvt_f32_u32_e32 v1, s16
	s_sub_co_i32 s7, 0, s16
	s_delay_alu instid0(VALU_DEP_1) | instskip(SKIP_1) | instid1(TRANS32_DEP_1)
	v_rcp_iflag_f32_e32 v1, v1
	v_nop
	v_mul_f32_e32 v1, 0x4f7ffffe, v1
	s_delay_alu instid0(VALU_DEP_1) | instskip(NEXT) | instid1(VALU_DEP_1)
	v_cvt_u32_f32_e32 v1, v1
	v_readfirstlane_b32 s3, v1
	s_mul_i32 s7, s7, s3
	s_delay_alu instid0(SALU_CYCLE_1) | instskip(NEXT) | instid1(SALU_CYCLE_1)
	s_mul_hi_u32 s7, s3, s7
	s_add_co_i32 s3, s3, s7
	s_delay_alu instid0(SALU_CYCLE_1) | instskip(NEXT) | instid1(SALU_CYCLE_1)
	s_mul_hi_u32 s3, s8, s3
	s_mul_i32 s7, s3, s16
	s_delay_alu instid0(SALU_CYCLE_1)
	s_sub_co_i32 s7, s8, s7
	s_add_co_i32 s8, s3, 1
	s_sub_co_i32 s9, s7, s16
	s_cmp_ge_u32 s7, s16
	s_cselect_b32 s3, s8, s3
	s_cselect_b32 s7, s9, s7
	s_add_co_i32 s8, s3, 1
	s_cmp_ge_u32 s7, s16
	s_cselect_b32 s24, s8, s3
.LBB70_6:
	s_delay_alu instid0(SALU_CYCLE_1)
	s_cmp_eq_u32 s20, s24
	s_mov_b64 s[8:9], 0xffffffff
	s_cselect_b32 s3, -1, 0
	s_and_b64 s[8:9], s[20:21], s[8:9]
	s_mov_b32 s23, 0
	s_wait_kmcnt 0x0
	s_mov_b32 s22, s12
	s_mov_b32 s25, s23
	s_mul_u64 s[10:11], s[8:9], s[22:23]
	s_delay_alu instid0(SALU_CYCLE_1) | instskip(SKIP_2) | instid1(SALU_CYCLE_1)
	s_add_co_i32 s7, s11, s20
	s_mul_u64 s[10:11], s[24:25], s[22:23]
	s_lshr_b32 s12, s7, s13
	s_mul_i32 s7, s12, s14
	s_delay_alu instid0(SALU_CYCLE_1) | instskip(SKIP_2) | instid1(SALU_CYCLE_1)
	s_cmp_eq_u32 s7, s20
	s_cselect_b32 s7, -1, 0
	s_add_co_i32 s10, s11, s24
	s_lshr_b32 s10, s10, s13
	s_delay_alu instid0(SALU_CYCLE_1)
	s_cmp_eq_u32 s12, s10
	s_mul_i32 s10, s10, s14
	s_cselect_b32 s11, -1, 0
	s_cmp_lg_u32 s10, s24
	s_cselect_b32 s10, -1, 0
	s_or_b32 s3, s3, s7
	s_and_b32 s10, s11, s10
	s_delay_alu instid0(SALU_CYCLE_1) | instskip(NEXT) | instid1(SALU_CYCLE_1)
	s_or_b32 s3, s3, s10
	s_and_b32 vcc_lo, exec_lo, s3
	s_cbranch_vccnz .LBB70_24
; %bb.7:
	s_load_b256 s[24:31], s[0:1], 0x20
	s_bfe_u32 s7, ttmp6, 0x40014
	s_bfe_u32 s33, ttmp6, 0x40010
	s_lshr_b32 s3, ttmp7, 16
	s_add_co_i32 s7, s7, 1
	s_and_b32 s21, ttmp7, 0xffff
	s_add_co_i32 s33, s33, 1
	s_bfe_u32 s10, ttmp6, 0x40008
	s_mul_i32 s7, s3, s7
	s_bfe_u32 s34, ttmp6, 0x40004
	s_mul_i32 s33, s21, s33
	s_mov_b32 s11, s23
	s_add_co_i32 s7, s10, s7
	s_add_co_i32 s34, s34, s33
	s_cmp_eq_u32 s15, 0
	s_cselect_b32 s15, s21, s34
	s_cselect_b32 s3, s3, s7
	s_wait_kmcnt 0x0
	s_mov_b32 s10, s24
	s_delay_alu instid0(SALU_CYCLE_1) | instskip(SKIP_2) | instid1(SALU_CYCLE_1)
	s_mul_u64 s[8:9], s[8:9], s[10:11]
	s_load_b32 s8, s[0:1], 0x40
	s_add_co_i32 s7, s9, s20
	s_lshr_b32 s7, s7, s25
	s_delay_alu instid0(SALU_CYCLE_1) | instskip(NEXT) | instid1(SALU_CYCLE_1)
	s_mul_i32 s9, s7, s26
	s_sub_co_i32 s9, s20, s9
	s_delay_alu instid0(SALU_CYCLE_1) | instskip(NEXT) | instid1(SALU_CYCLE_1)
	s_mul_hi_u32 s10, s9, s27
	s_add_co_i32 s10, s9, s10
	s_delay_alu instid0(SALU_CYCLE_1) | instskip(NEXT) | instid1(SALU_CYCLE_1)
	s_lshr_b32 s21, s10, s28
	s_mul_i32 s10, s21, s29
	s_delay_alu instid0(SALU_CYCLE_1) | instskip(NEXT) | instid1(SALU_CYCLE_1)
	s_sub_co_i32 s10, s9, s10
	s_mul_hi_u32 s9, s10, s30
	s_delay_alu instid0(SALU_CYCLE_1) | instskip(NEXT) | instid1(SALU_CYCLE_1)
	s_add_co_i32 s9, s10, s9
	s_lshr_b32 s24, s9, s31
	s_mov_b32 s9, s23
	s_wait_kmcnt 0x0
	s_mul_i32 s8, s24, s8
	s_delay_alu instid0(SALU_CYCLE_1) | instskip(NEXT) | instid1(SALU_CYCLE_1)
	s_sub_co_i32 s8, s10, s8
	s_mul_u64 s[10:11], s[8:9], s[22:23]
	s_delay_alu instid0(SALU_CYCLE_1) | instskip(NEXT) | instid1(SALU_CYCLE_1)
	s_add_co_i32 s8, s8, s11
	s_lshr_b32 s25, s8, s13
	s_delay_alu instid0(SALU_CYCLE_1) | instskip(NEXT) | instid1(SALU_CYCLE_1)
	s_lshl_b32 s8, s25, 1
	s_add_co_i32 s8, s8, s15
	s_delay_alu instid0(SALU_CYCLE_1) | instskip(SKIP_2) | instid1(SALU_CYCLE_1)
	s_cmp_lt_i32 s8, s4
	s_cselect_b32 s8, -1, 0
	s_add_co_i32 s9, s24, s3
	s_cmp_lt_i32 s9, s6
	s_cselect_b32 s9, -1, 0
	s_delay_alu instid0(SALU_CYCLE_1) | instskip(NEXT) | instid1(SALU_CYCLE_1)
	s_and_b32 s8, s8, s9
	s_and_not1_b32 vcc_lo, exec_lo, s8
	s_cbranch_vccnz .LBB70_24
; %bb.8:
	s_mul_i32 s4, s7, s4
	s_load_b128 s[8:11], s[0:1], 0x0
	s_wait_xcnt 0x0
	s_add_co_i32 s0, s4, s15
	s_mul_i32 s21, s21, s6
	s_mul_i32 s0, s0, s5
	;; [unrolled: 1-line block ×3, first 2 shown]
	s_add_co_i32 s0, s0, s3
	s_lshl_b32 s1, s1, 8
	s_add_co_i32 s0, s0, s21
	s_add_co_i32 s15, s15, s3
	;; [unrolled: 1-line block ×3, first 2 shown]
	v_lshl_or_b32 v6, s15, 7, v0
	s_lshl_b32 s0, s0, 7
	v_cvt_f32_u32_e32 v4, s16
	s_add_co_i32 s1, s1, s0
	s_lshl_b32 s24, s16, 3
	v_or_b32_e32 v2, s1, v0
	s_add_nc_u64 s[0:1], s[16:17], 0
	v_rcp_iflag_f32_e32 v4, v4
	s_xor_b64 s[6:7], s[0:1], 0
	s_lshl_b32 s0, s2, 1
	s_cvt_f32_u32 s3, s6
	s_add_co_i32 s0, s0, s15
	s_cvt_f32_u32 s4, s7
	s_ashr_i32 s1, s0, 31
	s_mov_b32 s25, 0
	s_lshl_b64 s[0:1], s[0:1], 3
	s_fmamk_f32 s3, s4, 0x4f800000, s3
	s_wait_kmcnt 0x0
	s_add_nc_u64 s[0:1], s[10:11], s[0:1]
	s_add_co_i32 s36, s2, -1
	s_load_b64 s[28:29], s[0:1], 0x0
	v_s_rcp_f32 s3, s3
	s_wait_xcnt 0x0
	s_lshl_b64 s[0:1], s[24:25], 2
	s_sub_nc_u64 s[34:35], 0, s[6:7]
	s_add_nc_u64 s[26:27], s[10:11], s[0:1]
	v_mul_f32_e32 v4, 0x4f7ffffe, v4
	s_delay_alu instid0(TRANS32_DEP_1) | instskip(NEXT) | instid1(VALU_DEP_1)
	s_mul_f32 s3, s3, 0x5f7ffffc
	v_cvt_u32_f32_e32 v7, v4
	s_delay_alu instid0(SALU_CYCLE_2) | instskip(NEXT) | instid1(SALU_CYCLE_3)
	s_mul_f32 s4, s3, 0x2f800000
	s_trunc_f32 s4, s4
	s_wait_kmcnt 0x0
	v_mov_b32_e32 v0, s29
	global_load_b32 v1, v2, s[8:9] scale_offset
	v_ashrrev_i32_e32 v3, 31, v2
	s_fmamk_f32 s0, s4, 0xcf800000, s3
	s_cvt_u32_f32 s31, s4
	s_wait_xcnt 0x0
	s_delay_alu instid0(VALU_DEP_1)
	v_lshl_add_u64 v[2:3], v[2:3], 2, s[8:9]
	s_cvt_u32_f32 s30, s0
	s_mov_b64 s[8:9], 0xffffffff
.LBB70_9:                               ; =>This Inner Loop Header: Depth=1
	s_ashr_i32 s37, s36, 31
                                        ; implicit-def: $sgpr40_sgpr41
	s_delay_alu instid0(SALU_CYCLE_1) | instskip(NEXT) | instid1(SALU_CYCLE_1)
	s_mul_u64 s[0:1], s[36:37], s[18:19]
	s_and_b64 s[2:3], s[0:1], 0xffffffff00000000
	s_delay_alu instid0(SALU_CYCLE_1)
	s_cmp_lg_u64 s[2:3], 0
	s_mov_b32 s2, -1
	s_cbranch_scc0 .LBB70_11
; %bb.10:                               ;   in Loop: Header=BB70_9 Depth=1
	s_mul_u64 s[2:3], s[34:35], s[30:31]
	s_delay_alu instid0(SALU_CYCLE_1)
	s_mul_hi_u32 s5, s30, s3
	s_mul_i32 s4, s30, s3
	s_mul_hi_u32 s24, s30, s2
	s_mul_hi_u32 s17, s31, s2
	s_add_nc_u64 s[4:5], s[24:25], s[4:5]
	s_mul_i32 s2, s31, s2
	s_mul_hi_u32 s21, s31, s3
	s_add_co_u32 s2, s4, s2
	s_add_co_ci_u32 s24, s5, s17
	s_add_co_ci_u32 s5, s21, 0
	s_mul_i32 s4, s31, s3
	s_delay_alu instid0(SALU_CYCLE_1) | instskip(NEXT) | instid1(SALU_CYCLE_1)
	s_add_nc_u64 s[2:3], s[24:25], s[4:5]
	s_add_co_u32 s2, s30, s2
	s_cselect_b32 s4, -1, 0
	s_delay_alu instid0(SALU_CYCLE_1) | instskip(SKIP_1) | instid1(SALU_CYCLE_1)
	s_cmp_lg_u32 s4, 0
	s_add_co_ci_u32 s3, s31, s3
	s_mul_u64 s[4:5], s[34:35], s[2:3]
	s_delay_alu instid0(SALU_CYCLE_1)
	s_mul_hi_u32 s39, s2, s5
	s_mul_i32 s38, s2, s5
	s_mul_hi_u32 s24, s2, s4
	s_mul_hi_u32 s17, s3, s4
	s_mul_i32 s4, s3, s4
	s_add_nc_u64 s[38:39], s[24:25], s[38:39]
	s_mul_hi_u32 s21, s3, s5
	s_add_co_u32 s4, s38, s4
	s_add_co_ci_u32 s24, s39, s17
	s_mul_i32 s4, s3, s5
	s_add_co_ci_u32 s5, s21, 0
	s_delay_alu instid0(SALU_CYCLE_1) | instskip(NEXT) | instid1(SALU_CYCLE_1)
	s_add_nc_u64 s[4:5], s[24:25], s[4:5]
	s_add_co_u32 s17, s2, s4
	s_cselect_b32 s2, -1, 0
	s_delay_alu instid0(SALU_CYCLE_1) | instskip(SKIP_2) | instid1(SALU_CYCLE_1)
	s_cmp_lg_u32 s2, 0
	s_add_co_ci_u32 s21, s3, s5
	s_ashr_i32 s2, s1, 31
	s_mov_b32 s3, s2
	s_delay_alu instid0(SALU_CYCLE_1) | instskip(NEXT) | instid1(SALU_CYCLE_1)
	s_add_nc_u64 s[4:5], s[0:1], s[2:3]
	s_xor_b64 s[4:5], s[4:5], s[2:3]
	s_delay_alu instid0(SALU_CYCLE_1)
	s_mul_hi_u32 s39, s4, s21
	s_mul_i32 s38, s4, s21
	s_mul_hi_u32 s24, s4, s17
	s_mul_hi_u32 s29, s5, s17
	s_mul_i32 s17, s5, s17
	s_add_nc_u64 s[38:39], s[24:25], s[38:39]
	s_mul_hi_u32 s1, s5, s21
	s_add_co_u32 s17, s38, s17
	s_add_co_ci_u32 s24, s39, s29
	s_mul_i32 s40, s5, s21
	s_add_co_ci_u32 s41, s1, 0
	s_delay_alu instid0(SALU_CYCLE_1) | instskip(NEXT) | instid1(SALU_CYCLE_1)
	s_add_nc_u64 s[38:39], s[24:25], s[40:41]
	s_and_b64 s[40:41], s[38:39], 0xffffffff00000000
	s_delay_alu instid0(SALU_CYCLE_1) | instskip(NEXT) | instid1(SALU_CYCLE_1)
	s_or_b32 s40, s40, s38
	s_mul_u64 s[38:39], s[6:7], s[40:41]
	s_add_nc_u64 s[42:43], s[40:41], 1
	s_sub_co_u32 s1, s4, s38
	s_cselect_b32 s4, -1, 0
	s_sub_co_i32 s17, s5, s39
	s_cmp_lg_u32 s4, 0
	s_add_nc_u64 s[44:45], s[40:41], 2
	s_sub_co_ci_u32 s17, s17, s7
	s_sub_co_u32 s21, s1, s6
	s_cselect_b32 s24, -1, 0
	s_delay_alu instid0(SALU_CYCLE_1) | instskip(SKIP_1) | instid1(SALU_CYCLE_1)
	s_cmp_lg_u32 s24, 0
	s_sub_co_ci_u32 s17, s17, 0
	s_cmp_ge_u32 s17, s7
	s_cselect_b32 s24, -1, 0
	s_cmp_ge_u32 s21, s6
	s_cselect_b32 s21, -1, 0
	s_cmp_eq_u32 s17, s7
	s_cselect_b32 s17, s21, s24
	s_delay_alu instid0(SALU_CYCLE_1) | instskip(SKIP_4) | instid1(SALU_CYCLE_1)
	s_cmp_lg_u32 s17, 0
	s_cselect_b32 s17, s44, s42
	s_cselect_b32 s21, s45, s43
	s_cmp_lg_u32 s4, 0
	s_sub_co_ci_u32 s4, s5, s39
	s_cmp_ge_u32 s4, s7
	s_cselect_b32 s5, -1, 0
	s_cmp_ge_u32 s1, s6
	s_cselect_b32 s1, -1, 0
	s_cmp_eq_u32 s4, s7
	s_cselect_b32 s1, s1, s5
	s_delay_alu instid0(SALU_CYCLE_1) | instskip(SKIP_3) | instid1(SALU_CYCLE_1)
	s_cmp_lg_u32 s1, 0
	s_cselect_b32 s5, s21, s41
	s_cselect_b32 s4, s17, s40
	s_xor_b64 s[2:3], s[2:3], 0
	s_xor_b64 s[4:5], s[4:5], s[2:3]
	s_delay_alu instid0(SALU_CYCLE_1)
	s_sub_nc_u64 s[40:41], s[4:5], s[2:3]
	s_mov_b32 s2, 0
.LBB70_11:                              ;   in Loop: Header=BB70_9 Depth=1
	s_delay_alu instid0(SALU_CYCLE_1)
	s_and_not1_b32 vcc_lo, exec_lo, s2
	s_cbranch_vccnz .LBB70_13
; %bb.12:                               ;   in Loop: Header=BB70_9 Depth=1
	v_readfirstlane_b32 s1, v7
	s_sub_co_i32 s2, 0, s16
	s_delay_alu instid0(SALU_CYCLE_1) | instskip(NEXT) | instid1(SALU_CYCLE_1)
	s_mul_i32 s2, s2, s1
	s_mul_hi_u32 s2, s1, s2
	s_delay_alu instid0(SALU_CYCLE_1) | instskip(NEXT) | instid1(SALU_CYCLE_1)
	s_add_co_i32 s1, s1, s2
	s_mul_hi_u32 s1, s0, s1
	s_delay_alu instid0(SALU_CYCLE_1) | instskip(NEXT) | instid1(SALU_CYCLE_1)
	s_mul_i32 s2, s1, s16
	s_sub_co_i32 s0, s0, s2
	s_add_co_i32 s2, s1, 1
	s_sub_co_i32 s3, s0, s16
	s_cmp_ge_u32 s0, s16
	s_cselect_b32 s1, s2, s1
	s_cselect_b32 s0, s3, s0
	s_add_co_i32 s2, s1, 1
	s_cmp_ge_u32 s0, s16
	s_cselect_b32 s24, s2, s1
	s_delay_alu instid0(SALU_CYCLE_1)
	s_mov_b64 s[40:41], s[24:25]
.LBB70_13:                              ;   in Loop: Header=BB70_9 Depth=1
	s_delay_alu instid0(SALU_CYCLE_1)
	s_cmp_lg_u32 s20, s40
	s_mov_b32 s0, -1
                                        ; implicit-def: $vgpr4_vgpr5
                                        ; implicit-def: $sgpr24
                                        ; implicit-def: $sgpr17
                                        ; implicit-def: $sgpr21
                                        ; implicit-def: $sgpr29
	s_cbranch_scc0 .LBB70_18
; %bb.14:                               ;   in Loop: Header=BB70_9 Depth=1
	s_add_co_i32 s0, s36, s16
	v_max_num_f32_e64 v4, s28, s28
	s_lshl_b32 s0, s0, 1
	s_mov_b32 s29, s20
	s_add_co_i32 s0, s0, s15
	s_load_b64 s[38:39], s[10:11], s0 offset:0x0 scale_offset
	s_wait_xcnt 0x0
	v_readfirstlane_b32 s0, v4
	s_wait_kmcnt 0x0
	v_max_num_f32_e64 v5, s38, s38
	s_delay_alu instid0(VALU_DEP_1) | instskip(SKIP_1) | instid1(SALU_CYCLE_3)
	v_readfirstlane_b32 s1, v5
	s_max_num_f32 s17, s0, s1
	s_sub_f32 s33, s28, s17
	s_sub_f32 s37, s38, s17
	s_delay_alu instid0(SALU_CYCLE_2)
	s_cmp_nlt_f32 s33, 0xc2ce8ed0
	s_cselect_b32 s1, -1, 0
	s_cmp_ngt_f32 s33, 0x42b17218
	s_cselect_b32 s2, -1, 0
	s_cmp_ge_f32 s33, 0xc1a00000
	s_cselect_b32 s0, -1, 0
	s_cmp_nlt_f32 s37, 0xc2ce8ed0
	s_cselect_b32 s3, -1, 0
	s_cmp_ngt_f32 s37, 0x42b17218
	s_cselect_b32 s4, -1, 0
	s_cmp_ge_f32 s37, 0xc1a00000
	s_cselect_b32 s5, -1, 0
	s_and_b64 s[42:43], s[40:41], s[8:9]
	s_delay_alu instid0(SALU_CYCLE_1) | instskip(NEXT) | instid1(SALU_CYCLE_1)
	s_mul_u64 s[42:43], s[42:43], s[22:23]
	s_add_co_i32 s21, s43, s40
	s_delay_alu instid0(SALU_CYCLE_1) | instskip(NEXT) | instid1(SALU_CYCLE_1)
	s_lshr_b32 s21, s21, s13
	s_mul_i32 s24, s21, s14
	s_delay_alu instid0(SALU_CYCLE_1) | instskip(SKIP_3) | instid1(SALU_CYCLE_1)
	s_cmp_eq_u32 s24, s40
	s_cselect_b32 s24, -1, 0
	s_cmp_lt_u32 s21, s12
	s_cselect_b32 s21, -1, 0
	s_or_b32 s21, s21, s24
	s_mov_b32 s24, -1
	s_and_b32 vcc_lo, exec_lo, s21
	s_mov_b32 s21, s36
	s_cbranch_vccnz .LBB70_16
; %bb.15:                               ;   in Loop: Header=BB70_9 Depth=1
	s_add_co_i32 s21, s36, -1
	s_mov_b32 s24, 0
	s_mov_b32 s29, s40
.LBB70_16:                              ;   in Loop: Header=BB70_9 Depth=1
	v_lshl_add_u32 v4, s36, 8, v6
	s_mul_f32 s40, s33, 0x3fb8aa3b
	s_mul_f32 s38, s37, 0x3fb8aa3b
	s_delay_alu instid0(SALU_CYCLE_2)
	s_xor_b32 s42, s40, 0x80000000
	global_load_b32 v5, v4, s[26:27] scale_offset
	s_fmamk_f32 s42, s33, 0x3fb8aa3b, s42
	s_rndne_f32 s44, s40
	s_xor_b32 s41, s38, 0x80000000
	s_rndne_f32 s43, s38
	s_fmamk_f32 s33, s33, 0x32a5705f, s42
	s_sub_f32 s40, s40, s44
	s_fmamk_f32 s41, s37, 0x3fb8aa3b, s41
	s_sub_f32 s38, s38, s43
	s_delay_alu instid0(SALU_CYCLE_1) | instskip(NEXT) | instid1(SALU_CYCLE_1)
	s_add_f32 s33, s40, s33
	s_fmamk_f32 s37, s37, 0x32a5705f, s41
	s_cvt_i32_f32 s40, s44
	s_delay_alu instid0(SALU_CYCLE_1) | instskip(NEXT) | instid1(SALU_CYCLE_1)
	v_s_exp_f32 s33, s33
	s_add_f32 s37, s38, s37
	s_cvt_i32_f32 s38, s43
	s_delay_alu instid0(SALU_CYCLE_2) | instskip(NEXT) | instid1(TRANS32_DEP_2)
	v_s_exp_f32 s37, s37
	v_ldexp_f32 v8, s33, s40
	s_wait_xcnt 0x0
	s_delay_alu instid0(TRANS32_DEP_1) | instskip(NEXT) | instid1(VALU_DEP_2)
	v_ldexp_f32 v4, s37, s38
	v_cndmask_b32_e64 v8, 0, v8, s1
	s_delay_alu instid0(VALU_DEP_1) | instskip(NEXT) | instid1(VALU_DEP_1)
	v_cndmask_b32_e64 v9, 0x7f800000, v8, s2
	v_dual_cndmask_b32 v4, 0, v4, s3 :: v_dual_cndmask_b32 v10, 0, v9, s0
	s_delay_alu instid0(VALU_DEP_1) | instskip(NEXT) | instid1(VALU_DEP_1)
	v_cndmask_b32_e64 v4, 0x7f800000, v4, s4
	v_dual_cndmask_b32 v8, 0, v4, s5 :: v_dual_mov_b32 v4, s39
	s_wait_loadcnt 0x0
	s_delay_alu instid0(VALU_DEP_1) | instskip(NEXT) | instid1(VALU_DEP_1)
	v_pk_mul_f32 v[4:5], v[4:5], v[8:9] op_sel_hi:[1,0]
	v_pk_fma_f32 v[4:5], v[0:1], v[10:11], v[4:5] op_sel_hi:[1,0,1]
	s_cbranch_execz .LBB70_19
.LBB70_17:                              ;   in Loop: Header=BB70_9 Depth=1
	s_and_not1_b32 vcc_lo, exec_lo, s24
	s_cbranch_vccnz .LBB70_20
	s_branch .LBB70_23
.LBB70_18:                              ;   in Loop: Header=BB70_9 Depth=1
	s_and_not1_b32 vcc_lo, exec_lo, s0
	s_cbranch_vccnz .LBB70_17
.LBB70_19:                              ;   in Loop: Header=BB70_9 Depth=1
	s_wait_loadcnt 0x0
	v_mov_b64_e32 v[4:5], v[0:1]
	s_add_co_i32 s21, s36, -1
	s_mov_b32 s29, s20
	s_mov_b32 s17, s28
	s_cbranch_execz .LBB70_23
.LBB70_20:                              ;   in Loop: Header=BB70_9 Depth=1
	s_wait_loadcnt 0x0
	s_delay_alu instid0(VALU_DEP_1)
	v_mov_b64_e32 v[0:1], v[4:5]
	s_mov_b32 s20, s29
	s_mov_b32 s36, s21
	;; [unrolled: 1-line block ×3, first 2 shown]
	s_branch .LBB70_9
.LBB70_21:
                                        ; implicit-def: $sgpr20_sgpr21
	s_branch .LBB70_2
.LBB70_22:
                                        ; implicit-def: $sgpr24_sgpr25
	s_load_b96 s[12:14], s[0:1], 0x44
	s_branch .LBB70_5
.LBB70_23:
	s_delay_alu instid0(VALU_DEP_1) | instskip(SKIP_1) | instid1(VALU_DEP_1)
	v_div_scale_f32 v0, null, v4, v4, v5
	s_wait_loadcnt 0x0
	v_rcp_f32_e32 v1, v0
	v_nop
	s_delay_alu instid0(TRANS32_DEP_1) | instskip(NEXT) | instid1(VALU_DEP_1)
	v_fma_f32 v6, -v0, v1, 1.0
	v_fmac_f32_e32 v1, v6, v1
	v_div_scale_f32 v6, vcc_lo, v5, v4, v5
	s_delay_alu instid0(VALU_DEP_1) | instskip(NEXT) | instid1(VALU_DEP_1)
	v_mul_f32_e32 v7, v6, v1
	v_fma_f32 v8, -v0, v7, v6
	s_delay_alu instid0(VALU_DEP_1) | instskip(NEXT) | instid1(VALU_DEP_1)
	v_fmac_f32_e32 v7, v8, v1
	v_fma_f32 v0, -v0, v7, v6
	s_delay_alu instid0(VALU_DEP_1) | instskip(NEXT) | instid1(VALU_DEP_1)
	v_div_fmas_f32 v0, v0, v1, v7
	v_div_fixup_f32 v0, v0, v4, v5
	global_store_b32 v[2:3], v0, off
.LBB70_24:
	s_endpgm
	.section	.rodata,"a",@progbits
	.p2align	6, 0x0
	.amdhsa_kernel _ZL33flash_attn_stream_k_fixup_generalILi128ELi2ELi1EEvPfPK15HIP_vector_typeIfLj2EEiiiiS1_IjLj3EES5_S5_S5_
		.amdhsa_group_segment_fixed_size 0
		.amdhsa_private_segment_fixed_size 0
		.amdhsa_kernarg_size 336
		.amdhsa_user_sgpr_count 2
		.amdhsa_user_sgpr_dispatch_ptr 0
		.amdhsa_user_sgpr_queue_ptr 0
		.amdhsa_user_sgpr_kernarg_segment_ptr 1
		.amdhsa_user_sgpr_dispatch_id 0
		.amdhsa_user_sgpr_kernarg_preload_length 0
		.amdhsa_user_sgpr_kernarg_preload_offset 0
		.amdhsa_user_sgpr_private_segment_size 0
		.amdhsa_wavefront_size32 1
		.amdhsa_uses_dynamic_stack 0
		.amdhsa_enable_private_segment 0
		.amdhsa_system_sgpr_workgroup_id_x 1
		.amdhsa_system_sgpr_workgroup_id_y 1
		.amdhsa_system_sgpr_workgroup_id_z 1
		.amdhsa_system_sgpr_workgroup_info 0
		.amdhsa_system_vgpr_workitem_id 0
		.amdhsa_next_free_vgpr 12
		.amdhsa_next_free_sgpr 46
		.amdhsa_named_barrier_count 0
		.amdhsa_reserve_vcc 1
		.amdhsa_float_round_mode_32 0
		.amdhsa_float_round_mode_16_64 0
		.amdhsa_float_denorm_mode_32 3
		.amdhsa_float_denorm_mode_16_64 3
		.amdhsa_fp16_overflow 0
		.amdhsa_memory_ordered 1
		.amdhsa_forward_progress 1
		.amdhsa_inst_pref_size 27
		.amdhsa_round_robin_scheduling 0
		.amdhsa_exception_fp_ieee_invalid_op 0
		.amdhsa_exception_fp_denorm_src 0
		.amdhsa_exception_fp_ieee_div_zero 0
		.amdhsa_exception_fp_ieee_overflow 0
		.amdhsa_exception_fp_ieee_underflow 0
		.amdhsa_exception_fp_ieee_inexact 0
		.amdhsa_exception_int_div_zero 0
	.end_amdhsa_kernel
	.section	.text._ZL33flash_attn_stream_k_fixup_generalILi128ELi2ELi1EEvPfPK15HIP_vector_typeIfLj2EEiiiiS1_IjLj3EES5_S5_S5_,"axG",@progbits,_ZL33flash_attn_stream_k_fixup_generalILi128ELi2ELi1EEvPfPK15HIP_vector_typeIfLj2EEiiiiS1_IjLj3EES5_S5_S5_,comdat
.Lfunc_end70:
	.size	_ZL33flash_attn_stream_k_fixup_generalILi128ELi2ELi1EEvPfPK15HIP_vector_typeIfLj2EEiiiiS1_IjLj3EES5_S5_S5_, .Lfunc_end70-_ZL33flash_attn_stream_k_fixup_generalILi128ELi2ELi1EEvPfPK15HIP_vector_typeIfLj2EEiiiiS1_IjLj3EES5_S5_S5_
                                        ; -- End function
	.set _ZL33flash_attn_stream_k_fixup_generalILi128ELi2ELi1EEvPfPK15HIP_vector_typeIfLj2EEiiiiS1_IjLj3EES5_S5_S5_.num_vgpr, 12
	.set _ZL33flash_attn_stream_k_fixup_generalILi128ELi2ELi1EEvPfPK15HIP_vector_typeIfLj2EEiiiiS1_IjLj3EES5_S5_S5_.num_agpr, 0
	.set _ZL33flash_attn_stream_k_fixup_generalILi128ELi2ELi1EEvPfPK15HIP_vector_typeIfLj2EEiiiiS1_IjLj3EES5_S5_S5_.numbered_sgpr, 46
	.set _ZL33flash_attn_stream_k_fixup_generalILi128ELi2ELi1EEvPfPK15HIP_vector_typeIfLj2EEiiiiS1_IjLj3EES5_S5_S5_.num_named_barrier, 0
	.set _ZL33flash_attn_stream_k_fixup_generalILi128ELi2ELi1EEvPfPK15HIP_vector_typeIfLj2EEiiiiS1_IjLj3EES5_S5_S5_.private_seg_size, 0
	.set _ZL33flash_attn_stream_k_fixup_generalILi128ELi2ELi1EEvPfPK15HIP_vector_typeIfLj2EEiiiiS1_IjLj3EES5_S5_S5_.uses_vcc, 1
	.set _ZL33flash_attn_stream_k_fixup_generalILi128ELi2ELi1EEvPfPK15HIP_vector_typeIfLj2EEiiiiS1_IjLj3EES5_S5_S5_.uses_flat_scratch, 0
	.set _ZL33flash_attn_stream_k_fixup_generalILi128ELi2ELi1EEvPfPK15HIP_vector_typeIfLj2EEiiiiS1_IjLj3EES5_S5_S5_.has_dyn_sized_stack, 0
	.set _ZL33flash_attn_stream_k_fixup_generalILi128ELi2ELi1EEvPfPK15HIP_vector_typeIfLj2EEiiiiS1_IjLj3EES5_S5_S5_.has_recursion, 0
	.set _ZL33flash_attn_stream_k_fixup_generalILi128ELi2ELi1EEvPfPK15HIP_vector_typeIfLj2EEiiiiS1_IjLj3EES5_S5_S5_.has_indirect_call, 0
	.section	.AMDGPU.csdata,"",@progbits
; Kernel info:
; codeLenInByte = 3352
; TotalNumSgprs: 48
; NumVgprs: 12
; ScratchSize: 0
; MemoryBound: 0
; FloatMode: 240
; IeeeMode: 1
; LDSByteSize: 0 bytes/workgroup (compile time only)
; SGPRBlocks: 0
; VGPRBlocks: 0
; NumSGPRsForWavesPerEU: 48
; NumVGPRsForWavesPerEU: 12
; NamedBarCnt: 0
; Occupancy: 16
; WaveLimiterHint : 0
; COMPUTE_PGM_RSRC2:SCRATCH_EN: 0
; COMPUTE_PGM_RSRC2:USER_SGPR: 2
; COMPUTE_PGM_RSRC2:TRAP_HANDLER: 0
; COMPUTE_PGM_RSRC2:TGID_X_EN: 1
; COMPUTE_PGM_RSRC2:TGID_Y_EN: 1
; COMPUTE_PGM_RSRC2:TGID_Z_EN: 1
; COMPUTE_PGM_RSRC2:TIDIG_COMP_CNT: 0
	.section	.text._ZL15flash_attn_tileILi128ELi128ELi8ELi8ELb1EEvPKcS1_S1_S1_S1_PKiPfP15HIP_vector_typeIfLj2EEffffjfiS5_IjLj3EEiiiiiiiiiiiliiliiiiil,"axG",@progbits,_ZL15flash_attn_tileILi128ELi128ELi8ELi8ELb1EEvPKcS1_S1_S1_S1_PKiPfP15HIP_vector_typeIfLj2EEffffjfiS5_IjLj3EEiiiiiiiiiiiliiliiiiil,comdat
	.globl	_ZL15flash_attn_tileILi128ELi128ELi8ELi8ELb1EEvPKcS1_S1_S1_S1_PKiPfP15HIP_vector_typeIfLj2EEffffjfiS5_IjLj3EEiiiiiiiiiiiliiliiiiil ; -- Begin function _ZL15flash_attn_tileILi128ELi128ELi8ELi8ELb1EEvPKcS1_S1_S1_S1_PKiPfP15HIP_vector_typeIfLj2EEffffjfiS5_IjLj3EEiiiiiiiiiiiliiliiiiil
	.p2align	8
	.type	_ZL15flash_attn_tileILi128ELi128ELi8ELi8ELb1EEvPKcS1_S1_S1_S1_PKiPfP15HIP_vector_typeIfLj2EEffffjfiS5_IjLj3EEiiiiiiiiiiiliiliiiiil,@function
_ZL15flash_attn_tileILi128ELi128ELi8ELi8ELb1EEvPKcS1_S1_S1_S1_PKiPfP15HIP_vector_typeIfLj2EEffffjfiS5_IjLj3EEiiiiiiiiiiiliiliiiiil: ; @_ZL15flash_attn_tileILi128ELi128ELi8ELi8ELb1EEvPKcS1_S1_S1_S1_PKiPfP15HIP_vector_typeIfLj2EEffffjfiS5_IjLj3EEiiiiiiiiiiiliiliiiiil
; %bb.0:
	s_clause 0x1
	s_load_b128 s[20:23], s[0:1], 0x5c
	s_load_b64 s[30:31], s[0:1], 0x80
	s_bfe_u32 s5, ttmp6, 0x40014
	s_lshr_b32 s4, ttmp7, 16
	s_add_co_i32 s5, s5, 1
	s_bfe_u32 s6, ttmp6, 0x40008
	s_mul_i32 s5, s4, s5
	s_getreg_b32 s24, hwreg(HW_REG_IB_STS2, 6, 4)
	s_add_co_i32 s6, s6, s5
	s_load_b64 s[38:39], s[0:1], 0xb8
	s_mov_b32 s37, 0
	s_mov_b64 s[34:35], 0
	s_wait_kmcnt 0x0
	s_ashr_i32 s2, s23, 31
	s_delay_alu instid0(SALU_CYCLE_1) | instskip(NEXT) | instid1(SALU_CYCLE_1)
	s_lshr_b32 s2, s2, 29
	s_add_co_i32 s2, s23, s2
	s_delay_alu instid0(SALU_CYCLE_1) | instskip(NEXT) | instid1(SALU_CYCLE_1)
	s_ashr_i32 s2, s2, 3
	s_cvt_f32_u32 s3, s2
	s_sub_co_i32 s7, 0, s2
	s_delay_alu instid0(SALU_CYCLE_2) | instskip(SKIP_1) | instid1(TRANS32_DEP_1)
	v_rcp_iflag_f32_e32 v1, s3
	v_nop
	v_readfirstlane_b32 s3, v1
	s_mul_f32 s3, s3, 0x4f7ffffe
	s_delay_alu instid0(SALU_CYCLE_3) | instskip(NEXT) | instid1(SALU_CYCLE_3)
	s_cvt_u32_f32 s3, s3
	s_mul_i32 s7, s7, s3
	s_delay_alu instid0(SALU_CYCLE_1) | instskip(NEXT) | instid1(SALU_CYCLE_1)
	s_mul_hi_u32 s7, s3, s7
	s_add_co_i32 s3, s3, s7
	s_cmp_eq_u32 s24, 0
	s_cselect_b32 s4, s4, s6
	s_delay_alu instid0(SALU_CYCLE_1) | instskip(NEXT) | instid1(SALU_CYCLE_1)
	s_mul_hi_u32 s3, s4, s3
	s_mul_i32 s5, s3, s2
	s_add_co_i32 s6, s3, 1
	s_sub_co_i32 s5, s4, s5
	s_delay_alu instid0(SALU_CYCLE_1)
	s_sub_co_i32 s7, s5, s2
	s_cmp_ge_u32 s5, s2
	s_cselect_b32 s3, s6, s3
	s_cselect_b32 s5, s7, s5
	s_add_co_i32 s6, s3, 1
	s_cmp_ge_u32 s5, s2
	s_cselect_b32 s2, s6, s3
	s_abs_i32 s3, s31
	s_lshl_b32 s4, s4, 3
	s_cvt_f32_u32 s5, s3
	s_sub_co_i32 s6, 0, s3
	s_mul_i32 s7, s2, s23
	s_abs_i32 s8, s23
	v_rcp_iflag_f32_e32 v1, s5
	s_sub_co_i32 s28, s4, s7
	v_nop
	s_delay_alu instid0(TRANS32_DEP_1) | instskip(SKIP_1) | instid1(SALU_CYCLE_3)
	v_readfirstlane_b32 s5, v1
	s_mul_f32 s5, s5, 0x4f7ffffe
	s_cvt_u32_f32 s5, s5
	s_delay_alu instid0(SALU_CYCLE_3) | instskip(NEXT) | instid1(SALU_CYCLE_1)
	s_mul_i32 s6, s6, s5
	s_mul_hi_u32 s6, s5, s6
	s_delay_alu instid0(SALU_CYCLE_1) | instskip(NEXT) | instid1(SALU_CYCLE_1)
	s_add_co_i32 s5, s5, s6
	s_mul_hi_u32 s4, s8, s5
	s_xor_b32 s5, s23, s31
	s_mul_i32 s6, s4, s3
	s_ashr_i32 s25, s5, 31
	s_sub_co_i32 s5, s8, s6
	s_add_co_i32 s6, s4, 1
	s_sub_co_i32 s7, s5, s3
	s_cmp_ge_u32 s5, s3
	s_cselect_b32 s4, s6, s4
	s_cselect_b32 s5, s7, s5
	s_add_co_i32 s6, s4, 1
	s_cmp_ge_u32 s5, s3
	s_cselect_b32 s3, s6, s4
	s_load_b512 s[4:19], s[0:1], 0x0
	s_xor_b32 s3, s3, s25
	s_delay_alu instid0(SALU_CYCLE_1) | instskip(NEXT) | instid1(SALU_CYCLE_1)
	s_sub_co_i32 s3, s3, s25
	s_abs_i32 s29, s3
	s_delay_alu instid0(SALU_CYCLE_1) | instskip(NEXT) | instid1(SALU_CYCLE_3)
	s_cvt_f32_u32 s25, s29
	v_rcp_iflag_f32_e32 v1, s25
	v_nop
	s_delay_alu instid0(TRANS32_DEP_1)
	v_readfirstlane_b32 s25, v1
	s_wait_kmcnt 0x0
	s_cmp_eq_u64 s[10:11], 0
	s_cbranch_scc1 .LBB71_2
; %bb.1:
	s_abs_i32 s31, s38
	s_abs_i32 s33, s2
	s_cvt_f32_u32 s26, s31
	s_sub_co_i32 s27, 0, s31
	s_delay_alu instid0(SALU_CYCLE_2) | instskip(SKIP_1) | instid1(TRANS32_DEP_1)
	v_rcp_iflag_f32_e32 v1, s26
	v_nop
	v_readfirstlane_b32 s26, v1
	s_mul_f32 s26, s26, 0x4f7ffffe
	s_delay_alu instid0(SALU_CYCLE_3) | instskip(NEXT) | instid1(SALU_CYCLE_3)
	s_cvt_u32_f32 s26, s26
	s_mul_i32 s27, s27, s26
	s_delay_alu instid0(SALU_CYCLE_1) | instskip(NEXT) | instid1(SALU_CYCLE_1)
	s_mul_hi_u32 s27, s26, s27
	s_add_co_i32 s26, s26, s27
	s_delay_alu instid0(SALU_CYCLE_1) | instskip(SKIP_2) | instid1(SALU_CYCLE_1)
	s_mul_hi_u32 s34, s33, s26
	s_load_b64 s[26:27], s[0:1], 0xc8
	s_mul_i32 s34, s34, s31
	s_sub_co_i32 s33, s33, s34
	s_ashr_i32 s34, s2, 31
	s_sub_co_i32 s35, s33, s31
	s_cmp_ge_u32 s33, s31
	s_cselect_b32 s33, s35, s33
	s_delay_alu instid0(SALU_CYCLE_1) | instskip(SKIP_2) | instid1(SALU_CYCLE_1)
	s_sub_co_i32 s35, s33, s31
	s_cmp_ge_u32 s33, s31
	s_cselect_b32 s31, s35, s33
	s_xor_b32 s31, s31, s34
	s_delay_alu instid0(SALU_CYCLE_1) | instskip(NEXT) | instid1(SALU_CYCLE_1)
	s_sub_co_i32 s34, s31, s34
	s_ashr_i32 s35, s34, 31
	s_wait_kmcnt 0x0
	s_mul_u64 s[26:27], s[26:27], s[34:35]
	s_delay_alu instid0(SALU_CYCLE_1)
	s_add_nc_u64 s[34:35], s[10:11], s[26:27]
.LBB71_2:
	s_bfe_u32 s10, ttmp6, 0x4000c
	s_and_b32 s11, ttmp6, 15
	s_add_co_i32 s10, s10, 1
	v_bfe_u32 v4, v0, 10, 10
	s_mul_i32 s10, ttmp9, s10
	s_load_b96 s[40:42], s[0:1], 0x70
	s_add_co_i32 s11, s11, s10
	s_cmp_eq_u32 s24, 0
	v_and_b32_e32 v61, 0x3ff, v0
	s_cselect_b32 s26, ttmp9, s11
	v_mov_b32_e32 v3, 0
	v_lshl_add_u32 v62, s26, 3, v4
	s_delay_alu instid0(VALU_DEP_3) | instskip(NEXT) | instid1(VALU_DEP_2)
	v_dual_lshlrev_b32 v63, 11, v4 :: v_dual_lshlrev_b32 v0, 4, v61
	v_mul_hi_u32 v1, s20, v62
	s_wait_kmcnt 0x0
	s_mul_i32 s20, s28, s41
	s_ashr_i32 s11, s41, 31
	s_delay_alu instid0(VALU_DEP_1) | instskip(SKIP_2) | instid1(SALU_CYCLE_1)
	v_add_nc_u32_e32 v1, v62, v1
	s_mov_b32 s10, s41
	s_ashr_i32 s41, s40, 31
	s_lshr_b64 s[40:41], s[40:41], 2
	s_delay_alu instid0(VALU_DEP_1) | instskip(SKIP_1) | instid1(VALU_DEP_1)
	v_lshrrev_b32_e32 v1, s21, v1
	s_ashr_i32 s21, s20, 31
	v_mul_lo_u32 v1, v1, s22
	s_delay_alu instid0(VALU_DEP_1) | instskip(NEXT) | instid1(VALU_DEP_1)
	v_dual_mov_b32 v1, v3 :: v_dual_sub_nc_u32 v2, v62, v1
	v_mul_u64_e32 v[6:7], s[40:41], v[2:3]
	s_mul_i32 s40, s2, s42
	s_delay_alu instid0(SALU_CYCLE_1) | instskip(NEXT) | instid1(SALU_CYCLE_1)
	s_ashr_i32 s41, s40, 31
	s_add_nc_u64 s[4:5], s[4:5], s[40:41]
	s_and_b64 s[40:41], s[10:11], -4
	s_add_nc_u64 s[4:5], s[4:5], s[20:21]
	s_and_b64 s[20:21], s[10:11], 0x3ffffffffffffffc
	s_delay_alu instid0(VALU_DEP_1) | instskip(SKIP_1) | instid1(VALU_DEP_1)
	v_lshl_add_u64 v[6:7], v[6:7], 2, s[4:5]
	s_lshr_b64 s[4:5], s[10:11], 2
	v_add_nc_u64_e32 v[22:23], v[6:7], v[0:1]
	v_lshlrev_b32_e32 v1, 3, v61
	s_delay_alu instid0(VALU_DEP_2)
	v_add_nc_u64_e32 v[26:27], s[40:41], v[22:23]
	v_lshl_add_u64 v[10:11], s[4:5], 3, v[22:23]
	v_lshl_add_u64 v[24:25], s[20:21], 2, v[22:23]
	global_load_b128 v[6:9], v[22:23], off
	v_mad_nc_u64_u32 v[38:39], s4, 20, v[22:23]
	v_mad_nc_u64_u32 v[40:41], s4, 24, v[22:23]
	s_clause 0x2
	global_load_b128 v[10:13], v[10:11], off
	global_load_b128 v[14:17], v[24:25], off
	;; [unrolled: 1-line block ×3, first 2 shown]
	s_wait_xcnt 0x1
	v_mad_nc_u64_u32 v[24:25], s4, 12, v[22:23]
	v_mad_nc_u64_u32 v[42:43], s4, 28, v[22:23]
	s_lshr_b32 s5, s11, 2
	s_load_b32 s4, s[0:1], 0x40
	s_cmp_eq_u64 s[14:15], 0
	v_mad_u32 v39, s5, 20, v39
	v_mad_u32 v41, s5, 24, v41
	s_delay_alu instid0(VALU_DEP_4) | instskip(NEXT) | instid1(VALU_DEP_4)
	v_mad_u32 v25, s5, 12, v25
	v_mad_u32 v43, s5, 28, v43
	s_clause 0x3
	global_load_b128 v[22:25], v[24:25], off
	global_load_b128 v[26:29], v[38:39], off
	;; [unrolled: 1-line block ×4, first 2 shown]
	s_wait_loadcnt 0x7
	s_wait_kmcnt 0x0
	v_fma_mixlo_f16 v3, s4, v7, 0
	v_fma_mixlo_f16 v5, s4, v6, 0
	;; [unrolled: 1-line block ×4, first 2 shown]
	s_wait_xcnt 0x2
	v_dual_add_nc_u32 v38, v63, v1 :: v_dual_lshlrev_b32 v3, 16, v3
	v_and_b32_e32 v5, 0xffff, v5
	s_wait_loadcnt 0x6
	v_fma_mixlo_f16 v8, s4, v10, 0
	v_fma_mixlo_f16 v9, s4, v11, 0
	v_fma_mixlo_f16 v10, s4, v12, 0
	v_fma_mixlo_f16 v11, s4, v13, 0
	s_wait_loadcnt 0x5
	v_fma_mixlo_f16 v12, s4, v14, 0
	v_fma_mixlo_f16 v13, s4, v15, 0
	v_fma_mixlo_f16 v14, s4, v16, 0
	v_fma_mixlo_f16 v15, s4, v17, 0
	;; [unrolled: 5-line block ×3, first 2 shown]
	v_dual_lshlrev_b32 v6, 16, v6 :: v_dual_bitop2_b32 v3, v3, v5 bitop3:0x54
	v_and_b32_e32 v7, 0xffff, v7
	v_dual_lshlrev_b32 v5, 16, v9 :: v_dual_lshlrev_b32 v9, 16, v11
	v_and_b32_e32 v8, 0xffff, v8
	v_dual_lshlrev_b32 v11, 16, v13 :: v_dual_lshlrev_b32 v13, 16, v15
	v_and_b32_e32 v12, 0xffff, v12
	v_and_b32_e32 v14, 0xffff, v14
	v_dual_lshlrev_b32 v15, 16, v17 :: v_dual_lshlrev_b32 v17, 16, v19
	v_and_b32_e32 v16, 0xffff, v16
	v_and_b32_e32 v18, 0xffff, v18
	v_or3_b32 v7, v6, v7, 0
	v_and_b32_e32 v10, 0xffff, v10
	v_or3_b32 v6, 0, 0, v3
	v_or_b32_e32 v3, v5, v8
	v_or_b32_e32 v5, v11, v12
	v_or3_b32 v11, v13, v14, 0
	v_or3_b32 v13, v17, v18, 0
	s_wait_loadcnt 0x2
	v_fma_mixlo_f16 v17, s4, v27, 0
	v_or_b32_e32 v12, v15, v16
	v_fma_mixlo_f16 v15, s4, v25, 0
	v_or3_b32 v9, v9, v10, 0
	v_fma_mixlo_f16 v16, s4, v26, 0
	v_fma_mixlo_f16 v14, s4, v24, 0
	;; [unrolled: 1-line block ×3, first 2 shown]
	v_lshlrev_b32_e32 v15, 16, v15
	v_or3_b32 v10, 0, 0, v5
	v_fma_mixlo_f16 v5, s4, v23, 0
	v_fma_mixlo_f16 v19, s4, v29, 0
	s_wait_loadcnt 0x1
	v_fma_mixlo_f16 v20, s4, v30, 0
	v_fma_mixlo_f16 v21, s4, v31, 0
	;; [unrolled: 1-line block ×3, first 2 shown]
	v_lshlrev_b32_e32 v5, 16, v5
	v_or3_b32 v8, 0, 0, v3
	v_fma_mixlo_f16 v3, s4, v22, 0
	s_wait_loadcnt 0x0
	v_fma_mixlo_f16 v24, s4, v34, 0
	v_fma_mixlo_f16 v25, s4, v35, 0
	;; [unrolled: 1-line block ×3, first 2 shown]
	v_lshlrev_b32_e32 v17, 16, v17
	v_and_b32_e32 v3, 0xffff, v3
	v_and_b32_e32 v16, 0xffff, v16
	v_fma_mixlo_f16 v22, s4, v32, 0
	v_fma_mixlo_f16 v26, s4, v36, 0
	v_dual_lshlrev_b32 v19, 16, v19 :: v_dual_lshlrev_b32 v21, 16, v21
	v_and_b32_e32 v18, 0xffff, v18
	v_and_b32_e32 v20, 0xffff, v20
	v_dual_lshlrev_b32 v23, 16, v23 :: v_dual_lshlrev_b32 v25, 16, v25
	v_and_b32_e32 v24, 0xffff, v24
	v_and_b32_e32 v14, 0xffff, v14
	v_or_b32_e32 v3, v5, v3
	v_dual_lshlrev_b32 v27, 16, v27 :: v_dual_bitop2_b32 v5, v17, v16 bitop3:0x54
	v_and_b32_e32 v22, 0xffff, v22
	v_and_b32_e32 v26, 0xffff, v26
	v_or3_b32 v17, v19, v18, 0
	v_or_b32_e32 v18, v21, v20
	v_or_b32_e32 v20, v25, v24
	v_or3_b32 v12, 0, 0, v12
	v_or3_b32 v15, v15, v14, 0
	;; [unrolled: 1-line block ×8, first 2 shown]
	ds_store_2addr_b64 v38, v[6:7], v[12:13] offset1:32
	ds_store_2addr_b64 v38, v[8:9], v[14:15] offset0:64 offset1:96
	ds_store_2addr_b64 v38, v[10:11], v[16:17] offset0:128 offset1:160
	;; [unrolled: 1-line block ×3, first 2 shown]
	s_wait_dscnt 0x0
	s_barrier_signal -1
	s_barrier_wait -1
	s_cbranch_scc1 .LBB71_4
; %bb.3:
	s_load_b32 s4, s[0:1], 0xd0
	s_wait_kmcnt 0x0
	s_mul_i32 s4, s4, s2
	s_delay_alu instid0(SALU_CYCLE_1)
	s_add_co_i32 s4, s4, s26
	s_load_b32 s30, s[14:15], s4 offset:0x0 scale_offset
.LBB71_4:
	s_wait_xcnt 0x0
	s_bfe_u32 s4, ttmp6, 0x40010
	s_and_b32 s5, ttmp7, 0xffff
	s_add_co_i32 s4, s4, 1
	s_bfe_u32 s10, ttmp6, 0x40004
	s_mul_i32 s4, s5, s4
	v_mbcnt_lo_u32_b32 v65, -1, 0
	s_add_co_i32 s10, s10, s4
	s_cmp_eq_u32 s24, 0
	s_cselect_b32 s31, s5, s10
	s_mov_b32 s5, 0
	s_lshl_b32 s4, s31, 6
	s_wait_kmcnt 0x0
	s_cmp_lt_i32 s4, s30
	s_cbranch_scc1 .LBB71_7
; %bb.5:
	v_mbcnt_lo_u32_b32 v8, -1, 0
	s_delay_alu instid0(VALU_DEP_1)
	v_dual_mov_b32 v64, 32 :: v_dual_bitop2_b32 v32, 16, v8 bitop3:0x14
	v_xor_b32_e32 v31, 8, v8
	v_xor_b32_e32 v30, 4, v8
	v_xor_b32_e32 v29, 2, v8
	v_dual_lshlrev_b32 v60, 2, v61 :: v_dual_bitop2_b32 v28, 1, v8 bitop3:0x14
	s_and_not1_b32 vcc_lo, exec_lo, s5
	s_cbranch_vccz .LBB71_8
; %bb.6:
	v_dual_mov_b32 v89, 0 :: v_dual_mov_b32 v41, 0
	v_dual_mov_b32 v7, 0xfeffffff :: v_dual_mov_b32 v6, 0xfeffffff
	;; [unrolled: 1-line block ×16, first 2 shown]
	s_branch .LBB71_76
.LBB71_7:
                                        ; implicit-def: $vgpr8
                                        ; implicit-def: $vgpr64
                                        ; implicit-def: $vgpr32
                                        ; implicit-def: $vgpr31
                                        ; implicit-def: $vgpr30
                                        ; implicit-def: $vgpr29
                                        ; implicit-def: $vgpr28
	v_lshlrev_b32_e32 v60, 2, v61
.LBB71_8:
	s_mul_f32 s5, s25, 0x4f7ffffe
	s_clause 0x1
	s_load_b128 s[24:27], s[0:1], 0x98
	s_load_b64 s[14:15], s[0:1], 0x8c
	s_sub_co_i32 s10, 0, s29
	s_ashr_i32 s38, s3, 31
	s_cvt_u32_f32 s5, s5
	v_dual_lshrrev_b32 v3, 3, v61 :: v_dual_bitop2_b32 v6, 28, v60 bitop3:0x40
	v_lshrrev_b32_e32 v5, 4, v61
	s_delay_alu instid0(SALU_CYCLE_1)
	s_mul_i32 s10, s10, s5
	s_abs_i32 s36, s28
	s_mul_hi_u32 s3, s5, s10
	s_mov_b32 s11, s37
	s_add_co_i32 s10, s5, s3
	v_lshlrev_b32_e32 v7, 2, v6
	s_mul_u64 s[10:11], s[36:37], s[10:11]
	v_lshl_add_u32 v5, v4, 1, v5
	s_mul_i32 s5, s11, s29
	s_ashr_i32 s33, s28, 31
	s_sub_co_i32 s5, s36, s5
	s_ashr_i32 s39, s39, 1
	s_wait_kmcnt 0x0
	s_ashr_i32 s10, s26, 2
	s_ashr_i32 s3, s2, 31
	s_xor_b32 s33, s33, s38
	s_ashr_i32 s14, s14, 2
	s_add_co_i32 s26, s11, 1
	s_sub_co_i32 s36, s5, s29
	v_lshl_add_u32 v3, v4, 2, v3
	v_mul_lo_u32 v10, s10, v5
	s_load_b64 s[20:21], s[0:1], 0xa8
	s_cmp_ge_u32 s5, s29
	v_dual_mov_b32 v51, 0 :: v_dual_bitop2_b32 v8, 60, v60 bitop3:0x40
	s_cselect_b32 s11, s26, s11
	s_cselect_b32 s5, s36, s5
	s_add_co_i32 s26, s11, 1
	v_mul_lo_u32 v48, s14, v3
	s_cmp_ge_u32 s5, s29
	v_mad_u32_u24 v3, 0x90, v3, v7
	s_delay_alu instid0(VALU_DEP_4) | instskip(SKIP_2) | instid1(VALU_DEP_2)
	v_dual_lshlrev_b32 v7, 2, v8 :: v_dual_ashrrev_i32 v11, 31, v10
	s_cselect_b32 s5, s26, s11
	s_load_b32 s26, s[0:1], 0x54
	v_dual_mov_b32 v55, v51 :: v_dual_add_nc_u32 v66, 0x4000, v3
	v_dual_mov_b32 v64, 32 :: v_dual_add_nc_u32 v67, 0x5200, v3
	v_lshl_or_b32 v3, v5, 8, v7
	v_mad_u32 v69, v2, s39, v61
	v_lshl_add_u32 v2, s10, 4, v10
	v_ashrrev_i32_e32 v49, 31, v48
	s_xor_b32 s5, s5, s33
	v_dual_mov_b32 v76, v51 :: v_dual_add_nc_u32 v71, 0x4000, v3
	v_dual_mov_b32 v75, v51 :: v_dual_add_nc_u32 v72, 0x5000, v3
	v_ashrrev_i32_e32 v3, 31, v2
	v_lshl_add_u32 v52, s14, 5, v48
	v_lshl_add_u32 v70, v4, 10, 0x6400
	s_sub_co_i32 s5, s5, s33
	s_mul_u64 s[24:25], s[24:25], s[2:3]
	s_wait_kmcnt 0x0
	s_mul_u64 s[20:21], s[20:21], s[2:3]
	s_movk_i32 s3, 0x4000
	v_lshlrev_b64_e32 v[56:57], 2, v[10:11]
	v_lshlrev_b64_e32 v[58:59], 2, v[2:3]
	s_mul_i32 s36, s5, s15
	s_add_nc_u64 s[6:7], s[6:7], s[24:25]
	s_mul_i32 s24, s5, s27
	v_dual_mov_b32 v96, 0xfeffffff :: v_dual_ashrrev_i32 v53, 31, v52
	v_mad_u32_u24 v68, 0x90, v61, s3
	v_or_b32_e32 v73, 0x4000, v1
	v_dual_lshlrev_b32 v54, 2, v6 :: v_dual_add_nc_u32 v74, v70, v0
	v_dual_lshlrev_b32 v50, 2, v8 :: v_dual_mov_b32 v78, v51
	v_dual_mov_b32 v77, v51 :: v_dual_mov_b32 v79, v51
	v_dual_mov_b32 v80, v51 :: v_dual_mov_b32 v81, v51
	;; [unrolled: 1-line block ×14, first 2 shown]
	s_ashr_i32 s37, s36, 31
	s_add_nc_u64 s[8:9], s[8:9], s[20:21]
	s_ashr_i32 s25, s24, 31
	s_add_nc_u64 s[6:7], s[6:7], s[36:37]
	s_add_nc_u64 s[8:9], s[8:9], s[24:25]
	s_ashr_i32 s15, s14, 31
	s_ashr_i32 s11, s10, 31
	s_add_nc_u64 s[20:21], s[0:1], 0xd0
	s_mov_b32 s3, 0xbbbac73d
.LBB71_9:                               ; =>This Inner Loop Header: Depth=1
	s_ashr_i32 s5, s4, 31
	v_dual_mov_b32 v112, 0 :: v_dual_mov_b32 v110, 0
	s_mul_u64 s[24:25], s[4:5], s[14:15]
	v_dual_mov_b32 v108, 0 :: v_dual_mov_b32 v106, 0
	s_lshl_b64 s[24:25], s[24:25], 2
	v_dual_mov_b32 v104, 0 :: v_dual_mov_b32 v103, 0
	s_add_nc_u64 s[24:25], s[6:7], s[24:25]
	v_dual_mov_b32 v99, 0 :: v_dual_mov_b32 v101, 0
	v_lshl_add_u64 v[0:1], v[48:49], 2, s[24:25]
	v_lshl_add_u64 v[2:3], v[52:53], 2, s[24:25]
	v_dual_mov_b32 v114, 0 :: v_dual_mov_b32 v113, 0
	v_dual_mov_b32 v111, 0 :: v_dual_mov_b32 v109, 0
	s_delay_alu instid0(VALU_DEP_4) | instskip(NEXT) | instid1(VALU_DEP_4)
	v_add_nc_u64_e32 v[0:1], v[0:1], v[54:55]
	v_add_nc_u64_e32 v[2:3], v[2:3], v[54:55]
	s_clause 0x1
	global_load_b128 v[4:7], v[0:1], off
	global_load_b128 v[8:11], v[2:3], off
	v_dual_mov_b32 v107, 0 :: v_dual_mov_b32 v105, 0
	v_dual_mov_b32 v100, 0 :: v_dual_mov_b32 v102, 0
	s_wait_loadcnt 0x1
	ds_store_b128 v66, v[4:7]
	s_wait_loadcnt 0x0
	ds_store_b128 v67, v[8:11]
	s_wait_dscnt 0x0
	s_barrier_signal -1
	s_barrier_wait -1
	ds_load_b128 v[4:7], v68
	ds_load_b128 v[8:11], v63
	ds_load_b128 v[12:15], v63 offset:256
	ds_load_b128 v[16:19], v63 offset:512
	;; [unrolled: 1-line block ×8, first 2 shown]
	s_wait_dscnt 0x8
	;;#ASMSTART
	v_dot2_f32_f16 v112, v4, v8, v112
	;;#ASMEND
	;;#ASMSTART
	v_dot2_f32_f16 v112, v5, v9, v112
	;;#ASMEND
	;;#ASMSTART
	v_dot2_f32_f16 v112, v6, v10, v112
	;;#ASMEND
	;;#ASMSTART
	v_dot2_f32_f16 v112, v7, v11, v112
	;;#ASMEND
	s_wait_dscnt 0x7
	;;#ASMSTART
	v_dot2_f32_f16 v110, v4, v12, v110
	;;#ASMEND
	;;#ASMSTART
	v_dot2_f32_f16 v110, v5, v13, v110
	;;#ASMEND
	;;#ASMSTART
	v_dot2_f32_f16 v110, v6, v14, v110
	;;#ASMEND
	;;#ASMSTART
	v_dot2_f32_f16 v110, v7, v15, v110
	;;#ASMEND
	;; [unrolled: 13-line block ×8, first 2 shown]
	;;#ASMSTART
	v_dot2_f32_f16 v114, v24, v8, v114
	;;#ASMEND
	;;#ASMSTART
	v_dot2_f32_f16 v114, v25, v9, v114
	;;#ASMEND
	;; [unrolled: 3-line block ×32, first 2 shown]
	ds_load_b128 v[4:7], v68 offset:16
	ds_load_b128 v[8:11], v63 offset:16
	ds_load_b128 v[12:15], v63 offset:272
	ds_load_b128 v[16:19], v63 offset:528
	ds_load_b128 v[20:23], v63 offset:784
	ds_load_b128 v[24:27], v68 offset:4624
	ds_load_b128 v[28:31], v63 offset:1040
	ds_load_b128 v[32:35], v63 offset:1296
	ds_load_b128 v[36:39], v63 offset:1552
	ds_load_b128 v[116:119], v63 offset:1808
	s_wait_dscnt 0x8
	;;#ASMSTART
	v_dot2_f32_f16 v112, v4, v8, v112
	;;#ASMEND
	;;#ASMSTART
	v_dot2_f32_f16 v112, v5, v9, v112
	;;#ASMEND
	;;#ASMSTART
	v_dot2_f32_f16 v112, v6, v10, v112
	;;#ASMEND
	;;#ASMSTART
	v_dot2_f32_f16 v112, v7, v11, v112
	;;#ASMEND
	s_wait_dscnt 0x7
	;;#ASMSTART
	v_dot2_f32_f16 v110, v4, v12, v110
	;;#ASMEND
	;;#ASMSTART
	v_dot2_f32_f16 v110, v5, v13, v110
	;;#ASMEND
	;;#ASMSTART
	v_dot2_f32_f16 v110, v6, v14, v110
	;;#ASMEND
	;;#ASMSTART
	v_dot2_f32_f16 v110, v7, v15, v110
	;;#ASMEND
	;; [unrolled: 13-line block ×8, first 2 shown]
	;;#ASMSTART
	v_dot2_f32_f16 v114, v24, v8, v114
	;;#ASMEND
	;;#ASMSTART
	v_dot2_f32_f16 v114, v25, v9, v114
	;;#ASMEND
	;; [unrolled: 3-line block ×32, first 2 shown]
	ds_load_b128 v[4:7], v68 offset:32
	ds_load_b128 v[8:11], v63 offset:32
	;; [unrolled: 1-line block ×10, first 2 shown]
	s_wait_dscnt 0x8
	;;#ASMSTART
	v_dot2_f32_f16 v112, v4, v8, v112
	;;#ASMEND
	;;#ASMSTART
	v_dot2_f32_f16 v112, v5, v9, v112
	;;#ASMEND
	;;#ASMSTART
	v_dot2_f32_f16 v112, v6, v10, v112
	;;#ASMEND
	;;#ASMSTART
	v_dot2_f32_f16 v112, v7, v11, v112
	;;#ASMEND
	s_wait_dscnt 0x7
	;;#ASMSTART
	v_dot2_f32_f16 v110, v4, v12, v110
	;;#ASMEND
	;;#ASMSTART
	v_dot2_f32_f16 v110, v5, v13, v110
	;;#ASMEND
	;;#ASMSTART
	v_dot2_f32_f16 v110, v6, v14, v110
	;;#ASMEND
	;;#ASMSTART
	v_dot2_f32_f16 v110, v7, v15, v110
	;;#ASMEND
	s_wait_dscnt 0x6
	;;#ASMSTART
	v_dot2_f32_f16 v108, v4, v16, v108
	;;#ASMEND
	;;#ASMSTART
	v_dot2_f32_f16 v108, v5, v17, v108
	;;#ASMEND
	;;#ASMSTART
	v_dot2_f32_f16 v108, v6, v18, v108
	;;#ASMEND
	;;#ASMSTART
	v_dot2_f32_f16 v108, v7, v19, v108
	;;#ASMEND
	s_wait_dscnt 0x5
	;;#ASMSTART
	v_dot2_f32_f16 v106, v4, v20, v106
	;;#ASMEND
	;;#ASMSTART
	v_dot2_f32_f16 v106, v5, v21, v106
	;;#ASMEND
	;;#ASMSTART
	v_dot2_f32_f16 v106, v6, v22, v106
	;;#ASMEND
	;;#ASMSTART
	v_dot2_f32_f16 v106, v7, v23, v106
	;;#ASMEND
	s_wait_dscnt 0x3
	;;#ASMSTART
	v_dot2_f32_f16 v104, v4, v28, v104
	;;#ASMEND
	;;#ASMSTART
	v_dot2_f32_f16 v104, v5, v29, v104
	;;#ASMEND
	;;#ASMSTART
	v_dot2_f32_f16 v104, v6, v30, v104
	;;#ASMEND
	;;#ASMSTART
	v_dot2_f32_f16 v104, v7, v31, v104
	;;#ASMEND
	s_wait_dscnt 0x2
	;;#ASMSTART
	v_dot2_f32_f16 v103, v4, v32, v103
	;;#ASMEND
	;;#ASMSTART
	v_dot2_f32_f16 v103, v5, v33, v103
	;;#ASMEND
	;;#ASMSTART
	v_dot2_f32_f16 v103, v6, v34, v103
	;;#ASMEND
	;;#ASMSTART
	v_dot2_f32_f16 v103, v7, v35, v103
	;;#ASMEND
	s_wait_dscnt 0x1
	;;#ASMSTART
	v_dot2_f32_f16 v99, v4, v36, v99
	;;#ASMEND
	;;#ASMSTART
	v_dot2_f32_f16 v99, v5, v37, v99
	;;#ASMEND
	;;#ASMSTART
	v_dot2_f32_f16 v99, v6, v38, v99
	;;#ASMEND
	;;#ASMSTART
	v_dot2_f32_f16 v99, v7, v39, v99
	;;#ASMEND
	s_wait_dscnt 0x0
	;;#ASMSTART
	v_dot2_f32_f16 v101, v4, v116, v101
	;;#ASMEND
	;;#ASMSTART
	v_dot2_f32_f16 v101, v5, v117, v101
	;;#ASMEND
	;;#ASMSTART
	v_dot2_f32_f16 v101, v6, v118, v101
	;;#ASMEND
	;;#ASMSTART
	v_dot2_f32_f16 v101, v7, v119, v101
	;;#ASMEND
	;;#ASMSTART
	v_dot2_f32_f16 v114, v24, v8, v114
	;;#ASMEND
	;;#ASMSTART
	v_dot2_f32_f16 v114, v25, v9, v114
	;;#ASMEND
	;; [unrolled: 3-line block ×32, first 2 shown]
	ds_load_b128 v[4:7], v68 offset:48
	ds_load_b128 v[8:11], v63 offset:48
	ds_load_b128 v[12:15], v63 offset:304
	ds_load_b128 v[16:19], v63 offset:560
	ds_load_b128 v[20:23], v63 offset:816
	ds_load_b128 v[24:27], v68 offset:4656
	ds_load_b128 v[28:31], v63 offset:1072
	ds_load_b128 v[32:35], v63 offset:1328
	ds_load_b128 v[36:39], v63 offset:1584
	ds_load_b128 v[116:119], v63 offset:1840
	s_wait_dscnt 0x8
	;;#ASMSTART
	v_dot2_f32_f16 v112, v4, v8, v112
	;;#ASMEND
	;;#ASMSTART
	v_dot2_f32_f16 v112, v5, v9, v112
	;;#ASMEND
	;;#ASMSTART
	v_dot2_f32_f16 v112, v6, v10, v112
	;;#ASMEND
	;;#ASMSTART
	v_dot2_f32_f16 v112, v7, v11, v112
	;;#ASMEND
	s_wait_dscnt 0x7
	;;#ASMSTART
	v_dot2_f32_f16 v110, v4, v12, v110
	;;#ASMEND
	;;#ASMSTART
	v_dot2_f32_f16 v110, v5, v13, v110
	;;#ASMEND
	;;#ASMSTART
	v_dot2_f32_f16 v110, v6, v14, v110
	;;#ASMEND
	;;#ASMSTART
	v_dot2_f32_f16 v110, v7, v15, v110
	;;#ASMEND
	;; [unrolled: 13-line block ×8, first 2 shown]
	;;#ASMSTART
	v_dot2_f32_f16 v114, v24, v8, v114
	;;#ASMEND
	;;#ASMSTART
	v_dot2_f32_f16 v114, v25, v9, v114
	;;#ASMEND
	;;#ASMSTART
	v_dot2_f32_f16 v114, v26, v10, v114
	;;#ASMEND
	;;#ASMSTART
	v_dot2_f32_f16 v114, v27, v11, v114
	;;#ASMEND
	;;#ASMSTART
	v_dot2_f32_f16 v113, v24, v12, v113
	;;#ASMEND
	;;#ASMSTART
	v_dot2_f32_f16 v113, v25, v13, v113
	;;#ASMEND
	;;#ASMSTART
	v_dot2_f32_f16 v113, v26, v14, v113
	;;#ASMEND
	;;#ASMSTART
	v_dot2_f32_f16 v113, v27, v15, v113
	;;#ASMEND
	;;#ASMSTART
	v_dot2_f32_f16 v111, v24, v16, v111
	;;#ASMEND
	;;#ASMSTART
	v_dot2_f32_f16 v111, v25, v17, v111
	;;#ASMEND
	;;#ASMSTART
	v_dot2_f32_f16 v111, v26, v18, v111
	;;#ASMEND
	;;#ASMSTART
	v_dot2_f32_f16 v111, v27, v19, v111
	;;#ASMEND
	;;#ASMSTART
	v_dot2_f32_f16 v109, v24, v20, v109
	;;#ASMEND
	;;#ASMSTART
	v_dot2_f32_f16 v109, v25, v21, v109
	;;#ASMEND
	;;#ASMSTART
	v_dot2_f32_f16 v109, v26, v22, v109
	;;#ASMEND
	;;#ASMSTART
	v_dot2_f32_f16 v109, v27, v23, v109
	;;#ASMEND
	;;#ASMSTART
	v_dot2_f32_f16 v107, v24, v28, v107
	;;#ASMEND
	;;#ASMSTART
	v_dot2_f32_f16 v107, v25, v29, v107
	;;#ASMEND
	;;#ASMSTART
	v_dot2_f32_f16 v107, v26, v30, v107
	;;#ASMEND
	;;#ASMSTART
	v_dot2_f32_f16 v107, v27, v31, v107
	;;#ASMEND
	;;#ASMSTART
	v_dot2_f32_f16 v105, v24, v32, v105
	;;#ASMEND
	;;#ASMSTART
	v_dot2_f32_f16 v105, v25, v33, v105
	;;#ASMEND
	;;#ASMSTART
	v_dot2_f32_f16 v105, v26, v34, v105
	;;#ASMEND
	;;#ASMSTART
	v_dot2_f32_f16 v105, v27, v35, v105
	;;#ASMEND
	;;#ASMSTART
	v_dot2_f32_f16 v100, v24, v36, v100
	;;#ASMEND
	;;#ASMSTART
	v_dot2_f32_f16 v100, v25, v37, v100
	;;#ASMEND
	;;#ASMSTART
	v_dot2_f32_f16 v100, v26, v38, v100
	;;#ASMEND
	;;#ASMSTART
	v_dot2_f32_f16 v100, v27, v39, v100
	;;#ASMEND
	;;#ASMSTART
	v_dot2_f32_f16 v102, v24, v116, v102
	;;#ASMEND
	;;#ASMSTART
	v_dot2_f32_f16 v102, v25, v117, v102
	;;#ASMEND
	;;#ASMSTART
	v_dot2_f32_f16 v102, v26, v118, v102
	;;#ASMEND
	;;#ASMSTART
	v_dot2_f32_f16 v102, v27, v119, v102
	;;#ASMEND
	ds_load_b128 v[4:7], v68 offset:64
	ds_load_b128 v[8:11], v63 offset:64
	;; [unrolled: 1-line block ×10, first 2 shown]
	s_wait_dscnt 0x8
	;;#ASMSTART
	v_dot2_f32_f16 v112, v4, v8, v112
	;;#ASMEND
	;;#ASMSTART
	v_dot2_f32_f16 v112, v5, v9, v112
	;;#ASMEND
	;;#ASMSTART
	v_dot2_f32_f16 v112, v6, v10, v112
	;;#ASMEND
	;;#ASMSTART
	v_dot2_f32_f16 v112, v7, v11, v112
	;;#ASMEND
	s_wait_dscnt 0x7
	;;#ASMSTART
	v_dot2_f32_f16 v110, v4, v12, v110
	;;#ASMEND
	;;#ASMSTART
	v_dot2_f32_f16 v110, v5, v13, v110
	;;#ASMEND
	;;#ASMSTART
	v_dot2_f32_f16 v110, v6, v14, v110
	;;#ASMEND
	;;#ASMSTART
	v_dot2_f32_f16 v110, v7, v15, v110
	;;#ASMEND
	;; [unrolled: 13-line block ×8, first 2 shown]
	;;#ASMSTART
	v_dot2_f32_f16 v114, v24, v8, v114
	;;#ASMEND
	;;#ASMSTART
	v_dot2_f32_f16 v114, v25, v9, v114
	;;#ASMEND
	;; [unrolled: 3-line block ×32, first 2 shown]
	ds_load_b128 v[4:7], v68 offset:80
	ds_load_b128 v[8:11], v63 offset:80
	;; [unrolled: 1-line block ×10, first 2 shown]
	s_wait_dscnt 0x8
	;;#ASMSTART
	v_dot2_f32_f16 v112, v4, v8, v112
	;;#ASMEND
	;;#ASMSTART
	v_dot2_f32_f16 v112, v5, v9, v112
	;;#ASMEND
	;;#ASMSTART
	v_dot2_f32_f16 v112, v6, v10, v112
	;;#ASMEND
	;;#ASMSTART
	v_dot2_f32_f16 v112, v7, v11, v112
	;;#ASMEND
	s_wait_dscnt 0x7
	;;#ASMSTART
	v_dot2_f32_f16 v110, v4, v12, v110
	;;#ASMEND
	;;#ASMSTART
	v_dot2_f32_f16 v110, v5, v13, v110
	;;#ASMEND
	;;#ASMSTART
	v_dot2_f32_f16 v110, v6, v14, v110
	;;#ASMEND
	;;#ASMSTART
	v_dot2_f32_f16 v110, v7, v15, v110
	;;#ASMEND
	;; [unrolled: 13-line block ×8, first 2 shown]
	;;#ASMSTART
	v_dot2_f32_f16 v114, v24, v8, v114
	;;#ASMEND
	;;#ASMSTART
	v_dot2_f32_f16 v114, v25, v9, v114
	;;#ASMEND
	;; [unrolled: 3-line block ×32, first 2 shown]
	ds_load_b128 v[4:7], v68 offset:96
	ds_load_b128 v[8:11], v63 offset:96
	;; [unrolled: 1-line block ×10, first 2 shown]
	s_wait_dscnt 0x8
	;;#ASMSTART
	v_dot2_f32_f16 v112, v4, v8, v112
	;;#ASMEND
	;;#ASMSTART
	v_dot2_f32_f16 v112, v5, v9, v112
	;;#ASMEND
	;;#ASMSTART
	v_dot2_f32_f16 v112, v6, v10, v112
	;;#ASMEND
	;;#ASMSTART
	v_dot2_f32_f16 v112, v7, v11, v112
	;;#ASMEND
	s_wait_dscnt 0x7
	;;#ASMSTART
	v_dot2_f32_f16 v110, v4, v12, v110
	;;#ASMEND
	;;#ASMSTART
	v_dot2_f32_f16 v110, v5, v13, v110
	;;#ASMEND
	;;#ASMSTART
	v_dot2_f32_f16 v110, v6, v14, v110
	;;#ASMEND
	;;#ASMSTART
	v_dot2_f32_f16 v110, v7, v15, v110
	;;#ASMEND
	;; [unrolled: 13-line block ×8, first 2 shown]
	;;#ASMSTART
	v_dot2_f32_f16 v114, v24, v8, v114
	;;#ASMEND
	;;#ASMSTART
	v_dot2_f32_f16 v114, v25, v9, v114
	;;#ASMEND
	;;#ASMSTART
	v_dot2_f32_f16 v114, v26, v10, v114
	;;#ASMEND
	;;#ASMSTART
	v_dot2_f32_f16 v114, v27, v11, v114
	;;#ASMEND
	;;#ASMSTART
	v_dot2_f32_f16 v113, v24, v12, v113
	;;#ASMEND
	;;#ASMSTART
	v_dot2_f32_f16 v113, v25, v13, v113
	;;#ASMEND
	;;#ASMSTART
	v_dot2_f32_f16 v113, v26, v14, v113
	;;#ASMEND
	;;#ASMSTART
	v_dot2_f32_f16 v113, v27, v15, v113
	;;#ASMEND
	;;#ASMSTART
	v_dot2_f32_f16 v111, v24, v16, v111
	;;#ASMEND
	;;#ASMSTART
	v_dot2_f32_f16 v111, v25, v17, v111
	;;#ASMEND
	;;#ASMSTART
	v_dot2_f32_f16 v111, v26, v18, v111
	;;#ASMEND
	;;#ASMSTART
	v_dot2_f32_f16 v111, v27, v19, v111
	;;#ASMEND
	;;#ASMSTART
	v_dot2_f32_f16 v109, v24, v20, v109
	;;#ASMEND
	;;#ASMSTART
	v_dot2_f32_f16 v109, v25, v21, v109
	;;#ASMEND
	;;#ASMSTART
	v_dot2_f32_f16 v109, v26, v22, v109
	;;#ASMEND
	;;#ASMSTART
	v_dot2_f32_f16 v109, v27, v23, v109
	;;#ASMEND
	;;#ASMSTART
	v_dot2_f32_f16 v107, v24, v28, v107
	;;#ASMEND
	;;#ASMSTART
	v_dot2_f32_f16 v107, v25, v29, v107
	;;#ASMEND
	;;#ASMSTART
	v_dot2_f32_f16 v107, v26, v30, v107
	;;#ASMEND
	;;#ASMSTART
	v_dot2_f32_f16 v107, v27, v31, v107
	;;#ASMEND
	;;#ASMSTART
	v_dot2_f32_f16 v105, v24, v32, v105
	;;#ASMEND
	;;#ASMSTART
	v_dot2_f32_f16 v105, v25, v33, v105
	;;#ASMEND
	;;#ASMSTART
	v_dot2_f32_f16 v105, v26, v34, v105
	;;#ASMEND
	;;#ASMSTART
	v_dot2_f32_f16 v105, v27, v35, v105
	;;#ASMEND
	;;#ASMSTART
	v_dot2_f32_f16 v100, v24, v36, v100
	;;#ASMEND
	;;#ASMSTART
	v_dot2_f32_f16 v100, v25, v37, v100
	;;#ASMEND
	;;#ASMSTART
	v_dot2_f32_f16 v100, v26, v38, v100
	;;#ASMEND
	;;#ASMSTART
	v_dot2_f32_f16 v100, v27, v39, v100
	;;#ASMEND
	;;#ASMSTART
	v_dot2_f32_f16 v102, v24, v116, v102
	;;#ASMEND
	;;#ASMSTART
	v_dot2_f32_f16 v102, v25, v117, v102
	;;#ASMEND
	;;#ASMSTART
	v_dot2_f32_f16 v102, v26, v118, v102
	;;#ASMEND
	;;#ASMSTART
	v_dot2_f32_f16 v102, v27, v119, v102
	;;#ASMEND
	ds_load_b128 v[4:7], v68 offset:112
	ds_load_b128 v[8:11], v63 offset:112
	;; [unrolled: 1-line block ×10, first 2 shown]
	s_wait_dscnt 0x8
	;;#ASMSTART
	v_dot2_f32_f16 v112, v4, v8, v112
	;;#ASMEND
	;;#ASMSTART
	v_dot2_f32_f16 v112, v5, v9, v112
	;;#ASMEND
	;;#ASMSTART
	v_dot2_f32_f16 v112, v6, v10, v112
	;;#ASMEND
	;;#ASMSTART
	v_dot2_f32_f16 v112, v7, v11, v112
	;;#ASMEND
	s_wait_dscnt 0x7
	;;#ASMSTART
	v_dot2_f32_f16 v110, v4, v12, v110
	;;#ASMEND
	;;#ASMSTART
	v_dot2_f32_f16 v110, v5, v13, v110
	;;#ASMEND
	;;#ASMSTART
	v_dot2_f32_f16 v110, v6, v14, v110
	;;#ASMEND
	;;#ASMSTART
	v_dot2_f32_f16 v110, v7, v15, v110
	;;#ASMEND
	;; [unrolled: 13-line block ×8, first 2 shown]
	;;#ASMSTART
	v_dot2_f32_f16 v114, v24, v8, v114
	;;#ASMEND
	;;#ASMSTART
	v_dot2_f32_f16 v114, v25, v9, v114
	;;#ASMEND
	;;#ASMSTART
	v_dot2_f32_f16 v114, v26, v10, v114
	;;#ASMEND
	;;#ASMSTART
	v_dot2_f32_f16 v114, v27, v11, v114
	;;#ASMEND
	;;#ASMSTART
	v_dot2_f32_f16 v113, v24, v12, v113
	;;#ASMEND
	;;#ASMSTART
	v_dot2_f32_f16 v113, v25, v13, v113
	;;#ASMEND
	;;#ASMSTART
	v_dot2_f32_f16 v113, v26, v14, v113
	;;#ASMEND
	;;#ASMSTART
	v_dot2_f32_f16 v113, v27, v15, v113
	;;#ASMEND
	;;#ASMSTART
	v_dot2_f32_f16 v111, v24, v16, v111
	;;#ASMEND
	;;#ASMSTART
	v_dot2_f32_f16 v111, v25, v17, v111
	;;#ASMEND
	;;#ASMSTART
	v_dot2_f32_f16 v111, v26, v18, v111
	;;#ASMEND
	;;#ASMSTART
	v_dot2_f32_f16 v111, v27, v19, v111
	;;#ASMEND
	;;#ASMSTART
	v_dot2_f32_f16 v109, v24, v20, v109
	;;#ASMEND
	;;#ASMSTART
	v_dot2_f32_f16 v109, v25, v21, v109
	;;#ASMEND
	;;#ASMSTART
	v_dot2_f32_f16 v109, v26, v22, v109
	;;#ASMEND
	;;#ASMSTART
	v_dot2_f32_f16 v109, v27, v23, v109
	;;#ASMEND
	;;#ASMSTART
	v_dot2_f32_f16 v107, v24, v28, v107
	;;#ASMEND
	;;#ASMSTART
	v_dot2_f32_f16 v107, v25, v29, v107
	;;#ASMEND
	;;#ASMSTART
	v_dot2_f32_f16 v107, v26, v30, v107
	;;#ASMEND
	;;#ASMSTART
	v_dot2_f32_f16 v107, v27, v31, v107
	;;#ASMEND
	;;#ASMSTART
	v_dot2_f32_f16 v105, v24, v32, v105
	;;#ASMEND
	;;#ASMSTART
	v_dot2_f32_f16 v105, v25, v33, v105
	;;#ASMEND
	;;#ASMSTART
	v_dot2_f32_f16 v105, v26, v34, v105
	;;#ASMEND
	;;#ASMSTART
	v_dot2_f32_f16 v105, v27, v35, v105
	;;#ASMEND
	;;#ASMSTART
	v_dot2_f32_f16 v100, v24, v36, v100
	;;#ASMEND
	;;#ASMSTART
	v_dot2_f32_f16 v100, v25, v37, v100
	;;#ASMEND
	;;#ASMSTART
	v_dot2_f32_f16 v100, v26, v38, v100
	;;#ASMEND
	;;#ASMSTART
	v_dot2_f32_f16 v100, v27, v39, v100
	;;#ASMEND
	;;#ASMSTART
	v_dot2_f32_f16 v102, v24, v116, v102
	;;#ASMEND
	;;#ASMSTART
	v_dot2_f32_f16 v102, v25, v117, v102
	;;#ASMEND
	;;#ASMSTART
	v_dot2_f32_f16 v102, v26, v118, v102
	;;#ASMEND
	;;#ASMSTART
	v_dot2_f32_f16 v102, v27, v119, v102
	;;#ASMEND
	s_barrier_signal -1
	s_barrier_wait -1
	s_clause 0x1
	global_load_b128 v[4:7], v[0:1], off offset:128
	global_load_b128 v[8:11], v[2:3], off offset:128
	s_wait_loadcnt 0x1
	ds_store_b128 v66, v[4:7]
	s_wait_loadcnt 0x0
	ds_store_b128 v67, v[8:11]
	s_wait_dscnt 0x0
	s_barrier_signal -1
	s_barrier_wait -1
	ds_load_b128 v[0:3], v68
	ds_load_b128 v[4:7], v63 offset:128
	ds_load_b128 v[8:11], v63 offset:384
	;; [unrolled: 1-line block ×9, first 2 shown]
	s_wait_dscnt 0x8
	;;#ASMSTART
	v_dot2_f32_f16 v112, v0, v4, v112
	;;#ASMEND
	;;#ASMSTART
	v_dot2_f32_f16 v112, v1, v5, v112
	;;#ASMEND
	;;#ASMSTART
	v_dot2_f32_f16 v112, v2, v6, v112
	;;#ASMEND
	;;#ASMSTART
	v_dot2_f32_f16 v112, v3, v7, v112
	;;#ASMEND
	s_wait_dscnt 0x7
	;;#ASMSTART
	v_dot2_f32_f16 v110, v0, v8, v110
	;;#ASMEND
	;;#ASMSTART
	v_dot2_f32_f16 v110, v1, v9, v110
	;;#ASMEND
	;;#ASMSTART
	v_dot2_f32_f16 v110, v2, v10, v110
	;;#ASMEND
	;;#ASMSTART
	v_dot2_f32_f16 v110, v3, v11, v110
	;;#ASMEND
	;; [unrolled: 13-line block ×8, first 2 shown]
	;;#ASMSTART
	v_dot2_f32_f16 v114, v20, v4, v114
	;;#ASMEND
	;;#ASMSTART
	v_dot2_f32_f16 v114, v21, v5, v114
	;;#ASMEND
	;; [unrolled: 3-line block ×32, first 2 shown]
	ds_load_b128 v[0:3], v68 offset:16
	ds_load_b128 v[4:7], v63 offset:144
	;; [unrolled: 1-line block ×10, first 2 shown]
	s_wait_dscnt 0x8
	;;#ASMSTART
	v_dot2_f32_f16 v112, v0, v4, v112
	;;#ASMEND
	;;#ASMSTART
	v_dot2_f32_f16 v112, v1, v5, v112
	;;#ASMEND
	;;#ASMSTART
	v_dot2_f32_f16 v112, v2, v6, v112
	;;#ASMEND
	;;#ASMSTART
	v_dot2_f32_f16 v112, v3, v7, v112
	;;#ASMEND
	s_wait_dscnt 0x7
	;;#ASMSTART
	v_dot2_f32_f16 v110, v0, v8, v110
	;;#ASMEND
	;;#ASMSTART
	v_dot2_f32_f16 v110, v1, v9, v110
	;;#ASMEND
	;;#ASMSTART
	v_dot2_f32_f16 v110, v2, v10, v110
	;;#ASMEND
	;;#ASMSTART
	v_dot2_f32_f16 v110, v3, v11, v110
	;;#ASMEND
	;; [unrolled: 13-line block ×8, first 2 shown]
	;;#ASMSTART
	v_dot2_f32_f16 v114, v20, v4, v114
	;;#ASMEND
	;;#ASMSTART
	v_dot2_f32_f16 v114, v21, v5, v114
	;;#ASMEND
	;; [unrolled: 3-line block ×32, first 2 shown]
	ds_load_b128 v[0:3], v68 offset:32
	ds_load_b128 v[4:7], v63 offset:160
	;; [unrolled: 1-line block ×10, first 2 shown]
	s_wait_dscnt 0x8
	;;#ASMSTART
	v_dot2_f32_f16 v112, v0, v4, v112
	;;#ASMEND
	;;#ASMSTART
	v_dot2_f32_f16 v112, v1, v5, v112
	;;#ASMEND
	;;#ASMSTART
	v_dot2_f32_f16 v112, v2, v6, v112
	;;#ASMEND
	;;#ASMSTART
	v_dot2_f32_f16 v112, v3, v7, v112
	;;#ASMEND
	s_wait_dscnt 0x7
	;;#ASMSTART
	v_dot2_f32_f16 v110, v0, v8, v110
	;;#ASMEND
	;;#ASMSTART
	v_dot2_f32_f16 v110, v1, v9, v110
	;;#ASMEND
	;;#ASMSTART
	v_dot2_f32_f16 v110, v2, v10, v110
	;;#ASMEND
	;;#ASMSTART
	v_dot2_f32_f16 v110, v3, v11, v110
	;;#ASMEND
	;; [unrolled: 13-line block ×8, first 2 shown]
	;;#ASMSTART
	v_dot2_f32_f16 v114, v20, v4, v114
	;;#ASMEND
	;;#ASMSTART
	v_dot2_f32_f16 v114, v21, v5, v114
	;;#ASMEND
	;; [unrolled: 3-line block ×32, first 2 shown]
	ds_load_b128 v[0:3], v68 offset:48
	ds_load_b128 v[4:7], v63 offset:176
	ds_load_b128 v[8:11], v63 offset:432
	ds_load_b128 v[12:15], v63 offset:688
	ds_load_b128 v[16:19], v63 offset:944
	ds_load_b128 v[20:23], v68 offset:4656
	ds_load_b128 v[24:27], v63 offset:1200
	ds_load_b128 v[28:31], v63 offset:1456
	ds_load_b128 v[32:35], v63 offset:1712
	ds_load_b128 v[36:39], v63 offset:1968
	s_wait_dscnt 0x8
	;;#ASMSTART
	v_dot2_f32_f16 v112, v0, v4, v112
	;;#ASMEND
	;;#ASMSTART
	v_dot2_f32_f16 v112, v1, v5, v112
	;;#ASMEND
	;;#ASMSTART
	v_dot2_f32_f16 v112, v2, v6, v112
	;;#ASMEND
	;;#ASMSTART
	v_dot2_f32_f16 v112, v3, v7, v112
	;;#ASMEND
	s_wait_dscnt 0x7
	;;#ASMSTART
	v_dot2_f32_f16 v110, v0, v8, v110
	;;#ASMEND
	;;#ASMSTART
	v_dot2_f32_f16 v110, v1, v9, v110
	;;#ASMEND
	;;#ASMSTART
	v_dot2_f32_f16 v110, v2, v10, v110
	;;#ASMEND
	;;#ASMSTART
	v_dot2_f32_f16 v110, v3, v11, v110
	;;#ASMEND
	;; [unrolled: 13-line block ×8, first 2 shown]
	;;#ASMSTART
	v_dot2_f32_f16 v114, v20, v4, v114
	;;#ASMEND
	;;#ASMSTART
	v_dot2_f32_f16 v114, v21, v5, v114
	;;#ASMEND
	;;#ASMSTART
	v_dot2_f32_f16 v114, v22, v6, v114
	;;#ASMEND
	;;#ASMSTART
	v_dot2_f32_f16 v114, v23, v7, v114
	;;#ASMEND
	;;#ASMSTART
	v_dot2_f32_f16 v113, v20, v8, v113
	;;#ASMEND
	;;#ASMSTART
	v_dot2_f32_f16 v113, v21, v9, v113
	;;#ASMEND
	;;#ASMSTART
	v_dot2_f32_f16 v113, v22, v10, v113
	;;#ASMEND
	;;#ASMSTART
	v_dot2_f32_f16 v113, v23, v11, v113
	;;#ASMEND
	;;#ASMSTART
	v_dot2_f32_f16 v111, v20, v12, v111
	;;#ASMEND
	;;#ASMSTART
	v_dot2_f32_f16 v111, v21, v13, v111
	;;#ASMEND
	;;#ASMSTART
	v_dot2_f32_f16 v111, v22, v14, v111
	;;#ASMEND
	;;#ASMSTART
	v_dot2_f32_f16 v111, v23, v15, v111
	;;#ASMEND
	;;#ASMSTART
	v_dot2_f32_f16 v109, v20, v16, v109
	;;#ASMEND
	;;#ASMSTART
	v_dot2_f32_f16 v109, v21, v17, v109
	;;#ASMEND
	;;#ASMSTART
	v_dot2_f32_f16 v109, v22, v18, v109
	;;#ASMEND
	;;#ASMSTART
	v_dot2_f32_f16 v109, v23, v19, v109
	;;#ASMEND
	;;#ASMSTART
	v_dot2_f32_f16 v107, v20, v24, v107
	;;#ASMEND
	;;#ASMSTART
	v_dot2_f32_f16 v107, v21, v25, v107
	;;#ASMEND
	;;#ASMSTART
	v_dot2_f32_f16 v107, v22, v26, v107
	;;#ASMEND
	;;#ASMSTART
	v_dot2_f32_f16 v107, v23, v27, v107
	;;#ASMEND
	;;#ASMSTART
	v_dot2_f32_f16 v105, v20, v28, v105
	;;#ASMEND
	;;#ASMSTART
	v_dot2_f32_f16 v105, v21, v29, v105
	;;#ASMEND
	;;#ASMSTART
	v_dot2_f32_f16 v105, v22, v30, v105
	;;#ASMEND
	;;#ASMSTART
	v_dot2_f32_f16 v105, v23, v31, v105
	;;#ASMEND
	;;#ASMSTART
	v_dot2_f32_f16 v100, v20, v32, v100
	;;#ASMEND
	;;#ASMSTART
	v_dot2_f32_f16 v100, v21, v33, v100
	;;#ASMEND
	;;#ASMSTART
	v_dot2_f32_f16 v100, v22, v34, v100
	;;#ASMEND
	;;#ASMSTART
	v_dot2_f32_f16 v100, v23, v35, v100
	;;#ASMEND
	;;#ASMSTART
	v_dot2_f32_f16 v102, v20, v36, v102
	;;#ASMEND
	;;#ASMSTART
	v_dot2_f32_f16 v102, v21, v37, v102
	;;#ASMEND
	;;#ASMSTART
	v_dot2_f32_f16 v102, v22, v38, v102
	;;#ASMEND
	;;#ASMSTART
	v_dot2_f32_f16 v102, v23, v39, v102
	;;#ASMEND
	ds_load_b128 v[0:3], v68 offset:64
	ds_load_b128 v[4:7], v63 offset:192
	;; [unrolled: 1-line block ×10, first 2 shown]
	s_wait_dscnt 0x8
	;;#ASMSTART
	v_dot2_f32_f16 v112, v0, v4, v112
	;;#ASMEND
	;;#ASMSTART
	v_dot2_f32_f16 v112, v1, v5, v112
	;;#ASMEND
	;;#ASMSTART
	v_dot2_f32_f16 v112, v2, v6, v112
	;;#ASMEND
	;;#ASMSTART
	v_dot2_f32_f16 v112, v3, v7, v112
	;;#ASMEND
	s_wait_dscnt 0x7
	;;#ASMSTART
	v_dot2_f32_f16 v110, v0, v8, v110
	;;#ASMEND
	;;#ASMSTART
	v_dot2_f32_f16 v110, v1, v9, v110
	;;#ASMEND
	;;#ASMSTART
	v_dot2_f32_f16 v110, v2, v10, v110
	;;#ASMEND
	;;#ASMSTART
	v_dot2_f32_f16 v110, v3, v11, v110
	;;#ASMEND
	;; [unrolled: 13-line block ×8, first 2 shown]
	;;#ASMSTART
	v_dot2_f32_f16 v114, v20, v4, v114
	;;#ASMEND
	;;#ASMSTART
	v_dot2_f32_f16 v114, v21, v5, v114
	;;#ASMEND
	;; [unrolled: 3-line block ×32, first 2 shown]
	ds_load_b128 v[0:3], v68 offset:80
	ds_load_b128 v[4:7], v63 offset:208
	;; [unrolled: 1-line block ×10, first 2 shown]
	s_wait_dscnt 0x8
	;;#ASMSTART
	v_dot2_f32_f16 v112, v0, v4, v112
	;;#ASMEND
	;;#ASMSTART
	v_dot2_f32_f16 v112, v1, v5, v112
	;;#ASMEND
	;;#ASMSTART
	v_dot2_f32_f16 v112, v2, v6, v112
	;;#ASMEND
	;;#ASMSTART
	v_dot2_f32_f16 v112, v3, v7, v112
	;;#ASMEND
	s_wait_dscnt 0x7
	;;#ASMSTART
	v_dot2_f32_f16 v110, v0, v8, v110
	;;#ASMEND
	;;#ASMSTART
	v_dot2_f32_f16 v110, v1, v9, v110
	;;#ASMEND
	;;#ASMSTART
	v_dot2_f32_f16 v110, v2, v10, v110
	;;#ASMEND
	;;#ASMSTART
	v_dot2_f32_f16 v110, v3, v11, v110
	;;#ASMEND
	s_wait_dscnt 0x6
	;;#ASMSTART
	v_dot2_f32_f16 v108, v0, v12, v108
	;;#ASMEND
	;;#ASMSTART
	v_dot2_f32_f16 v108, v1, v13, v108
	;;#ASMEND
	;;#ASMSTART
	v_dot2_f32_f16 v108, v2, v14, v108
	;;#ASMEND
	;;#ASMSTART
	v_dot2_f32_f16 v108, v3, v15, v108
	;;#ASMEND
	s_wait_dscnt 0x5
	;;#ASMSTART
	v_dot2_f32_f16 v106, v0, v16, v106
	;;#ASMEND
	;;#ASMSTART
	v_dot2_f32_f16 v106, v1, v17, v106
	;;#ASMEND
	;;#ASMSTART
	v_dot2_f32_f16 v106, v2, v18, v106
	;;#ASMEND
	;;#ASMSTART
	v_dot2_f32_f16 v106, v3, v19, v106
	;;#ASMEND
	s_wait_dscnt 0x3
	;;#ASMSTART
	v_dot2_f32_f16 v104, v0, v24, v104
	;;#ASMEND
	;;#ASMSTART
	v_dot2_f32_f16 v104, v1, v25, v104
	;;#ASMEND
	;;#ASMSTART
	v_dot2_f32_f16 v104, v2, v26, v104
	;;#ASMEND
	;;#ASMSTART
	v_dot2_f32_f16 v104, v3, v27, v104
	;;#ASMEND
	s_wait_dscnt 0x2
	;;#ASMSTART
	v_dot2_f32_f16 v103, v0, v28, v103
	;;#ASMEND
	;;#ASMSTART
	v_dot2_f32_f16 v103, v1, v29, v103
	;;#ASMEND
	;;#ASMSTART
	v_dot2_f32_f16 v103, v2, v30, v103
	;;#ASMEND
	;;#ASMSTART
	v_dot2_f32_f16 v103, v3, v31, v103
	;;#ASMEND
	s_wait_dscnt 0x1
	;;#ASMSTART
	v_dot2_f32_f16 v99, v0, v32, v99
	;;#ASMEND
	;;#ASMSTART
	v_dot2_f32_f16 v99, v1, v33, v99
	;;#ASMEND
	;;#ASMSTART
	v_dot2_f32_f16 v99, v2, v34, v99
	;;#ASMEND
	;;#ASMSTART
	v_dot2_f32_f16 v99, v3, v35, v99
	;;#ASMEND
	s_wait_dscnt 0x0
	;;#ASMSTART
	v_dot2_f32_f16 v101, v0, v36, v101
	;;#ASMEND
	;;#ASMSTART
	v_dot2_f32_f16 v101, v1, v37, v101
	;;#ASMEND
	;;#ASMSTART
	v_dot2_f32_f16 v101, v2, v38, v101
	;;#ASMEND
	;;#ASMSTART
	v_dot2_f32_f16 v101, v3, v39, v101
	;;#ASMEND
	;;#ASMSTART
	v_dot2_f32_f16 v114, v20, v4, v114
	;;#ASMEND
	;;#ASMSTART
	v_dot2_f32_f16 v114, v21, v5, v114
	;;#ASMEND
	;; [unrolled: 3-line block ×32, first 2 shown]
	ds_load_b128 v[0:3], v68 offset:96
	ds_load_b128 v[4:7], v63 offset:224
	ds_load_b128 v[8:11], v63 offset:480
	ds_load_b128 v[12:15], v63 offset:736
	ds_load_b128 v[16:19], v63 offset:992
	ds_load_b128 v[20:23], v68 offset:4704
	ds_load_b128 v[24:27], v63 offset:1248
	ds_load_b128 v[28:31], v63 offset:1504
	ds_load_b128 v[32:35], v63 offset:1760
	ds_load_b128 v[36:39], v63 offset:2016
	s_wait_dscnt 0x8
	;;#ASMSTART
	v_dot2_f32_f16 v112, v0, v4, v112
	;;#ASMEND
	;;#ASMSTART
	v_dot2_f32_f16 v112, v1, v5, v112
	;;#ASMEND
	;;#ASMSTART
	v_dot2_f32_f16 v112, v2, v6, v112
	;;#ASMEND
	;;#ASMSTART
	v_dot2_f32_f16 v112, v3, v7, v112
	;;#ASMEND
	s_wait_dscnt 0x7
	;;#ASMSTART
	v_dot2_f32_f16 v110, v0, v8, v110
	;;#ASMEND
	;;#ASMSTART
	v_dot2_f32_f16 v110, v1, v9, v110
	;;#ASMEND
	;;#ASMSTART
	v_dot2_f32_f16 v110, v2, v10, v110
	;;#ASMEND
	;;#ASMSTART
	v_dot2_f32_f16 v110, v3, v11, v110
	;;#ASMEND
	s_wait_dscnt 0x6
	;;#ASMSTART
	v_dot2_f32_f16 v108, v0, v12, v108
	;;#ASMEND
	;;#ASMSTART
	v_dot2_f32_f16 v108, v1, v13, v108
	;;#ASMEND
	;;#ASMSTART
	v_dot2_f32_f16 v108, v2, v14, v108
	;;#ASMEND
	;;#ASMSTART
	v_dot2_f32_f16 v108, v3, v15, v108
	;;#ASMEND
	s_wait_dscnt 0x5
	;;#ASMSTART
	v_dot2_f32_f16 v106, v0, v16, v106
	;;#ASMEND
	;;#ASMSTART
	v_dot2_f32_f16 v106, v1, v17, v106
	;;#ASMEND
	;;#ASMSTART
	v_dot2_f32_f16 v106, v2, v18, v106
	;;#ASMEND
	;;#ASMSTART
	v_dot2_f32_f16 v106, v3, v19, v106
	;;#ASMEND
	s_wait_dscnt 0x3
	;;#ASMSTART
	v_dot2_f32_f16 v104, v0, v24, v104
	;;#ASMEND
	;;#ASMSTART
	v_dot2_f32_f16 v104, v1, v25, v104
	;;#ASMEND
	;;#ASMSTART
	v_dot2_f32_f16 v104, v2, v26, v104
	;;#ASMEND
	;;#ASMSTART
	v_dot2_f32_f16 v104, v3, v27, v104
	;;#ASMEND
	s_wait_dscnt 0x2
	;;#ASMSTART
	v_dot2_f32_f16 v103, v0, v28, v103
	;;#ASMEND
	;;#ASMSTART
	v_dot2_f32_f16 v103, v1, v29, v103
	;;#ASMEND
	;;#ASMSTART
	v_dot2_f32_f16 v103, v2, v30, v103
	;;#ASMEND
	;;#ASMSTART
	v_dot2_f32_f16 v103, v3, v31, v103
	;;#ASMEND
	s_wait_dscnt 0x1
	;;#ASMSTART
	v_dot2_f32_f16 v99, v0, v32, v99
	;;#ASMEND
	;;#ASMSTART
	v_dot2_f32_f16 v99, v1, v33, v99
	;;#ASMEND
	;;#ASMSTART
	v_dot2_f32_f16 v99, v2, v34, v99
	;;#ASMEND
	;;#ASMSTART
	v_dot2_f32_f16 v99, v3, v35, v99
	;;#ASMEND
	s_wait_dscnt 0x0
	;;#ASMSTART
	v_dot2_f32_f16 v101, v0, v36, v101
	;;#ASMEND
	;;#ASMSTART
	v_dot2_f32_f16 v101, v1, v37, v101
	;;#ASMEND
	;;#ASMSTART
	v_dot2_f32_f16 v101, v2, v38, v101
	;;#ASMEND
	;;#ASMSTART
	v_dot2_f32_f16 v101, v3, v39, v101
	;;#ASMEND
	;;#ASMSTART
	v_dot2_f32_f16 v114, v20, v4, v114
	;;#ASMEND
	;;#ASMSTART
	v_dot2_f32_f16 v114, v21, v5, v114
	;;#ASMEND
	;; [unrolled: 3-line block ×32, first 2 shown]
	ds_load_b128 v[4:7], v68 offset:112
	ds_load_b128 v[8:11], v63 offset:240
	;; [unrolled: 1-line block ×10, first 2 shown]
	s_wait_dscnt 0x8
	;;#ASMSTART
	v_dot2_f32_f16 v112, v4, v8, v112
	;;#ASMEND
	;;#ASMSTART
	v_dot2_f32_f16 v112, v5, v9, v112
	;;#ASMEND
	;;#ASMSTART
	v_dot2_f32_f16 v112, v6, v10, v112
	;;#ASMEND
	;;#ASMSTART
	v_dot2_f32_f16 v112, v7, v11, v112
	;;#ASMEND
	s_wait_dscnt 0x7
	;;#ASMSTART
	v_dot2_f32_f16 v110, v4, v12, v110
	;;#ASMEND
	;;#ASMSTART
	v_dot2_f32_f16 v110, v5, v13, v110
	;;#ASMEND
	;;#ASMSTART
	v_dot2_f32_f16 v110, v6, v14, v110
	;;#ASMEND
	;;#ASMSTART
	v_dot2_f32_f16 v110, v7, v15, v110
	;;#ASMEND
	;; [unrolled: 13-line block ×8, first 2 shown]
	;;#ASMSTART
	v_dot2_f32_f16 v114, v0, v8, v114
	;;#ASMEND
	;;#ASMSTART
	v_dot2_f32_f16 v114, v1, v9, v114
	;;#ASMEND
	;; [unrolled: 3-line block ×25, first 2 shown]
	v_cmp_ngt_f32_e64 s24, 0x3f200000, |v112|
	;;#ASMSTART
	v_dot2_f32_f16 v100, v1, v33, v100
	;;#ASMEND
	;;#ASMSTART
	v_dot2_f32_f16 v100, v2, v34, v100
	;;#ASMEND
	;; [unrolled: 3-line block ×7, first 2 shown]
                                        ; implicit-def: $vgpr2
	s_and_saveexec_b32 s25, s24
	s_delay_alu instid0(SALU_CYCLE_1)
	s_xor_b32 s24, exec_lo, s25
	s_cbranch_execz .LBB71_11
; %bb.10:                               ;   in Loop: Header=BB71_9 Depth=1
	v_add_f32_e64 v0, |v112|, |v112|
	s_delay_alu instid0(VALU_DEP_1) | instskip(SKIP_1) | instid1(VALU_DEP_2)
	v_mul_f32_e32 v1, 0x3fb8aa3b, v0
	v_cmp_ngt_f32_e32 vcc_lo, 0xc2ce8ed0, v0
	v_rndne_f32_e32 v2, v1
	v_fma_f32 v3, 0x3fb8aa3b, v0, -v1
	s_delay_alu instid0(VALU_DEP_2) | instskip(NEXT) | instid1(VALU_DEP_2)
	v_sub_f32_e32 v1, v1, v2
	v_fmac_f32_e32 v3, 0x32a5705f, v0
	v_cvt_i32_f32_e32 v2, v2
	s_delay_alu instid0(VALU_DEP_2) | instskip(NEXT) | instid1(VALU_DEP_1)
	v_add_f32_e32 v1, v1, v3
	v_exp_f32_e32 v1, v1
	v_nop
	s_delay_alu instid0(TRANS32_DEP_1) | instskip(NEXT) | instid1(VALU_DEP_1)
	v_ldexp_f32 v1, v1, v2
	v_cndmask_b32_e32 v1, 0, v1, vcc_lo
	v_cmp_nlt_f32_e32 vcc_lo, 0x42b17218, v0
	s_delay_alu instid0(VALU_DEP_2) | instskip(NEXT) | instid1(VALU_DEP_1)
	v_cndmask_b32_e32 v0, 0x7f800000, v1, vcc_lo
	v_add_f32_e32 v0, 1.0, v0
	s_delay_alu instid0(VALU_DEP_1) | instskip(SKIP_1) | instid1(TRANS32_DEP_1)
	v_rcp_f32_e32 v0, v0
	v_nop
	v_fma_f32 v2, v0, -2.0, 1.0
.LBB71_11:                              ;   in Loop: Header=BB71_9 Depth=1
	s_and_not1_saveexec_b32 s24, s24
	s_cbranch_execz .LBB71_13
; %bb.12:                               ;   in Loop: Header=BB71_9 Depth=1
	v_mul_f32_e32 v0, v112, v112
	s_delay_alu instid0(VALU_DEP_1) | instskip(NEXT) | instid1(VALU_DEP_1)
	v_fmaak_f32 v1, s3, v0, 0x3ca908c9
	v_fmaak_f32 v1, v0, v1, 0xbd5c1c4e
	s_delay_alu instid0(VALU_DEP_1) | instskip(NEXT) | instid1(VALU_DEP_1)
	v_fmaak_f32 v1, v0, v1, 0x3e088382
	v_fmaak_f32 v1, v0, v1, 0xbeaaaa99
	s_delay_alu instid0(VALU_DEP_1) | instskip(NEXT) | instid1(VALU_DEP_1)
	v_mul_f32_e64 v1, |v112|, v1
	v_fma_f32 v2, v0, v1, |v112|
.LBB71_13:                              ;   in Loop: Header=BB71_9 Depth=1
	s_or_b32 exec_lo, exec_lo, s24
	v_add_nc_u32_e32 v0, s4, v69
	v_cmp_ngt_f32_e64 s24, 0x3f200000, |v114|
                                        ; implicit-def: $vgpr5
	global_load_u16 v3, v0, s[34:35] scale_offset
	s_wait_xcnt 0x0
	s_and_saveexec_b32 s25, s24
	s_delay_alu instid0(SALU_CYCLE_1)
	s_xor_b32 s24, exec_lo, s25
	s_cbranch_execz .LBB71_15
; %bb.14:                               ;   in Loop: Header=BB71_9 Depth=1
	v_add_f32_e64 v1, |v114|, |v114|
	s_delay_alu instid0(VALU_DEP_1) | instskip(SKIP_1) | instid1(VALU_DEP_2)
	v_mul_f32_e32 v4, 0x3fb8aa3b, v1
	v_cmp_ngt_f32_e32 vcc_lo, 0xc2ce8ed0, v1
	v_rndne_f32_e32 v5, v4
	v_fma_f32 v6, 0x3fb8aa3b, v1, -v4
	s_delay_alu instid0(VALU_DEP_2) | instskip(NEXT) | instid1(VALU_DEP_2)
	v_sub_f32_e32 v4, v4, v5
	v_fmac_f32_e32 v6, 0x32a5705f, v1
	v_cvt_i32_f32_e32 v5, v5
	s_delay_alu instid0(VALU_DEP_2) | instskip(NEXT) | instid1(VALU_DEP_1)
	v_add_f32_e32 v4, v4, v6
	v_exp_f32_e32 v4, v4
	v_nop
	s_delay_alu instid0(TRANS32_DEP_1) | instskip(NEXT) | instid1(VALU_DEP_1)
	v_ldexp_f32 v4, v4, v5
	v_cndmask_b32_e32 v4, 0, v4, vcc_lo
	v_cmp_nlt_f32_e32 vcc_lo, 0x42b17218, v1
	s_delay_alu instid0(VALU_DEP_2) | instskip(NEXT) | instid1(VALU_DEP_1)
	v_cndmask_b32_e32 v1, 0x7f800000, v4, vcc_lo
	v_add_f32_e32 v1, 1.0, v1
	s_delay_alu instid0(VALU_DEP_1) | instskip(SKIP_1) | instid1(TRANS32_DEP_1)
	v_rcp_f32_e32 v1, v1
	v_nop
	v_fma_f32 v5, v1, -2.0, 1.0
.LBB71_15:                              ;   in Loop: Header=BB71_9 Depth=1
	s_and_not1_saveexec_b32 s24, s24
	s_cbranch_execz .LBB71_17
; %bb.16:                               ;   in Loop: Header=BB71_9 Depth=1
	v_mul_f32_e32 v1, v114, v114
	s_delay_alu instid0(VALU_DEP_1) | instskip(NEXT) | instid1(VALU_DEP_1)
	v_fmaak_f32 v4, s3, v1, 0x3ca908c9
	v_fmaak_f32 v4, v1, v4, 0xbd5c1c4e
	s_delay_alu instid0(VALU_DEP_1) | instskip(NEXT) | instid1(VALU_DEP_1)
	v_fmaak_f32 v4, v1, v4, 0x3e088382
	v_fmaak_f32 v4, v1, v4, 0xbeaaaa99
	s_delay_alu instid0(VALU_DEP_1) | instskip(NEXT) | instid1(VALU_DEP_1)
	v_mul_f32_e64 v4, |v114|, v4
	v_fma_f32 v5, v1, v4, |v114|
.LBB71_17:                              ;   in Loop: Header=BB71_9 Depth=1
	s_or_b32 exec_lo, exec_lo, s24
	v_dual_ashrrev_i32 v1, 31, v0 :: v_dual_bitop2_b32 v32, 16, v65 bitop3:0x14
	v_xor_b32_e32 v30, 4, v65
	v_cmp_ngt_f32_e64 s24, 0x3f200000, |v110|
	v_xor_b32_e32 v31, 8, v65
	s_delay_alu instid0(VALU_DEP_4)
	v_lshl_add_u64 v[0:1], v[0:1], 1, s[34:35]
	v_cmp_gt_i32_e32 vcc_lo, 32, v32
	global_load_u16 v4, v[0:1], off offset:64
	s_wait_xcnt 0x0
	v_bfi_b32 v0, 0x7fffffff, v2, v112
	v_bfi_b32 v1, 0x7fffffff, v5, v114
	s_wait_loadcnt 0x1
	s_delay_alu instid0(VALU_DEP_2) | instskip(SKIP_2) | instid1(VALU_DEP_2)
	v_fma_mix_f32 v9, s26, v0, v3 op_sel_hi:[0,0,1]
	v_cndmask_b32_e32 v0, v65, v32, vcc_lo
	v_cmp_gt_i32_e32 vcc_lo, 32, v31
	v_dual_cndmask_b32 v5, v65, v31 :: v_dual_lshlrev_b32 v0, 2, v0
	v_cmp_gt_i32_e32 vcc_lo, 32, v30
	s_delay_alu instid0(VALU_DEP_2) | instskip(SKIP_2) | instid1(VALU_DEP_1)
	v_dual_cndmask_b32 v5, v65, v30 :: v_dual_lshlrev_b32 v10, 2, v5
	s_wait_loadcnt 0x0
	v_fma_mix_f32 v11, s26, v1, v4 op_sel_hi:[0,0,1]
	v_dual_add_f32 v1, 0x40051340, v9 :: v_dual_add_f32 v2, 0x40051340, v11
	s_delay_alu instid0(VALU_DEP_1) | instskip(SKIP_3) | instid1(VALU_DEP_1)
	v_max3_num_f32 v1, v96, v1, v2
	ds_bpermute_b32 v2, v0, v1
	s_wait_dscnt 0x0
	v_max_num_f32_e32 v2, v2, v2
	v_max_num_f32_e32 v1, v1, v2
	ds_bpermute_b32 v2, v10, v1
	s_wait_dscnt 0x0
	v_dual_max_num_f32 v2, v2, v2 :: v_dual_lshlrev_b32 v8, 2, v5
	s_delay_alu instid0(VALU_DEP_1) | instskip(SKIP_3) | instid1(VALU_DEP_1)
	v_max_num_f32_e32 v1, v1, v2
	ds_bpermute_b32 v2, v8, v1
	s_wait_dscnt 0x0
	v_dual_max_num_f32 v2, v2, v2 :: v_dual_bitop2_b32 v29, 2, v65 bitop3:0x14
	v_cmp_gt_i32_e32 vcc_lo, 32, v29
	s_delay_alu instid0(VALU_DEP_2) | instskip(SKIP_1) | instid1(VALU_DEP_1)
	v_max_num_f32_e32 v1, v1, v2
	v_cndmask_b32_e32 v5, v65, v29, vcc_lo
	v_lshlrev_b32_e32 v16, 2, v5
	ds_bpermute_b32 v2, v16, v1
	s_wait_dscnt 0x0
	v_dual_max_num_f32 v2, v2, v2 :: v_dual_bitop2_b32 v28, 1, v65 bitop3:0x14
	s_delay_alu instid0(VALU_DEP_1) | instskip(NEXT) | instid1(VALU_DEP_2)
	v_max_num_f32_e32 v1, v1, v2
	v_cmp_gt_i32_e32 vcc_lo, 32, v28
	v_cndmask_b32_e32 v5, v65, v28, vcc_lo
	s_delay_alu instid0(VALU_DEP_1) | instskip(SKIP_2) | instid1(SALU_CYCLE_1)
	v_lshlrev_b32_e32 v7, 2, v5
                                        ; implicit-def: $vgpr5
	ds_bpermute_b32 v2, v7, v1
	s_and_saveexec_b32 s25, s24
	s_xor_b32 s24, exec_lo, s25
	s_cbranch_execz .LBB71_19
; %bb.18:                               ;   in Loop: Header=BB71_9 Depth=1
	v_add_f32_e64 v5, |v110|, |v110|
	s_delay_alu instid0(VALU_DEP_1) | instskip(SKIP_1) | instid1(VALU_DEP_2)
	v_mul_f32_e32 v6, 0x3fb8aa3b, v5
	v_cmp_ngt_f32_e32 vcc_lo, 0xc2ce8ed0, v5
	v_rndne_f32_e32 v12, v6
	v_fma_f32 v13, 0x3fb8aa3b, v5, -v6
	s_delay_alu instid0(VALU_DEP_1) | instskip(SKIP_1) | instid1(VALU_DEP_2)
	v_dual_sub_f32 v6, v6, v12 :: v_dual_fmac_f32 v13, 0x32a5705f, v5
	v_cvt_i32_f32_e32 v12, v12
	v_add_f32_e32 v6, v6, v13
	s_delay_alu instid0(VALU_DEP_1) | instskip(SKIP_1) | instid1(TRANS32_DEP_1)
	v_exp_f32_e32 v6, v6
	v_nop
	v_ldexp_f32 v6, v6, v12
	s_delay_alu instid0(VALU_DEP_1) | instskip(SKIP_1) | instid1(VALU_DEP_2)
	v_cndmask_b32_e32 v6, 0, v6, vcc_lo
	v_cmp_nlt_f32_e32 vcc_lo, 0x42b17218, v5
	v_cndmask_b32_e32 v5, 0x7f800000, v6, vcc_lo
	s_delay_alu instid0(VALU_DEP_1) | instskip(NEXT) | instid1(VALU_DEP_1)
	v_add_f32_e32 v5, 1.0, v5
	v_rcp_f32_e32 v5, v5
	v_nop
	s_delay_alu instid0(TRANS32_DEP_1)
	v_fma_f32 v5, v5, -2.0, 1.0
.LBB71_19:                              ;   in Loop: Header=BB71_9 Depth=1
	s_and_not1_saveexec_b32 s24, s24
	s_cbranch_execz .LBB71_21
; %bb.20:                               ;   in Loop: Header=BB71_9 Depth=1
	v_mul_f32_e32 v5, v110, v110
	s_delay_alu instid0(VALU_DEP_1) | instskip(NEXT) | instid1(VALU_DEP_1)
	v_fmaak_f32 v6, s3, v5, 0x3ca908c9
	v_fmaak_f32 v6, v5, v6, 0xbd5c1c4e
	s_delay_alu instid0(VALU_DEP_1) | instskip(NEXT) | instid1(VALU_DEP_1)
	v_fmaak_f32 v6, v5, v6, 0x3e088382
	v_fmaak_f32 v6, v5, v6, 0xbeaaaa99
	s_delay_alu instid0(VALU_DEP_1) | instskip(NEXT) | instid1(VALU_DEP_1)
	v_mul_f32_e64 v6, |v110|, v6
	v_fma_f32 v5, v5, v6, |v110|
.LBB71_21:                              ;   in Loop: Header=BB71_9 Depth=1
	s_or_b32 exec_lo, exec_lo, s24
	v_cmp_ngt_f32_e64 s24, 0x3f200000, |v113|
                                        ; implicit-def: $vgpr6
	s_and_saveexec_b32 s25, s24
	s_delay_alu instid0(SALU_CYCLE_1)
	s_xor_b32 s24, exec_lo, s25
	s_cbranch_execz .LBB71_23
; %bb.22:                               ;   in Loop: Header=BB71_9 Depth=1
	v_add_f32_e64 v6, |v113|, |v113|
	s_delay_alu instid0(VALU_DEP_1) | instskip(SKIP_1) | instid1(VALU_DEP_2)
	v_mul_f32_e32 v12, 0x3fb8aa3b, v6
	v_cmp_ngt_f32_e32 vcc_lo, 0xc2ce8ed0, v6
	v_rndne_f32_e32 v13, v12
	v_fma_f32 v14, 0x3fb8aa3b, v6, -v12
	s_delay_alu instid0(VALU_DEP_2) | instskip(NEXT) | instid1(VALU_DEP_2)
	v_sub_f32_e32 v12, v12, v13
	v_fmac_f32_e32 v14, 0x32a5705f, v6
	v_cvt_i32_f32_e32 v13, v13
	s_delay_alu instid0(VALU_DEP_2) | instskip(NEXT) | instid1(VALU_DEP_1)
	v_add_f32_e32 v12, v12, v14
	v_exp_f32_e32 v12, v12
	v_nop
	s_delay_alu instid0(TRANS32_DEP_1) | instskip(NEXT) | instid1(VALU_DEP_1)
	v_ldexp_f32 v12, v12, v13
	v_cndmask_b32_e32 v12, 0, v12, vcc_lo
	v_cmp_nlt_f32_e32 vcc_lo, 0x42b17218, v6
	s_delay_alu instid0(VALU_DEP_2) | instskip(NEXT) | instid1(VALU_DEP_1)
	v_cndmask_b32_e32 v6, 0x7f800000, v12, vcc_lo
	v_add_f32_e32 v6, 1.0, v6
	s_delay_alu instid0(VALU_DEP_1) | instskip(SKIP_1) | instid1(TRANS32_DEP_1)
	v_rcp_f32_e32 v6, v6
	v_nop
	v_fma_f32 v6, v6, -2.0, 1.0
.LBB71_23:                              ;   in Loop: Header=BB71_9 Depth=1
	s_and_not1_saveexec_b32 s24, s24
	s_cbranch_execz .LBB71_25
; %bb.24:                               ;   in Loop: Header=BB71_9 Depth=1
	v_mul_f32_e32 v6, v113, v113
	s_delay_alu instid0(VALU_DEP_1) | instskip(NEXT) | instid1(VALU_DEP_1)
	v_fmaak_f32 v12, s3, v6, 0x3ca908c9
	v_fmaak_f32 v12, v6, v12, 0xbd5c1c4e
	s_delay_alu instid0(VALU_DEP_1) | instskip(NEXT) | instid1(VALU_DEP_1)
	v_fmaak_f32 v12, v6, v12, 0x3e088382
	v_fmaak_f32 v12, v6, v12, 0xbeaaaa99
	s_delay_alu instid0(VALU_DEP_1) | instskip(NEXT) | instid1(VALU_DEP_1)
	v_mul_f32_e64 v12, |v113|, v12
	v_fma_f32 v6, v6, v12, |v113|
.LBB71_25:                              ;   in Loop: Header=BB71_9 Depth=1
	s_or_b32 exec_lo, exec_lo, s24
	v_cvt_f32_f16_e32 v34, v3
	v_cvt_f32_f16_e32 v33, v4
	v_bfi_b32 v3, 0x7fffffff, v5, v110
	v_bfi_b32 v4, 0x7fffffff, v6, v113
	v_cmp_ngt_f32_e64 s24, 0x3f200000, |v108|
                                        ; implicit-def: $vgpr5
	s_delay_alu instid0(VALU_DEP_2) | instskip(NEXT) | instid1(VALU_DEP_1)
	v_dual_fma_f32 v13, s26, v3, v34 :: v_dual_fma_f32 v12, s26, v4, v33
	v_dual_add_f32 v3, 0x40051340, v13 :: v_dual_add_f32 v4, 0x40051340, v12
	s_delay_alu instid0(VALU_DEP_1) | instskip(SKIP_3) | instid1(VALU_DEP_1)
	v_max3_num_f32 v3, v98, v3, v4
	ds_bpermute_b32 v4, v0, v3
	s_wait_dscnt 0x0
	v_max_num_f32_e32 v4, v4, v4
	v_max_num_f32_e32 v3, v3, v4
	ds_bpermute_b32 v4, v10, v3
	s_wait_dscnt 0x0
	v_max_num_f32_e32 v4, v4, v4
	s_delay_alu instid0(VALU_DEP_1) | instskip(SKIP_3) | instid1(VALU_DEP_1)
	v_max_num_f32_e32 v3, v3, v4
	ds_bpermute_b32 v4, v8, v3
	s_wait_dscnt 0x0
	v_max_num_f32_e32 v4, v4, v4
	v_max_num_f32_e32 v3, v3, v4
	ds_bpermute_b32 v4, v16, v3
	s_wait_dscnt 0x0
	v_max_num_f32_e32 v4, v4, v4
	s_delay_alu instid0(VALU_DEP_1) | instskip(SKIP_2) | instid1(SALU_CYCLE_1)
	v_max_num_f32_e32 v3, v3, v4
	ds_bpermute_b32 v4, v7, v3
	s_and_saveexec_b32 s25, s24
	s_xor_b32 s24, exec_lo, s25
	s_cbranch_execz .LBB71_27
; %bb.26:                               ;   in Loop: Header=BB71_9 Depth=1
	v_add_f32_e64 v5, |v108|, |v108|
	s_delay_alu instid0(VALU_DEP_1) | instskip(SKIP_1) | instid1(VALU_DEP_2)
	v_mul_f32_e32 v6, 0x3fb8aa3b, v5
	v_cmp_ngt_f32_e32 vcc_lo, 0xc2ce8ed0, v5
	v_rndne_f32_e32 v14, v6
	v_fma_f32 v15, 0x3fb8aa3b, v5, -v6
	s_delay_alu instid0(VALU_DEP_1) | instskip(SKIP_1) | instid1(VALU_DEP_2)
	v_dual_sub_f32 v6, v6, v14 :: v_dual_fmac_f32 v15, 0x32a5705f, v5
	v_cvt_i32_f32_e32 v14, v14
	v_add_f32_e32 v6, v6, v15
	s_delay_alu instid0(VALU_DEP_1) | instskip(SKIP_1) | instid1(TRANS32_DEP_1)
	v_exp_f32_e32 v6, v6
	v_nop
	v_ldexp_f32 v6, v6, v14
	s_delay_alu instid0(VALU_DEP_1) | instskip(SKIP_1) | instid1(VALU_DEP_2)
	v_cndmask_b32_e32 v6, 0, v6, vcc_lo
	v_cmp_nlt_f32_e32 vcc_lo, 0x42b17218, v5
	v_cndmask_b32_e32 v5, 0x7f800000, v6, vcc_lo
	s_delay_alu instid0(VALU_DEP_1) | instskip(NEXT) | instid1(VALU_DEP_1)
	v_add_f32_e32 v5, 1.0, v5
	v_rcp_f32_e32 v5, v5
	v_nop
	s_delay_alu instid0(TRANS32_DEP_1)
	v_fma_f32 v5, v5, -2.0, 1.0
.LBB71_27:                              ;   in Loop: Header=BB71_9 Depth=1
	s_and_not1_saveexec_b32 s24, s24
	s_cbranch_execz .LBB71_29
; %bb.28:                               ;   in Loop: Header=BB71_9 Depth=1
	v_mul_f32_e32 v5, v108, v108
	s_delay_alu instid0(VALU_DEP_1) | instskip(NEXT) | instid1(VALU_DEP_1)
	v_fmaak_f32 v6, s3, v5, 0x3ca908c9
	v_fmaak_f32 v6, v5, v6, 0xbd5c1c4e
	s_delay_alu instid0(VALU_DEP_1) | instskip(NEXT) | instid1(VALU_DEP_1)
	v_fmaak_f32 v6, v5, v6, 0x3e088382
	v_fmaak_f32 v6, v5, v6, 0xbeaaaa99
	s_delay_alu instid0(VALU_DEP_1) | instskip(NEXT) | instid1(VALU_DEP_1)
	v_mul_f32_e64 v6, |v108|, v6
	v_fma_f32 v5, v5, v6, |v108|
.LBB71_29:                              ;   in Loop: Header=BB71_9 Depth=1
	s_or_b32 exec_lo, exec_lo, s24
	v_cmp_ngt_f32_e64 s24, 0x3f200000, |v111|
                                        ; implicit-def: $vgpr6
	s_and_saveexec_b32 s25, s24
	s_delay_alu instid0(SALU_CYCLE_1)
	s_xor_b32 s24, exec_lo, s25
	s_cbranch_execz .LBB71_31
; %bb.30:                               ;   in Loop: Header=BB71_9 Depth=1
	v_add_f32_e64 v6, |v111|, |v111|
	s_delay_alu instid0(VALU_DEP_1) | instskip(SKIP_1) | instid1(VALU_DEP_2)
	v_mul_f32_e32 v14, 0x3fb8aa3b, v6
	v_cmp_ngt_f32_e32 vcc_lo, 0xc2ce8ed0, v6
	v_rndne_f32_e32 v15, v14
	v_fma_f32 v17, 0x3fb8aa3b, v6, -v14
	s_delay_alu instid0(VALU_DEP_1) | instskip(SKIP_1) | instid1(VALU_DEP_2)
	v_dual_sub_f32 v14, v14, v15 :: v_dual_fmac_f32 v17, 0x32a5705f, v6
	v_cvt_i32_f32_e32 v15, v15
	v_add_f32_e32 v14, v14, v17
	s_delay_alu instid0(VALU_DEP_1) | instskip(SKIP_1) | instid1(TRANS32_DEP_1)
	v_exp_f32_e32 v14, v14
	v_nop
	v_ldexp_f32 v14, v14, v15
	s_delay_alu instid0(VALU_DEP_1) | instskip(SKIP_1) | instid1(VALU_DEP_2)
	v_cndmask_b32_e32 v14, 0, v14, vcc_lo
	v_cmp_nlt_f32_e32 vcc_lo, 0x42b17218, v6
	v_cndmask_b32_e32 v6, 0x7f800000, v14, vcc_lo
	s_delay_alu instid0(VALU_DEP_1) | instskip(NEXT) | instid1(VALU_DEP_1)
	v_add_f32_e32 v6, 1.0, v6
	v_rcp_f32_e32 v6, v6
	v_nop
	s_delay_alu instid0(TRANS32_DEP_1)
	v_fma_f32 v6, v6, -2.0, 1.0
.LBB71_31:                              ;   in Loop: Header=BB71_9 Depth=1
	s_and_not1_saveexec_b32 s24, s24
	s_cbranch_execz .LBB71_33
; %bb.32:                               ;   in Loop: Header=BB71_9 Depth=1
	v_mul_f32_e32 v6, v111, v111
	s_delay_alu instid0(VALU_DEP_1) | instskip(NEXT) | instid1(VALU_DEP_1)
	v_fmaak_f32 v14, s3, v6, 0x3ca908c9
	v_fmaak_f32 v14, v6, v14, 0xbd5c1c4e
	s_delay_alu instid0(VALU_DEP_1) | instskip(NEXT) | instid1(VALU_DEP_1)
	v_fmaak_f32 v14, v6, v14, 0x3e088382
	v_fmaak_f32 v14, v6, v14, 0xbeaaaa99
	s_delay_alu instid0(VALU_DEP_1) | instskip(NEXT) | instid1(VALU_DEP_1)
	v_mul_f32_e64 v14, |v111|, v14
	v_fma_f32 v6, v6, v14, |v111|
.LBB71_33:                              ;   in Loop: Header=BB71_9 Depth=1
	s_or_b32 exec_lo, exec_lo, s24
	v_bfi_b32 v5, 0x7fffffff, v5, v108
	s_delay_alu instid0(VALU_DEP_2) | instskip(SKIP_1) | instid1(VALU_DEP_2)
	v_bfi_b32 v6, 0x7fffffff, v6, v111
	v_cmp_ngt_f32_e64 s24, 0x3f200000, |v106|
                                        ; implicit-def: $vgpr17
	v_dual_fma_f32 v14, s26, v5, v34 :: v_dual_fma_f32 v15, s26, v6, v33
	s_delay_alu instid0(VALU_DEP_1) | instskip(NEXT) | instid1(VALU_DEP_1)
	v_dual_add_f32 v5, 0x40051340, v14 :: v_dual_add_f32 v6, 0x40051340, v15
	v_max3_num_f32 v5, v97, v5, v6
	ds_bpermute_b32 v6, v0, v5
	s_wait_dscnt 0x0
	v_max_num_f32_e32 v6, v6, v6
	s_delay_alu instid0(VALU_DEP_1) | instskip(SKIP_3) | instid1(VALU_DEP_1)
	v_max_num_f32_e32 v5, v5, v6
	ds_bpermute_b32 v6, v10, v5
	s_wait_dscnt 0x0
	v_max_num_f32_e32 v6, v6, v6
	v_max_num_f32_e32 v5, v5, v6
	ds_bpermute_b32 v6, v8, v5
	s_wait_dscnt 0x0
	v_max_num_f32_e32 v6, v6, v6
	s_delay_alu instid0(VALU_DEP_1) | instskip(SKIP_3) | instid1(VALU_DEP_1)
	v_max_num_f32_e32 v5, v5, v6
	ds_bpermute_b32 v6, v16, v5
	s_wait_dscnt 0x0
	v_max_num_f32_e32 v6, v6, v6
	v_max_num_f32_e32 v5, v5, v6
	ds_bpermute_b32 v6, v7, v5
	s_and_saveexec_b32 s25, s24
	s_delay_alu instid0(SALU_CYCLE_1)
	s_xor_b32 s24, exec_lo, s25
	s_cbranch_execz .LBB71_35
; %bb.34:                               ;   in Loop: Header=BB71_9 Depth=1
	v_add_f32_e64 v17, |v106|, |v106|
	s_delay_alu instid0(VALU_DEP_1) | instskip(SKIP_1) | instid1(VALU_DEP_2)
	v_mul_f32_e32 v18, 0x3fb8aa3b, v17
	v_cmp_ngt_f32_e32 vcc_lo, 0xc2ce8ed0, v17
	v_rndne_f32_e32 v19, v18
	v_fma_f32 v20, 0x3fb8aa3b, v17, -v18
	s_delay_alu instid0(VALU_DEP_2) | instskip(NEXT) | instid1(VALU_DEP_2)
	v_sub_f32_e32 v18, v18, v19
	v_fmac_f32_e32 v20, 0x32a5705f, v17
	v_cvt_i32_f32_e32 v19, v19
	s_delay_alu instid0(VALU_DEP_2) | instskip(NEXT) | instid1(VALU_DEP_1)
	v_add_f32_e32 v18, v18, v20
	v_exp_f32_e32 v18, v18
	v_nop
	s_delay_alu instid0(TRANS32_DEP_1) | instskip(NEXT) | instid1(VALU_DEP_1)
	v_ldexp_f32 v18, v18, v19
	v_cndmask_b32_e32 v18, 0, v18, vcc_lo
	v_cmp_nlt_f32_e32 vcc_lo, 0x42b17218, v17
	s_delay_alu instid0(VALU_DEP_2) | instskip(NEXT) | instid1(VALU_DEP_1)
	v_cndmask_b32_e32 v17, 0x7f800000, v18, vcc_lo
	v_add_f32_e32 v17, 1.0, v17
	s_delay_alu instid0(VALU_DEP_1) | instskip(SKIP_1) | instid1(TRANS32_DEP_1)
	v_rcp_f32_e32 v17, v17
	v_nop
	v_fma_f32 v17, v17, -2.0, 1.0
.LBB71_35:                              ;   in Loop: Header=BB71_9 Depth=1
	s_and_not1_saveexec_b32 s24, s24
	s_cbranch_execz .LBB71_37
; %bb.36:                               ;   in Loop: Header=BB71_9 Depth=1
	v_mul_f32_e32 v17, v106, v106
	s_delay_alu instid0(VALU_DEP_1) | instskip(NEXT) | instid1(VALU_DEP_1)
	v_fmaak_f32 v18, s3, v17, 0x3ca908c9
	v_fmaak_f32 v18, v17, v18, 0xbd5c1c4e
	s_delay_alu instid0(VALU_DEP_1) | instskip(NEXT) | instid1(VALU_DEP_1)
	v_fmaak_f32 v18, v17, v18, 0x3e088382
	v_fmaak_f32 v18, v17, v18, 0xbeaaaa99
	s_delay_alu instid0(VALU_DEP_1) | instskip(NEXT) | instid1(VALU_DEP_1)
	v_mul_f32_e64 v18, |v106|, v18
	v_fma_f32 v17, v17, v18, |v106|
.LBB71_37:                              ;   in Loop: Header=BB71_9 Depth=1
	s_or_b32 exec_lo, exec_lo, s24
	v_cmp_ngt_f32_e64 s24, 0x3f200000, |v109|
                                        ; implicit-def: $vgpr18
	s_and_saveexec_b32 s25, s24
	s_delay_alu instid0(SALU_CYCLE_1)
	s_xor_b32 s24, exec_lo, s25
	s_cbranch_execz .LBB71_39
; %bb.38:                               ;   in Loop: Header=BB71_9 Depth=1
	v_add_f32_e64 v18, |v109|, |v109|
	s_delay_alu instid0(VALU_DEP_1) | instskip(SKIP_1) | instid1(VALU_DEP_2)
	v_mul_f32_e32 v19, 0x3fb8aa3b, v18
	v_cmp_ngt_f32_e32 vcc_lo, 0xc2ce8ed0, v18
	v_rndne_f32_e32 v20, v19
	v_fma_f32 v21, 0x3fb8aa3b, v18, -v19
	s_delay_alu instid0(VALU_DEP_2) | instskip(NEXT) | instid1(VALU_DEP_2)
	v_sub_f32_e32 v19, v19, v20
	v_fmac_f32_e32 v21, 0x32a5705f, v18
	v_cvt_i32_f32_e32 v20, v20
	s_delay_alu instid0(VALU_DEP_2) | instskip(NEXT) | instid1(VALU_DEP_1)
	v_add_f32_e32 v19, v19, v21
	v_exp_f32_e32 v19, v19
	v_nop
	s_delay_alu instid0(TRANS32_DEP_1) | instskip(NEXT) | instid1(VALU_DEP_1)
	v_ldexp_f32 v19, v19, v20
	v_cndmask_b32_e32 v19, 0, v19, vcc_lo
	v_cmp_nlt_f32_e32 vcc_lo, 0x42b17218, v18
	s_delay_alu instid0(VALU_DEP_2) | instskip(NEXT) | instid1(VALU_DEP_1)
	v_cndmask_b32_e32 v18, 0x7f800000, v19, vcc_lo
	v_add_f32_e32 v18, 1.0, v18
	s_delay_alu instid0(VALU_DEP_1) | instskip(SKIP_1) | instid1(TRANS32_DEP_1)
	v_rcp_f32_e32 v18, v18
	v_nop
	v_fma_f32 v18, v18, -2.0, 1.0
.LBB71_39:                              ;   in Loop: Header=BB71_9 Depth=1
	s_and_not1_saveexec_b32 s24, s24
	s_cbranch_execz .LBB71_41
; %bb.40:                               ;   in Loop: Header=BB71_9 Depth=1
	v_mul_f32_e32 v18, v109, v109
	s_delay_alu instid0(VALU_DEP_1) | instskip(NEXT) | instid1(VALU_DEP_1)
	v_fmaak_f32 v19, s3, v18, 0x3ca908c9
	v_fmaak_f32 v19, v18, v19, 0xbd5c1c4e
	s_delay_alu instid0(VALU_DEP_1) | instskip(NEXT) | instid1(VALU_DEP_1)
	v_fmaak_f32 v19, v18, v19, 0x3e088382
	v_fmaak_f32 v19, v18, v19, 0xbeaaaa99
	s_delay_alu instid0(VALU_DEP_1) | instskip(NEXT) | instid1(VALU_DEP_1)
	v_mul_f32_e64 v19, |v109|, v19
	v_fma_f32 v18, v18, v19, |v109|
.LBB71_41:                              ;   in Loop: Header=BB71_9 Depth=1
	s_or_b32 exec_lo, exec_lo, s24
	v_bfi_b32 v17, 0x7fffffff, v17, v106
	s_delay_alu instid0(VALU_DEP_2) | instskip(SKIP_1) | instid1(VALU_DEP_2)
	v_bfi_b32 v18, 0x7fffffff, v18, v109
	v_cmp_ngt_f32_e64 s24, 0x3f200000, |v104|
                                        ; implicit-def: $vgpr19
	v_dual_fma_f32 v22, s26, v17, v34 :: v_dual_fma_f32 v23, s26, v18, v33
	s_delay_alu instid0(VALU_DEP_1) | instskip(NEXT) | instid1(VALU_DEP_1)
	v_dual_add_f32 v17, 0x40051340, v22 :: v_dual_add_f32 v18, 0x40051340, v23
	v_max3_num_f32 v17, v95, v17, v18
	ds_bpermute_b32 v18, v0, v17
	s_wait_dscnt 0x0
	v_max_num_f32_e32 v18, v18, v18
	s_delay_alu instid0(VALU_DEP_1) | instskip(SKIP_3) | instid1(VALU_DEP_1)
	v_max_num_f32_e32 v17, v17, v18
	ds_bpermute_b32 v18, v10, v17
	s_wait_dscnt 0x0
	v_max_num_f32_e32 v18, v18, v18
	v_max_num_f32_e32 v17, v17, v18
	ds_bpermute_b32 v18, v8, v17
	s_wait_dscnt 0x0
	v_max_num_f32_e32 v18, v18, v18
	s_delay_alu instid0(VALU_DEP_1) | instskip(SKIP_3) | instid1(VALU_DEP_1)
	v_max_num_f32_e32 v17, v17, v18
	ds_bpermute_b32 v18, v16, v17
	s_wait_dscnt 0x0
	v_max_num_f32_e32 v18, v18, v18
	v_max_num_f32_e32 v17, v17, v18
	ds_bpermute_b32 v18, v7, v17
	s_and_saveexec_b32 s25, s24
	s_delay_alu instid0(SALU_CYCLE_1)
	s_xor_b32 s24, exec_lo, s25
	s_cbranch_execz .LBB71_43
; %bb.42:                               ;   in Loop: Header=BB71_9 Depth=1
	v_add_f32_e64 v19, |v104|, |v104|
	s_delay_alu instid0(VALU_DEP_1) | instskip(SKIP_1) | instid1(VALU_DEP_2)
	v_mul_f32_e32 v20, 0x3fb8aa3b, v19
	v_cmp_ngt_f32_e32 vcc_lo, 0xc2ce8ed0, v19
	v_rndne_f32_e32 v21, v20
	v_fma_f32 v24, 0x3fb8aa3b, v19, -v20
	s_delay_alu instid0(VALU_DEP_2) | instskip(NEXT) | instid1(VALU_DEP_2)
	v_sub_f32_e32 v20, v20, v21
	v_fmac_f32_e32 v24, 0x32a5705f, v19
	v_cvt_i32_f32_e32 v21, v21
	s_delay_alu instid0(VALU_DEP_2) | instskip(NEXT) | instid1(VALU_DEP_1)
	v_add_f32_e32 v20, v20, v24
	v_exp_f32_e32 v20, v20
	v_nop
	s_delay_alu instid0(TRANS32_DEP_1) | instskip(NEXT) | instid1(VALU_DEP_1)
	v_ldexp_f32 v20, v20, v21
	v_cndmask_b32_e32 v20, 0, v20, vcc_lo
	v_cmp_nlt_f32_e32 vcc_lo, 0x42b17218, v19
	s_delay_alu instid0(VALU_DEP_2) | instskip(NEXT) | instid1(VALU_DEP_1)
	v_cndmask_b32_e32 v19, 0x7f800000, v20, vcc_lo
	v_add_f32_e32 v19, 1.0, v19
	s_delay_alu instid0(VALU_DEP_1) | instskip(SKIP_1) | instid1(TRANS32_DEP_1)
	v_rcp_f32_e32 v19, v19
	v_nop
	v_fma_f32 v19, v19, -2.0, 1.0
.LBB71_43:                              ;   in Loop: Header=BB71_9 Depth=1
	s_and_not1_saveexec_b32 s24, s24
	s_cbranch_execz .LBB71_45
; %bb.44:                               ;   in Loop: Header=BB71_9 Depth=1
	v_mul_f32_e32 v19, v104, v104
	s_delay_alu instid0(VALU_DEP_1) | instskip(NEXT) | instid1(VALU_DEP_1)
	v_fmaak_f32 v20, s3, v19, 0x3ca908c9
	v_fmaak_f32 v20, v19, v20, 0xbd5c1c4e
	s_delay_alu instid0(VALU_DEP_1) | instskip(NEXT) | instid1(VALU_DEP_1)
	v_fmaak_f32 v20, v19, v20, 0x3e088382
	v_fmaak_f32 v20, v19, v20, 0xbeaaaa99
	s_delay_alu instid0(VALU_DEP_1) | instskip(NEXT) | instid1(VALU_DEP_1)
	v_mul_f32_e64 v20, |v104|, v20
	v_fma_f32 v19, v19, v20, |v104|
.LBB71_45:                              ;   in Loop: Header=BB71_9 Depth=1
	s_or_b32 exec_lo, exec_lo, s24
	v_cmp_ngt_f32_e64 s24, 0x3f200000, |v107|
                                        ; implicit-def: $vgpr20
	s_and_saveexec_b32 s25, s24
	s_delay_alu instid0(SALU_CYCLE_1)
	s_xor_b32 s24, exec_lo, s25
	s_cbranch_execz .LBB71_47
; %bb.46:                               ;   in Loop: Header=BB71_9 Depth=1
	v_add_f32_e64 v20, |v107|, |v107|
	s_delay_alu instid0(VALU_DEP_1) | instskip(SKIP_1) | instid1(VALU_DEP_2)
	v_mul_f32_e32 v21, 0x3fb8aa3b, v20
	v_cmp_ngt_f32_e32 vcc_lo, 0xc2ce8ed0, v20
	v_rndne_f32_e32 v24, v21
	v_fma_f32 v25, 0x3fb8aa3b, v20, -v21
	s_delay_alu instid0(VALU_DEP_2) | instskip(NEXT) | instid1(VALU_DEP_2)
	v_sub_f32_e32 v21, v21, v24
	v_fmac_f32_e32 v25, 0x32a5705f, v20
	v_cvt_i32_f32_e32 v24, v24
	s_delay_alu instid0(VALU_DEP_2) | instskip(NEXT) | instid1(VALU_DEP_1)
	v_add_f32_e32 v21, v21, v25
	v_exp_f32_e32 v21, v21
	v_nop
	s_delay_alu instid0(TRANS32_DEP_1) | instskip(NEXT) | instid1(VALU_DEP_1)
	v_ldexp_f32 v21, v21, v24
	v_cndmask_b32_e32 v21, 0, v21, vcc_lo
	v_cmp_nlt_f32_e32 vcc_lo, 0x42b17218, v20
	s_delay_alu instid0(VALU_DEP_2) | instskip(NEXT) | instid1(VALU_DEP_1)
	v_cndmask_b32_e32 v20, 0x7f800000, v21, vcc_lo
	v_add_f32_e32 v20, 1.0, v20
	s_delay_alu instid0(VALU_DEP_1) | instskip(SKIP_1) | instid1(TRANS32_DEP_1)
	v_rcp_f32_e32 v20, v20
	v_nop
	v_fma_f32 v20, v20, -2.0, 1.0
.LBB71_47:                              ;   in Loop: Header=BB71_9 Depth=1
	s_and_not1_saveexec_b32 s24, s24
	s_cbranch_execz .LBB71_49
; %bb.48:                               ;   in Loop: Header=BB71_9 Depth=1
	v_mul_f32_e32 v20, v107, v107
	s_delay_alu instid0(VALU_DEP_1) | instskip(NEXT) | instid1(VALU_DEP_1)
	v_fmaak_f32 v21, s3, v20, 0x3ca908c9
	v_fmaak_f32 v21, v20, v21, 0xbd5c1c4e
	s_delay_alu instid0(VALU_DEP_1) | instskip(NEXT) | instid1(VALU_DEP_1)
	v_fmaak_f32 v21, v20, v21, 0x3e088382
	v_fmaak_f32 v21, v20, v21, 0xbeaaaa99
	s_delay_alu instid0(VALU_DEP_1) | instskip(NEXT) | instid1(VALU_DEP_1)
	v_mul_f32_e64 v21, |v107|, v21
	v_fma_f32 v20, v20, v21, |v107|
.LBB71_49:                              ;   in Loop: Header=BB71_9 Depth=1
	s_or_b32 exec_lo, exec_lo, s24
	v_bfi_b32 v19, 0x7fffffff, v19, v104
	s_delay_alu instid0(VALU_DEP_2) | instskip(SKIP_1) | instid1(VALU_DEP_2)
	v_bfi_b32 v20, 0x7fffffff, v20, v107
	v_cmp_ngt_f32_e64 s24, 0x3f200000, |v103|
                                        ; implicit-def: $vgpr21
	v_dual_fma_f32 v25, s26, v19, v34 :: v_dual_fma_f32 v27, s26, v20, v33
	s_delay_alu instid0(VALU_DEP_1) | instskip(NEXT) | instid1(VALU_DEP_1)
	v_dual_add_f32 v19, 0x40051340, v25 :: v_dual_add_f32 v20, 0x40051340, v27
	v_max3_num_f32 v19, v94, v19, v20
	ds_bpermute_b32 v20, v0, v19
	s_wait_dscnt 0x0
	v_max_num_f32_e32 v20, v20, v20
	s_delay_alu instid0(VALU_DEP_1) | instskip(SKIP_3) | instid1(VALU_DEP_1)
	v_max_num_f32_e32 v19, v19, v20
	ds_bpermute_b32 v20, v10, v19
	s_wait_dscnt 0x0
	v_max_num_f32_e32 v20, v20, v20
	v_max_num_f32_e32 v19, v19, v20
	ds_bpermute_b32 v20, v8, v19
	s_wait_dscnt 0x0
	v_max_num_f32_e32 v20, v20, v20
	s_delay_alu instid0(VALU_DEP_1) | instskip(SKIP_3) | instid1(VALU_DEP_1)
	v_max_num_f32_e32 v19, v19, v20
	ds_bpermute_b32 v20, v16, v19
	s_wait_dscnt 0x0
	v_max_num_f32_e32 v20, v20, v20
	v_max_num_f32_e32 v19, v19, v20
	ds_bpermute_b32 v20, v7, v19
	s_and_saveexec_b32 s25, s24
	s_delay_alu instid0(SALU_CYCLE_1)
	s_xor_b32 s24, exec_lo, s25
	s_cbranch_execz .LBB71_51
; %bb.50:                               ;   in Loop: Header=BB71_9 Depth=1
	v_add_f32_e64 v21, |v103|, |v103|
	s_delay_alu instid0(VALU_DEP_1) | instskip(SKIP_1) | instid1(VALU_DEP_2)
	v_mul_f32_e32 v24, 0x3fb8aa3b, v21
	v_cmp_ngt_f32_e32 vcc_lo, 0xc2ce8ed0, v21
	v_rndne_f32_e32 v26, v24
	v_fma_f32 v35, 0x3fb8aa3b, v21, -v24
	s_delay_alu instid0(VALU_DEP_1) | instskip(SKIP_1) | instid1(VALU_DEP_2)
	v_dual_sub_f32 v24, v24, v26 :: v_dual_fmac_f32 v35, 0x32a5705f, v21
	v_cvt_i32_f32_e32 v26, v26
	v_add_f32_e32 v24, v24, v35
	s_delay_alu instid0(VALU_DEP_1) | instskip(SKIP_1) | instid1(TRANS32_DEP_1)
	v_exp_f32_e32 v24, v24
	v_nop
	v_ldexp_f32 v24, v24, v26
	s_delay_alu instid0(VALU_DEP_1) | instskip(SKIP_1) | instid1(VALU_DEP_2)
	v_cndmask_b32_e32 v24, 0, v24, vcc_lo
	v_cmp_nlt_f32_e32 vcc_lo, 0x42b17218, v21
	v_cndmask_b32_e32 v21, 0x7f800000, v24, vcc_lo
	s_delay_alu instid0(VALU_DEP_1) | instskip(NEXT) | instid1(VALU_DEP_1)
	v_add_f32_e32 v21, 1.0, v21
	v_rcp_f32_e32 v21, v21
	v_nop
	s_delay_alu instid0(TRANS32_DEP_1)
	v_fma_f32 v21, v21, -2.0, 1.0
.LBB71_51:                              ;   in Loop: Header=BB71_9 Depth=1
	s_and_not1_saveexec_b32 s24, s24
	s_cbranch_execz .LBB71_53
; %bb.52:                               ;   in Loop: Header=BB71_9 Depth=1
	v_mul_f32_e32 v21, v103, v103
	s_delay_alu instid0(VALU_DEP_1) | instskip(NEXT) | instid1(VALU_DEP_1)
	v_fmaak_f32 v24, s3, v21, 0x3ca908c9
	v_fmaak_f32 v24, v21, v24, 0xbd5c1c4e
	s_delay_alu instid0(VALU_DEP_1) | instskip(NEXT) | instid1(VALU_DEP_1)
	v_fmaak_f32 v24, v21, v24, 0x3e088382
	v_fmaak_f32 v24, v21, v24, 0xbeaaaa99
	s_delay_alu instid0(VALU_DEP_1) | instskip(NEXT) | instid1(VALU_DEP_1)
	v_mul_f32_e64 v24, |v103|, v24
	v_fma_f32 v21, v21, v24, |v103|
.LBB71_53:                              ;   in Loop: Header=BB71_9 Depth=1
	s_or_b32 exec_lo, exec_lo, s24
	v_cmp_ngt_f32_e64 s24, 0x3f200000, |v105|
                                        ; implicit-def: $vgpr24
	s_and_saveexec_b32 s25, s24
	s_delay_alu instid0(SALU_CYCLE_1)
	s_xor_b32 s24, exec_lo, s25
	s_cbranch_execz .LBB71_55
; %bb.54:                               ;   in Loop: Header=BB71_9 Depth=1
	v_add_f32_e64 v24, |v105|, |v105|
	s_delay_alu instid0(VALU_DEP_1) | instskip(SKIP_1) | instid1(VALU_DEP_2)
	v_mul_f32_e32 v26, 0x3fb8aa3b, v24
	v_cmp_ngt_f32_e32 vcc_lo, 0xc2ce8ed0, v24
	v_rndne_f32_e32 v35, v26
	v_fma_f32 v36, 0x3fb8aa3b, v24, -v26
	s_delay_alu instid0(VALU_DEP_2) | instskip(NEXT) | instid1(VALU_DEP_2)
	v_sub_f32_e32 v26, v26, v35
	v_fmac_f32_e32 v36, 0x32a5705f, v24
	v_cvt_i32_f32_e32 v35, v35
	s_delay_alu instid0(VALU_DEP_2) | instskip(NEXT) | instid1(VALU_DEP_1)
	v_add_f32_e32 v26, v26, v36
	v_exp_f32_e32 v26, v26
	v_nop
	s_delay_alu instid0(TRANS32_DEP_1) | instskip(NEXT) | instid1(VALU_DEP_1)
	v_ldexp_f32 v26, v26, v35
	v_cndmask_b32_e32 v26, 0, v26, vcc_lo
	v_cmp_nlt_f32_e32 vcc_lo, 0x42b17218, v24
	s_delay_alu instid0(VALU_DEP_2) | instskip(NEXT) | instid1(VALU_DEP_1)
	v_cndmask_b32_e32 v24, 0x7f800000, v26, vcc_lo
	v_add_f32_e32 v24, 1.0, v24
	s_delay_alu instid0(VALU_DEP_1) | instskip(SKIP_1) | instid1(TRANS32_DEP_1)
	v_rcp_f32_e32 v24, v24
	v_nop
	v_fma_f32 v24, v24, -2.0, 1.0
.LBB71_55:                              ;   in Loop: Header=BB71_9 Depth=1
	s_and_not1_saveexec_b32 s24, s24
	s_cbranch_execz .LBB71_57
; %bb.56:                               ;   in Loop: Header=BB71_9 Depth=1
	v_mul_f32_e32 v24, v105, v105
	s_delay_alu instid0(VALU_DEP_1) | instskip(NEXT) | instid1(VALU_DEP_1)
	v_fmaak_f32 v26, s3, v24, 0x3ca908c9
	v_fmaak_f32 v26, v24, v26, 0xbd5c1c4e
	s_delay_alu instid0(VALU_DEP_1) | instskip(NEXT) | instid1(VALU_DEP_1)
	v_fmaak_f32 v26, v24, v26, 0x3e088382
	v_fmaak_f32 v26, v24, v26, 0xbeaaaa99
	s_delay_alu instid0(VALU_DEP_1) | instskip(NEXT) | instid1(VALU_DEP_1)
	v_mul_f32_e64 v26, |v105|, v26
	v_fma_f32 v24, v24, v26, |v105|
.LBB71_57:                              ;   in Loop: Header=BB71_9 Depth=1
	s_or_b32 exec_lo, exec_lo, s24
	v_bfi_b32 v21, 0x7fffffff, v21, v103
	s_delay_alu instid0(VALU_DEP_2) | instskip(SKIP_1) | instid1(VALU_DEP_2)
	v_bfi_b32 v24, 0x7fffffff, v24, v105
	v_cmp_ngt_f32_e64 s24, 0x3f200000, |v99|
                                        ; implicit-def: $vgpr26
	v_dual_fma_f32 v36, s26, v21, v34 :: v_dual_fma_f32 v35, s26, v24, v33
	s_delay_alu instid0(VALU_DEP_1) | instskip(NEXT) | instid1(VALU_DEP_1)
	v_dual_add_f32 v21, 0x40051340, v36 :: v_dual_add_f32 v24, 0x40051340, v35
	v_max3_num_f32 v21, v93, v21, v24
	ds_bpermute_b32 v24, v0, v21
	s_wait_dscnt 0x0
	v_max_num_f32_e32 v24, v24, v24
	s_delay_alu instid0(VALU_DEP_1) | instskip(SKIP_3) | instid1(VALU_DEP_1)
	v_max_num_f32_e32 v21, v21, v24
	ds_bpermute_b32 v24, v10, v21
	s_wait_dscnt 0x0
	v_max_num_f32_e32 v24, v24, v24
	v_max_num_f32_e32 v21, v21, v24
	ds_bpermute_b32 v24, v8, v21
	s_wait_dscnt 0x0
	v_max_num_f32_e32 v24, v24, v24
	s_delay_alu instid0(VALU_DEP_1) | instskip(SKIP_3) | instid1(VALU_DEP_1)
	v_max_num_f32_e32 v21, v21, v24
	ds_bpermute_b32 v24, v16, v21
	s_wait_dscnt 0x0
	v_max_num_f32_e32 v24, v24, v24
	v_max_num_f32_e32 v21, v21, v24
	ds_bpermute_b32 v24, v7, v21
	s_and_saveexec_b32 s25, s24
	s_delay_alu instid0(SALU_CYCLE_1)
	s_xor_b32 s24, exec_lo, s25
	s_cbranch_execz .LBB71_59
; %bb.58:                               ;   in Loop: Header=BB71_9 Depth=1
	v_add_f32_e64 v26, |v99|, |v99|
	s_delay_alu instid0(VALU_DEP_1) | instskip(SKIP_1) | instid1(VALU_DEP_2)
	v_mul_f32_e32 v37, 0x3fb8aa3b, v26
	v_cmp_ngt_f32_e32 vcc_lo, 0xc2ce8ed0, v26
	v_rndne_f32_e32 v38, v37
	v_fma_f32 v39, 0x3fb8aa3b, v26, -v37
	s_delay_alu instid0(VALU_DEP_2) | instskip(NEXT) | instid1(VALU_DEP_2)
	v_sub_f32_e32 v37, v37, v38
	v_fmac_f32_e32 v39, 0x32a5705f, v26
	v_cvt_i32_f32_e32 v38, v38
	s_delay_alu instid0(VALU_DEP_2) | instskip(NEXT) | instid1(VALU_DEP_1)
	v_add_f32_e32 v37, v37, v39
	v_exp_f32_e32 v37, v37
	v_nop
	s_delay_alu instid0(TRANS32_DEP_1) | instskip(NEXT) | instid1(VALU_DEP_1)
	v_ldexp_f32 v37, v37, v38
	v_cndmask_b32_e32 v37, 0, v37, vcc_lo
	v_cmp_nlt_f32_e32 vcc_lo, 0x42b17218, v26
	s_delay_alu instid0(VALU_DEP_2) | instskip(NEXT) | instid1(VALU_DEP_1)
	v_cndmask_b32_e32 v26, 0x7f800000, v37, vcc_lo
	v_add_f32_e32 v26, 1.0, v26
	s_delay_alu instid0(VALU_DEP_1) | instskip(SKIP_1) | instid1(TRANS32_DEP_1)
	v_rcp_f32_e32 v26, v26
	v_nop
	v_fma_f32 v26, v26, -2.0, 1.0
.LBB71_59:                              ;   in Loop: Header=BB71_9 Depth=1
	s_and_not1_saveexec_b32 s24, s24
	s_cbranch_execz .LBB71_61
; %bb.60:                               ;   in Loop: Header=BB71_9 Depth=1
	v_mul_f32_e32 v26, v99, v99
	s_delay_alu instid0(VALU_DEP_1) | instskip(NEXT) | instid1(VALU_DEP_1)
	v_fmaak_f32 v37, s3, v26, 0x3ca908c9
	v_fmaak_f32 v37, v26, v37, 0xbd5c1c4e
	s_delay_alu instid0(VALU_DEP_1) | instskip(NEXT) | instid1(VALU_DEP_1)
	v_fmaak_f32 v37, v26, v37, 0x3e088382
	v_fmaak_f32 v37, v26, v37, 0xbeaaaa99
	s_delay_alu instid0(VALU_DEP_1) | instskip(NEXT) | instid1(VALU_DEP_1)
	v_mul_f32_e64 v37, |v99|, v37
	v_fma_f32 v26, v26, v37, |v99|
.LBB71_61:                              ;   in Loop: Header=BB71_9 Depth=1
	s_or_b32 exec_lo, exec_lo, s24
	v_cmp_ngt_f32_e64 s24, 0x3f200000, |v100|
                                        ; implicit-def: $vgpr37
	s_and_saveexec_b32 s25, s24
	s_delay_alu instid0(SALU_CYCLE_1)
	s_xor_b32 s24, exec_lo, s25
	s_cbranch_execz .LBB71_63
; %bb.62:                               ;   in Loop: Header=BB71_9 Depth=1
	v_add_f32_e64 v37, |v100|, |v100|
	s_delay_alu instid0(VALU_DEP_1) | instskip(SKIP_1) | instid1(VALU_DEP_2)
	v_mul_f32_e32 v38, 0x3fb8aa3b, v37
	v_cmp_ngt_f32_e32 vcc_lo, 0xc2ce8ed0, v37
	v_rndne_f32_e32 v39, v38
	v_fma_f32 v103, 0x3fb8aa3b, v37, -v38
	s_delay_alu instid0(VALU_DEP_1) | instskip(SKIP_1) | instid1(VALU_DEP_2)
	v_dual_sub_f32 v38, v38, v39 :: v_dual_fmac_f32 v103, 0x32a5705f, v37
	v_cvt_i32_f32_e32 v39, v39
	v_add_f32_e32 v38, v38, v103
	s_delay_alu instid0(VALU_DEP_1) | instskip(SKIP_1) | instid1(TRANS32_DEP_1)
	v_exp_f32_e32 v38, v38
	v_nop
	v_ldexp_f32 v38, v38, v39
	s_delay_alu instid0(VALU_DEP_1) | instskip(SKIP_1) | instid1(VALU_DEP_2)
	v_cndmask_b32_e32 v38, 0, v38, vcc_lo
	v_cmp_nlt_f32_e32 vcc_lo, 0x42b17218, v37
	v_cndmask_b32_e32 v37, 0x7f800000, v38, vcc_lo
	s_delay_alu instid0(VALU_DEP_1) | instskip(NEXT) | instid1(VALU_DEP_1)
	v_add_f32_e32 v37, 1.0, v37
	v_rcp_f32_e32 v37, v37
	v_nop
	s_delay_alu instid0(TRANS32_DEP_1)
	v_fma_f32 v37, v37, -2.0, 1.0
.LBB71_63:                              ;   in Loop: Header=BB71_9 Depth=1
	s_and_not1_saveexec_b32 s24, s24
	s_cbranch_execz .LBB71_65
; %bb.64:                               ;   in Loop: Header=BB71_9 Depth=1
	v_mul_f32_e32 v37, v100, v100
	s_delay_alu instid0(VALU_DEP_1) | instskip(NEXT) | instid1(VALU_DEP_1)
	v_fmaak_f32 v38, s3, v37, 0x3ca908c9
	v_fmaak_f32 v38, v37, v38, 0xbd5c1c4e
	s_delay_alu instid0(VALU_DEP_1) | instskip(NEXT) | instid1(VALU_DEP_1)
	v_fmaak_f32 v38, v37, v38, 0x3e088382
	v_fmaak_f32 v38, v37, v38, 0xbeaaaa99
	s_delay_alu instid0(VALU_DEP_1) | instskip(NEXT) | instid1(VALU_DEP_1)
	v_mul_f32_e64 v38, |v100|, v38
	v_fma_f32 v37, v37, v38, |v100|
.LBB71_65:                              ;   in Loop: Header=BB71_9 Depth=1
	s_or_b32 exec_lo, exec_lo, s24
	v_bfi_b32 v26, 0x7fffffff, v26, v99
	s_delay_alu instid0(VALU_DEP_2) | instskip(SKIP_1) | instid1(VALU_DEP_2)
	v_bfi_b32 v37, 0x7fffffff, v37, v100
	v_cmp_ngt_f32_e64 s24, 0x3f200000, |v101|
                                        ; implicit-def: $vgpr99
	v_dual_fma_f32 v38, s26, v26, v34 :: v_dual_fma_f32 v37, s26, v37, v33
	s_delay_alu instid0(VALU_DEP_1) | instskip(NEXT) | instid1(VALU_DEP_1)
	v_dual_add_f32 v26, 0x40051340, v38 :: v_dual_add_f32 v39, 0x40051340, v37
	v_max3_num_f32 v26, v92, v26, v39
	ds_bpermute_b32 v39, v0, v26
	s_wait_dscnt 0x0
	v_max_num_f32_e32 v39, v39, v39
	s_delay_alu instid0(VALU_DEP_1) | instskip(SKIP_3) | instid1(VALU_DEP_1)
	v_max_num_f32_e32 v26, v26, v39
	ds_bpermute_b32 v39, v10, v26
	s_wait_dscnt 0x0
	v_max_num_f32_e32 v39, v39, v39
	v_max_num_f32_e32 v26, v26, v39
	ds_bpermute_b32 v39, v8, v26
	s_wait_dscnt 0x0
	v_max_num_f32_e32 v39, v39, v39
	s_delay_alu instid0(VALU_DEP_1) | instskip(SKIP_3) | instid1(VALU_DEP_1)
	v_max_num_f32_e32 v26, v26, v39
	ds_bpermute_b32 v39, v16, v26
	s_wait_dscnt 0x0
	v_max_num_f32_e32 v39, v39, v39
	v_max_num_f32_e32 v26, v26, v39
	ds_bpermute_b32 v39, v7, v26
	s_and_saveexec_b32 s25, s24
	s_delay_alu instid0(SALU_CYCLE_1)
	s_xor_b32 s24, exec_lo, s25
	s_cbranch_execz .LBB71_67
; %bb.66:                               ;   in Loop: Header=BB71_9 Depth=1
	v_add_f32_e64 v99, |v101|, |v101|
	s_delay_alu instid0(VALU_DEP_1) | instskip(SKIP_1) | instid1(VALU_DEP_2)
	v_mul_f32_e32 v100, 0x3fb8aa3b, v99
	v_cmp_ngt_f32_e32 vcc_lo, 0xc2ce8ed0, v99
	v_rndne_f32_e32 v103, v100
	v_fma_f32 v104, 0x3fb8aa3b, v99, -v100
	s_delay_alu instid0(VALU_DEP_2) | instskip(NEXT) | instid1(VALU_DEP_2)
	v_sub_f32_e32 v100, v100, v103
	v_fmac_f32_e32 v104, 0x32a5705f, v99
	v_cvt_i32_f32_e32 v103, v103
	s_delay_alu instid0(VALU_DEP_2) | instskip(NEXT) | instid1(VALU_DEP_1)
	v_add_f32_e32 v100, v100, v104
	v_exp_f32_e32 v100, v100
	v_nop
	s_delay_alu instid0(TRANS32_DEP_1) | instskip(NEXT) | instid1(VALU_DEP_1)
	v_ldexp_f32 v100, v100, v103
	v_cndmask_b32_e32 v100, 0, v100, vcc_lo
	v_cmp_nlt_f32_e32 vcc_lo, 0x42b17218, v99
	s_delay_alu instid0(VALU_DEP_2) | instskip(NEXT) | instid1(VALU_DEP_1)
	v_cndmask_b32_e32 v99, 0x7f800000, v100, vcc_lo
	v_add_f32_e32 v99, 1.0, v99
	s_delay_alu instid0(VALU_DEP_1) | instskip(SKIP_1) | instid1(TRANS32_DEP_1)
	v_rcp_f32_e32 v99, v99
	v_nop
	v_fma_f32 v99, v99, -2.0, 1.0
.LBB71_67:                              ;   in Loop: Header=BB71_9 Depth=1
	s_and_not1_saveexec_b32 s24, s24
	s_cbranch_execz .LBB71_69
; %bb.68:                               ;   in Loop: Header=BB71_9 Depth=1
	v_mul_f32_e32 v99, v101, v101
	s_delay_alu instid0(VALU_DEP_1) | instskip(NEXT) | instid1(VALU_DEP_1)
	v_fmaak_f32 v100, s3, v99, 0x3ca908c9
	v_fmaak_f32 v100, v99, v100, 0xbd5c1c4e
	s_delay_alu instid0(VALU_DEP_1) | instskip(NEXT) | instid1(VALU_DEP_1)
	v_fmaak_f32 v100, v99, v100, 0x3e088382
	v_fmaak_f32 v100, v99, v100, 0xbeaaaa99
	s_delay_alu instid0(VALU_DEP_1) | instskip(NEXT) | instid1(VALU_DEP_1)
	v_mul_f32_e64 v100, |v101|, v100
	v_fma_f32 v99, v99, v100, |v101|
.LBB71_69:                              ;   in Loop: Header=BB71_9 Depth=1
	s_or_b32 exec_lo, exec_lo, s24
	v_cmp_ngt_f32_e64 s24, 0x3f200000, |v102|
                                        ; implicit-def: $vgpr100
	s_and_saveexec_b32 s25, s24
	s_delay_alu instid0(SALU_CYCLE_1)
	s_xor_b32 s24, exec_lo, s25
	s_cbranch_execz .LBB71_71
; %bb.70:                               ;   in Loop: Header=BB71_9 Depth=1
	v_add_f32_e64 v100, |v102|, |v102|
	s_delay_alu instid0(VALU_DEP_1) | instskip(SKIP_1) | instid1(VALU_DEP_2)
	v_mul_f32_e32 v103, 0x3fb8aa3b, v100
	v_cmp_ngt_f32_e32 vcc_lo, 0xc2ce8ed0, v100
	v_rndne_f32_e32 v104, v103
	v_fma_f32 v105, 0x3fb8aa3b, v100, -v103
	s_delay_alu instid0(VALU_DEP_2) | instskip(NEXT) | instid1(VALU_DEP_2)
	v_sub_f32_e32 v103, v103, v104
	v_fmac_f32_e32 v105, 0x32a5705f, v100
	v_cvt_i32_f32_e32 v104, v104
	s_delay_alu instid0(VALU_DEP_2) | instskip(NEXT) | instid1(VALU_DEP_1)
	v_add_f32_e32 v103, v103, v105
	v_exp_f32_e32 v103, v103
	v_nop
	s_delay_alu instid0(TRANS32_DEP_1) | instskip(NEXT) | instid1(VALU_DEP_1)
	v_ldexp_f32 v103, v103, v104
	v_cndmask_b32_e32 v103, 0, v103, vcc_lo
	v_cmp_nlt_f32_e32 vcc_lo, 0x42b17218, v100
	s_delay_alu instid0(VALU_DEP_2) | instskip(NEXT) | instid1(VALU_DEP_1)
	v_cndmask_b32_e32 v100, 0x7f800000, v103, vcc_lo
	v_add_f32_e32 v100, 1.0, v100
	s_delay_alu instid0(VALU_DEP_1) | instskip(SKIP_1) | instid1(TRANS32_DEP_1)
	v_rcp_f32_e32 v100, v100
	v_nop
	v_fma_f32 v100, v100, -2.0, 1.0
.LBB71_71:                              ;   in Loop: Header=BB71_9 Depth=1
	s_and_not1_saveexec_b32 s24, s24
	s_cbranch_execz .LBB71_73
; %bb.72:                               ;   in Loop: Header=BB71_9 Depth=1
	v_mul_f32_e32 v100, v102, v102
	s_delay_alu instid0(VALU_DEP_1) | instskip(NEXT) | instid1(VALU_DEP_1)
	v_fmaak_f32 v103, s3, v100, 0x3ca908c9
	v_fmaak_f32 v103, v100, v103, 0xbd5c1c4e
	s_delay_alu instid0(VALU_DEP_1) | instskip(NEXT) | instid1(VALU_DEP_1)
	v_fmaak_f32 v103, v100, v103, 0x3e088382
	v_fmaak_f32 v103, v100, v103, 0xbeaaaa99
	s_delay_alu instid0(VALU_DEP_1) | instskip(NEXT) | instid1(VALU_DEP_1)
	v_mul_f32_e64 v103, |v102|, v103
	v_fma_f32 v100, v100, v103, |v102|
.LBB71_73:                              ;   in Loop: Header=BB71_9 Depth=1
	s_or_b32 exec_lo, exec_lo, s24
	v_bfi_b32 v99, 0x7fffffff, v99, v101
	s_delay_alu instid0(VALU_DEP_2) | instskip(SKIP_2) | instid1(VALU_DEP_3)
	v_bfi_b32 v100, 0x7fffffff, v100, v102
	s_wait_dscnt 0x0
	v_dual_max_num_f32 v39, v39, v39 :: v_dual_max_num_f32 v24, v24, v24
	v_dual_max_num_f32 v21, v21, v21 :: v_dual_fmac_f32 v34, s26, v99
	s_delay_alu instid0(VALU_DEP_3) | instskip(SKIP_1) | instid1(VALU_DEP_3)
	v_dual_max_num_f32 v26, v26, v26 :: v_dual_fmac_f32 v33, s26, v100
	v_dual_max_num_f32 v102, v4, v4 :: v_dual_max_num_f32 v103, v3, v3
	v_dual_add_f32 v99, 0x40051340, v34 :: v_dual_max_num_f32 v20, v20, v20
	s_delay_alu instid0(VALU_DEP_3) | instskip(SKIP_3) | instid1(VALU_DEP_4)
	v_dual_max_num_f32 v19, v19, v19 :: v_dual_add_f32 v100, 0x40051340, v33
	v_dual_max_num_f32 v18, v18, v18 :: v_dual_max_num_f32 v17, v17, v17
	v_max_num_f32_e32 v101, v5, v5
	v_max_num_f32_e32 v5, v21, v24
	v_max3_num_f32 v99, v91, v99, v100
	v_dual_max_num_f32 v100, v6, v6 :: v_dual_max_num_f32 v1, v1, v1
	v_dual_max_num_f32 v6, v26, v39 :: v_dual_max_num_f32 v4, v19, v20
	v_max_num_f32_e32 v3, v17, v18
	ds_bpermute_b32 v104, v0, v99
	v_max_num_f32_e32 v0, v2, v2
	s_mul_u64 s[24:25], s[4:5], s[10:11]
	s_wait_dscnt 0x0
	s_lshl_b64 s[24:25], s[24:25], 2
	s_barrier_signal -1
	v_dual_max_num_f32 v0, v1, v0 :: v_dual_max_num_f32 v1, v103, v102
	v_max_num_f32_e32 v2, v101, v100
	s_add_nc_u64 s[24:25], s[8:9], s[24:25]
	s_barrier_wait -1
	s_delay_alu instid0(VALU_DEP_2)
	v_dual_sub_f32 v17, v96, v0 :: v_dual_sub_f32 v26, v9, v0
	v_dual_sub_f32 v96, v98, v1 :: v_dual_sub_f32 v39, v11, v0
	v_add_nc_u64_e32 v[18:19], s[24:25], v[56:57]
	v_sub_f32_e32 v98, v13, v1
	v_add_nc_u64_e32 v[20:21], s[24:25], v[58:59]
	v_mul_f32_e32 v103, 0x3fb8aa3b, v17
	v_dual_max_num_f32 v24, v104, v104 :: v_dual_sub_f32 v97, v97, v2
	s_delay_alu instid0(VALU_DEP_4) | instskip(SKIP_2) | instid1(VALU_DEP_4)
	v_mul_f32_e32 v104, 0x3fb8aa3b, v98
	v_add_nc_u64_e32 v[18:19], v[18:19], v[50:51]
	v_add_nc_u64_e32 v[20:21], v[20:21], v[50:51]
	v_dual_max_num_f32 v9, v99, v24 :: v_dual_sub_f32 v24, v12, v1
	v_dual_mul_f32 v101, 0x3fb8aa3b, v26 :: v_dual_mul_f32 v102, 0x3fb8aa3b, v39
	v_fma_f32 v116, 0x3fb8aa3b, v98, -v104
	ds_bpermute_b32 v10, v10, v9
	v_mul_f32_e32 v105, 0x3fb8aa3b, v24
	v_dual_sub_f32 v99, v14, v2 :: v_dual_sub_f32 v100, v15, v2
	v_rndne_f32_e32 v113, v102
	v_fma_f32 v112, 0x3fb8aa3b, v39, -v102
	v_mul_f32_e32 v109, 0x3fb8aa3b, v97
	v_fma_f32 v110, 0x3fb8aa3b, v26, -v101
	v_mul_f32_e32 v108, 0x3fb8aa3b, v100
	v_rndne_f32_e32 v111, v101
	v_fma_f32 v114, 0x3fb8aa3b, v17, -v103
	v_rndne_f32_e32 v115, v103
	v_dual_mul_f32 v106, 0x3fb8aa3b, v96 :: v_dual_mul_f32 v107, 0x3fb8aa3b, v99
	v_rndne_f32_e32 v117, v104
	v_fma_f32 v128, 0x3fb8aa3b, v97, -v109
	v_fmac_f32_e32 v110, 0x32a5705f, v26
	s_delay_alu instid0(VALU_DEP_4)
	v_fma_f32 v120, 0x3fb8aa3b, v96, -v106
	v_rndne_f32_e32 v121, v106
	v_fma_f32 v123, 0x3fb8aa3b, v99, -v107
	s_wait_dscnt 0x0
	v_max_num_f32_e32 v10, v10, v10
	v_rndne_f32_e32 v119, v105
	v_fmac_f32_e32 v114, 0x32a5705f, v17
	v_fma_f32 v118, 0x3fb8aa3b, v24, -v105
	v_rndne_f32_e32 v124, v107
	v_max_num_f32_e32 v122, v9, v10
	v_sub_f32_e32 v105, v105, v119
	v_rndne_f32_e32 v129, v109
	v_fmac_f32_e32 v120, 0x32a5705f, v96
	v_dual_sub_f32 v106, v106, v121 :: v_dual_sub_f32 v107, v107, v124
	ds_bpermute_b32 v127, v8, v122
	s_clause 0x1
	global_load_b128 v[8:11], v[18:19], off
	global_load_b128 v[12:15], v[20:21], off
	s_wait_xcnt 0x0
	v_sub_f32_e32 v20, v102, v113
	v_cvt_i32_f32_e32 v21, v113
	v_fmac_f32_e32 v116, 0x32a5705f, v98
	v_sub_f32_e32 v18, v101, v111
	v_dual_sub_f32 v101, v103, v115 :: v_dual_fmac_f32 v128, 0x32a5705f, v97
	v_cvt_i32_f32_e32 v102, v115
	v_dual_sub_f32 v103, v104, v117 :: v_dual_fmac_f32 v118, 0x32a5705f, v24
	v_fmac_f32_e32 v123, 0x32a5705f, v99
	s_delay_alu instid0(VALU_DEP_4) | instskip(SKIP_1) | instid1(VALU_DEP_4)
	v_add_f32_e32 v101, v101, v114
	v_dual_sub_f32 v109, v109, v129 :: v_dual_add_f32 v106, v106, v120
	v_add_f32_e32 v105, v105, v118
	v_cmp_ngt_f32_e32 vcc_lo, 0xc2ce8ed0, v17
	s_delay_alu instid0(VALU_DEP_4)
	v_exp_f32_e32 v101, v101
	v_cvt_i32_f32_e32 v115, v121
	v_exp_f32_e32 v106, v106
	s_wait_dscnt 0x0
	v_max_num_f32_e32 v113, v127, v127
	v_fmac_f32_e32 v112, 0x32a5705f, v39
	v_cvt_i32_f32_e32 v19, v111
	v_cvt_i32_f32_e32 v104, v117
	v_ldexp_f32 v101, v101, v102
	v_max_num_f32_e32 v113, v122, v113
	v_dual_add_f32 v18, v18, v110 :: v_dual_add_f32 v20, v20, v112
	s_delay_alu instid0(VALU_DEP_3)
	v_dual_add_f32 v103, v103, v116 :: v_dual_cndmask_b32 v101, 0, v101, vcc_lo
	ds_bpermute_b32 v16, v16, v113
	v_exp_f32_e32 v18, v18
	v_exp_f32_e32 v20, v20
	;; [unrolled: 1-line block ×3, first 2 shown]
	v_ldexp_f32 v102, v106, v115
	v_cmp_ngt_f32_e32 vcc_lo, 0xc2ce8ed0, v96
	v_exp_f32_e32 v105, v105
	v_cvt_i32_f32_e32 v111, v119
	v_ldexp_f32 v18, v18, v19
	v_ldexp_f32 v19, v20, v21
	;; [unrolled: 1-line block ×3, first 2 shown]
	v_rndne_f32_e32 v126, v108
	v_fma_f32 v125, 0x3fb8aa3b, v100, -v108
	v_ldexp_f32 v21, v105, v111
	v_dual_add_f32 v107, v107, v123 :: v_dual_add_f32 v109, v109, v128
	v_cndmask_b32_e32 v102, 0, v102, vcc_lo
	v_cmp_ngt_f32_e32 vcc_lo, 0xc2ce8ed0, v26
	v_fmac_f32_e32 v125, 0x32a5705f, v100
	s_delay_alu instid0(VALU_DEP_4)
	v_exp_f32_e32 v107, v107
	s_wait_dscnt 0x0
	v_max_num_f32_e32 v16, v16, v16
	v_cvt_i32_f32_e32 v117, v124
	v_cndmask_b32_e32 v18, 0, v18, vcc_lo
	v_cmp_nlt_f32_e32 vcc_lo, 0x42b17218, v17
	s_delay_alu instid0(VALU_DEP_4)
	v_dual_sub_f32 v35, v35, v5 :: v_dual_max_num_f32 v103, v113, v16
	v_sub_f32_e32 v37, v37, v6
	s_or_b32 s24, s4, 32
	v_sub_f32_e32 v36, v36, v5
	s_ashr_i32 s25, s24, 31
	ds_bpermute_b32 v7, v7, v103
	v_cndmask_b32_e32 v16, 0x7f800000, v101, vcc_lo
	v_cmp_ngt_f32_e32 vcc_lo, 0xc2ce8ed0, v39
	s_mul_u64 s[24:25], s[24:25], s[10:11]
	v_sub_f32_e32 v38, v38, v6
	s_lshl_b64 s[24:25], s[24:25], 2
	v_cndmask_b32_e32 v19, 0, v19, vcc_lo
	v_cmp_nlt_f32_e32 vcc_lo, 0x42b17218, v96
	s_add_nc_u64 s[24:25], s[8:9], s[24:25]
	v_cndmask_b32_e32 v17, 0x7f800000, v102, vcc_lo
	v_cmp_ngt_f32_e32 vcc_lo, 0xc2ce8ed0, v98
	v_cndmask_b32_e32 v101, 0, v20, vcc_lo
	v_cmp_ngt_f32_e32 vcc_lo, 0xc2ce8ed0, v24
	s_wait_dscnt 0x0
	v_max_num_f32_e32 v7, v7, v7
	v_cvt_f16_f32_e32 v96, v16
	v_cndmask_b32_e32 v21, 0, v21, vcc_lo
	v_cmp_nlt_f32_e32 vcc_lo, 0x42b17218, v26
	s_delay_alu instid0(VALU_DEP_3) | instskip(SKIP_2) | instid1(VALU_DEP_3)
	v_and_b32_e32 v96, 0xffff, v96
	v_dual_max_num_f32 v7, v103, v7 :: v_dual_cndmask_b32 v18, 0x7f800000, v18
	v_cmp_nlt_f32_e32 vcc_lo, 0x42b17218, v39
	v_mul_u32_u24_e32 v39, 0x10001, v96
	s_delay_alu instid0(VALU_DEP_3) | instskip(NEXT) | instid1(VALU_DEP_2)
	v_dual_sub_f32 v34, v34, v7 :: v_dual_sub_f32 v33, v33, v7
	v_pk_mul_f16 v96, v89, v39
	v_dual_sub_f32 v89, v108, v126 :: v_dual_cndmask_b32 v20, 0x7f800000, v19
	v_cmp_nlt_f32_e32 vcc_lo, 0x42b17218, v98
	v_pk_mul_f16 v98, v90, v39
	v_exp_f32_e32 v39, v109
	v_cvt_i32_f32_e32 v90, v129
	v_add_f32_e32 v89, v89, v125
	v_cndmask_b32_e32 v19, 0x7f800000, v101, vcc_lo
	v_cmp_nlt_f32_e32 vcc_lo, 0x42b17218, v24
	v_ldexp_f32 v24, v107, v117
	s_delay_alu instid0(TRANS32_DEP_1) | instskip(SKIP_4) | instid1(VALU_DEP_3)
	v_ldexp_f32 v39, v39, v90
	v_sub_f32_e32 v90, v22, v3
	v_cvt_f16_f32_e32 v102, v17
	v_cndmask_b32_e32 v21, 0x7f800000, v21, vcc_lo
	v_cmp_ngt_f32_e32 vcc_lo, 0xc2ce8ed0, v99
	v_and_b32_e32 v26, 0xffff, v102
	v_cndmask_b32_e32 v24, 0, v24, vcc_lo
	v_cmp_ngt_f32_e32 vcc_lo, 0xc2ce8ed0, v97
	s_delay_alu instid0(VALU_DEP_3) | instskip(SKIP_2) | instid1(VALU_DEP_3)
	v_mul_u32_u24_e32 v26, 0x10001, v26
	v_cndmask_b32_e32 v39, 0, v39, vcc_lo
	v_cmp_nlt_f32_e32 vcc_lo, 0x42b17218, v99
	v_pk_mul_f16 v101, v88, v26
	v_exp_f32_e32 v88, v89
	v_nop
	v_cvt_i32_f32_e32 v89, v126
	v_pk_mul_f16 v102, v87, v26
	v_cndmask_b32_e32 v24, 0x7f800000, v24, vcc_lo
	v_cmp_nlt_f32_e32 vcc_lo, 0x42b17218, v97
	s_delay_alu instid0(TRANS32_DEP_1) | instid1(VALU_DEP_4)
	v_ldexp_f32 v88, v88, v89
	v_cndmask_b32_e32 v22, 0x7f800000, v39, vcc_lo
	v_cmp_ngt_f32_e32 vcc_lo, 0xc2ce8ed0, v100
	v_dual_sub_f32 v39, v95, v3 :: v_dual_mul_f32 v26, 0x3fb8aa3b, v90
	s_delay_alu instid0(VALU_DEP_4) | instskip(NEXT) | instid1(VALU_DEP_2)
	v_dual_cndmask_b32 v87, 0, v88 :: v_dual_sub_f32 v88, v23, v3
	v_mul_f32_e32 v89, 0x3fb8aa3b, v39
	s_delay_alu instid0(VALU_DEP_3) | instskip(SKIP_4) | instid1(VALU_DEP_4)
	v_fma_f32 v23, 0x3fb8aa3b, v90, -v26
	v_rndne_f32_e32 v97, v26
	v_cmp_nlt_f32_e32 vcc_lo, 0x42b17218, v100
	v_mul_f32_e32 v99, 0x3fb8aa3b, v88
	v_rndne_f32_e32 v104, v89
	v_dual_fmac_f32 v23, 0x32a5705f, v90 :: v_dual_sub_f32 v26, v26, v97
	v_fma_f32 v103, 0x3fb8aa3b, v39, -v89
	s_delay_alu instid0(VALU_DEP_4)
	v_fma_f32 v105, 0x3fb8aa3b, v88, -v99
	v_rndne_f32_e32 v106, v99
	v_sub_f32_e32 v89, v89, v104
	v_cvt_f16_f32_e32 v95, v22
	v_cvt_i32_f32_e32 v97, v97
	v_fmac_f32_e32 v105, 0x32a5705f, v88
	v_dual_add_f32 v23, v26, v23 :: v_dual_sub_f32 v26, v99, v106
	s_delay_alu instid0(VALU_DEP_4) | instskip(SKIP_1) | instid1(VALU_DEP_3)
	v_and_b32_e32 v95, 0xffff, v95
	v_fmac_f32_e32 v103, 0x32a5705f, v39
	v_add_f32_e32 v99, v26, v105
	s_delay_alu instid0(VALU_DEP_4) | instskip(NEXT) | instid1(VALU_DEP_3)
	v_exp_f32_e32 v23, v23
	v_mul_u32_u24_e32 v95, 0x10001, v95
	v_cndmask_b32_e32 v26, 0x7f800000, v87, vcc_lo
	v_cvt_i32_f32_e32 v87, v104
	v_cmp_ngt_f32_e32 vcc_lo, 0xc2ce8ed0, v90
	s_delay_alu instid0(VALU_DEP_4) | instskip(NEXT) | instid1(TRANS32_DEP_1)
	v_pk_mul_f16 v100, v85, v95
	v_ldexp_f32 v23, v23, v97
	v_exp_f32_e32 v97, v99
	v_nop
	v_pk_mul_f16 v99, v86, v95
	v_cvt_i32_f32_e32 v86, v106
	v_cndmask_b32_e32 v23, 0, v23, vcc_lo
	v_cmp_ngt_f32_e32 vcc_lo, 0xc2ce8ed0, v39
	s_delay_alu instid0(TRANS32_DEP_1) | instid1(VALU_DEP_3)
	v_ldexp_f32 v85, v97, v86
	v_add_f32_e32 v89, v89, v103
	s_delay_alu instid0(VALU_DEP_1) | instskip(SKIP_1) | instid1(TRANS32_DEP_1)
	v_exp_f32_e32 v89, v89
	v_nop
	v_ldexp_f32 v87, v89, v87
	v_dual_sub_f32 v89, v94, v4 :: v_dual_sub_f32 v94, v27, v4
	s_delay_alu instid0(VALU_DEP_2) | instskip(SKIP_4) | instid1(VALU_DEP_3)
	v_cndmask_b32_e32 v86, 0, v87, vcc_lo
	v_cmp_nlt_f32_e32 vcc_lo, 0x42b17218, v90
	v_sub_f32_e32 v87, v25, v4
	v_cndmask_b32_e32 v25, 0x7f800000, v23, vcc_lo
	v_cmp_nlt_f32_e32 vcc_lo, 0x42b17218, v39
	v_mul_f32_e32 v39, 0x3fb8aa3b, v87
	v_cndmask_b32_e32 v23, 0x7f800000, v86, vcc_lo
	v_mul_f32_e32 v86, 0x3fb8aa3b, v89
	s_delay_alu instid0(VALU_DEP_3)
	v_fma_f32 v27, 0x3fb8aa3b, v87, -v39
	v_rndne_f32_e32 v103, v39
	v_mul_f32_e32 v104, 0x3fb8aa3b, v94
	v_cvt_f16_f32_e32 v90, v23
	v_fma_f32 v95, 0x3fb8aa3b, v89, -v86
	v_rndne_f32_e32 v97, v86
	v_fmac_f32_e32 v27, 0x32a5705f, v87
	v_sub_f32_e32 v39, v39, v103
	v_cmp_ngt_f32_e32 vcc_lo, 0xc2ce8ed0, v88
	v_fmac_f32_e32 v95, 0x32a5705f, v89
	v_sub_f32_e32 v86, v86, v97
	v_and_b32_e32 v90, 0xffff, v90
	v_rndne_f32_e32 v106, v104
	v_dual_add_f32 v27, v39, v27 :: v_dual_cndmask_b32 v85, 0, v85, vcc_lo
	s_delay_alu instid0(VALU_DEP_4) | instskip(NEXT) | instid1(VALU_DEP_4)
	v_add_f32_e32 v86, v86, v95
	v_mul_u32_u24_e32 v90, 0x10001, v90
	v_cvt_i32_f32_e32 v97, v97
	v_cmp_nlt_f32_e32 vcc_lo, 0x42b17218, v88
	v_sub_f32_e32 v39, v104, v106
	v_exp_f32_e32 v86, v86
	v_exp_f32_e32 v95, v27
	v_fma_f32 v105, 0x3fb8aa3b, v94, -v104
	v_cvt_i32_f32_e32 v103, v103
	v_cndmask_b32_e32 v27, 0x7f800000, v85, vcc_lo
	v_pk_mul_f16 v104, v84, v90
	v_cmp_ngt_f32_e32 vcc_lo, 0xc2ce8ed0, v89
	v_ldexp_f32 v84, v86, v97
	v_fmac_f32_e32 v105, 0x32a5705f, v94
	v_ldexp_f32 v85, v95, v103
	v_pk_mul_f16 v97, v83, v90
	v_cvt_i32_f32_e32 v83, v106
	v_cndmask_b32_e32 v84, 0, v84, vcc_lo
	v_cmp_ngt_f32_e32 vcc_lo, 0xc2ce8ed0, v87
	v_cndmask_b32_e32 v85, 0, v85, vcc_lo
	v_cmp_nlt_f32_e32 vcc_lo, 0x42b17218, v89
	s_delay_alu instid0(VALU_DEP_4) | instskip(NEXT) | instid1(VALU_DEP_1)
	v_dual_add_f32 v39, v39, v105 :: v_dual_cndmask_b32 v86, 0x7f800000, v84
	v_exp_f32_e32 v39, v39
	v_sub_f32_e32 v84, v93, v5
	v_cmp_nlt_f32_e32 vcc_lo, 0x42b17218, v87
	s_delay_alu instid0(VALU_DEP_3) | instskip(NEXT) | instid1(VALU_DEP_3)
	v_cvt_f16_f32_e32 v89, v86
	v_mul_f32_e32 v90, 0x3fb8aa3b, v84
	s_delay_alu instid0(TRANS32_DEP_1) | instskip(SKIP_1) | instid1(VALU_DEP_4)
	v_ldexp_f32 v39, v39, v83
	v_mul_f32_e32 v83, 0x3fb8aa3b, v36
	v_and_b32_e32 v89, 0xffff, v89
	s_delay_alu instid0(VALU_DEP_4) | instskip(SKIP_1) | instid1(VALU_DEP_4)
	v_fma_f32 v93, 0x3fb8aa3b, v84, -v90
	v_rndne_f32_e32 v95, v90
	v_rndne_f32_e32 v87, v83
	v_cndmask_b32_e32 v88, 0x7f800000, v85, vcc_lo
	v_fma_f32 v85, 0x3fb8aa3b, v36, -v83
	v_cmp_ngt_f32_e32 vcc_lo, 0xc2ce8ed0, v94
	v_fmac_f32_e32 v93, 0x32a5705f, v84
	v_sub_f32_e32 v83, v83, v87
	s_delay_alu instid0(VALU_DEP_4) | instskip(SKIP_2) | instid1(VALU_DEP_3)
	v_fmac_f32_e32 v85, 0x32a5705f, v36
	v_cndmask_b32_e32 v39, 0, v39, vcc_lo
	v_cmp_nlt_f32_e32 vcc_lo, 0x42b17218, v94
	v_add_f32_e32 v83, v83, v85
	v_mul_u32_u24_e32 v85, 0x10001, v89
	v_sub_f32_e32 v89, v90, v95
	v_mul_f32_e32 v90, 0x3fb8aa3b, v35
	v_cndmask_b32_e32 v94, 0x7f800000, v39, vcc_lo
	v_exp_f32_e32 v83, v83
	v_cvt_i32_f32_e32 v39, v87
	v_add_f32_e32 v87, v89, v93
	v_pk_mul_f16 v103, v82, v85
	v_fma_f32 v82, 0x3fb8aa3b, v35, -v90
	v_rndne_f32_e32 v93, v90
	v_cmp_ngt_f32_e32 vcc_lo, 0xc2ce8ed0, v36
	v_ldexp_f32 v39, v83, v39
	v_exp_f32_e32 v83, v87
	s_delay_alu instid0(VALU_DEP_3) | instskip(SKIP_1) | instid1(VALU_DEP_3)
	v_dual_fmac_f32 v82, 0x32a5705f, v35 :: v_dual_sub_f32 v89, v90, v93
	v_cvt_i32_f32_e32 v90, v93
	v_cndmask_b32_e32 v39, 0, v39, vcc_lo
	v_cvt_i32_f32_e32 v87, v95
	v_cmp_nlt_f32_e32 vcc_lo, 0x42b17218, v36
	v_add_f32_e32 v82, v89, v82
	v_pk_mul_f16 v81, v81, v85
	v_mul_f32_e32 v85, 0x3fb8aa3b, v38
	v_ldexp_f32 v83, v83, v87
	s_delay_alu instid0(VALU_DEP_4) | instskip(SKIP_1) | instid1(TRANS32_DEP_1)
	v_exp_f32_e32 v82, v82
	v_nop
	v_ldexp_f32 v82, v82, v90
	v_mul_f32_e32 v90, 0x3fb8aa3b, v37
	s_delay_alu instid0(VALU_DEP_1)
	v_rndne_f32_e32 v106, v90
	v_cndmask_b32_e32 v89, 0x7f800000, v39, vcc_lo
	v_cmp_ngt_f32_e32 vcc_lo, 0xc2ce8ed0, v84
	v_fma_f32 v39, 0x3fb8aa3b, v38, -v85
	v_cndmask_b32_e32 v36, 0, v83, vcc_lo
	v_rndne_f32_e32 v83, v85
	v_cmp_nlt_f32_e32 vcc_lo, 0x42b17218, v84
	v_sub_f32_e32 v84, v92, v6
	v_fmac_f32_e32 v39, 0x32a5705f, v38
	s_delay_alu instid0(VALU_DEP_4) | instskip(SKIP_2) | instid1(VALU_DEP_3)
	v_dual_cndmask_b32 v87, 0x7f800000, v36 :: v_dual_sub_f32 v36, v85, v83
	v_cmp_ngt_f32_e32 vcc_lo, 0xc2ce8ed0, v35
	v_cvt_i32_f32_e32 v83, v83
	v_cvt_f16_f32_e32 v85, v87
	s_delay_alu instid0(VALU_DEP_4) | instskip(SKIP_2) | instid1(VALU_DEP_4)
	v_dual_add_f32 v36, v36, v39 :: v_dual_mul_f32 v39, 0x3fb8aa3b, v84
	v_cndmask_b32_e32 v82, 0, v82, vcc_lo
	v_cmp_nlt_f32_e32 vcc_lo, 0x42b17218, v35
	v_and_b32_e32 v85, 0xffff, v85
	s_delay_alu instid0(VALU_DEP_4) | instskip(SKIP_4) | instid1(VALU_DEP_3)
	v_exp_f32_e32 v36, v36
	v_fma_f32 v92, 0x3fb8aa3b, v84, -v39
	v_rndne_f32_e32 v93, v39
	v_cndmask_b32_e32 v95, 0x7f800000, v82, vcc_lo
	v_cmp_ngt_f32_e32 vcc_lo, 0xc2ce8ed0, v38
	v_dual_fmac_f32 v92, 0x32a5705f, v84 :: v_dual_sub_f32 v39, v39, v93
	s_delay_alu instid0(TRANS32_DEP_1) | instskip(SKIP_2) | instid1(VALU_DEP_4)
	v_ldexp_f32 v36, v36, v83
	v_cvt_i32_f32_e32 v82, v93
	v_cvt_i32_f32_e32 v83, v106
	v_add_f32_e32 v39, v39, v92
	v_fma_f32 v105, 0x3fb8aa3b, v37, -v90
	v_dual_sub_f32 v90, v90, v106 :: v_dual_cndmask_b32 v36, 0, v36, vcc_lo
	v_cmp_nlt_f32_e32 vcc_lo, 0x42b17218, v38
	s_delay_alu instid0(VALU_DEP_4) | instskip(NEXT) | instid1(VALU_DEP_3)
	v_exp_f32_e32 v39, v39
	v_fmac_f32_e32 v105, 0x32a5705f, v37
	s_delay_alu instid0(VALU_DEP_1) | instskip(SKIP_3) | instid1(VALU_DEP_4)
	v_add_f32_e32 v35, v90, v105
	v_mul_u32_u24_e32 v105, 0x10001, v85
	v_dual_mul_f32 v85, 0x3fb8aa3b, v34 :: v_dual_mul_f32 v90, 0x3fb8aa3b, v33
	v_cndmask_b32_e32 v38, 0x7f800000, v36, vcc_lo
	v_exp_f32_e32 v35, v35
	v_sub_f32_e32 v36, v91, v7
	v_ldexp_f32 v39, v39, v82
	v_fma_f32 v82, 0x3fb8aa3b, v34, -v85
	v_rndne_f32_e32 v91, v85
	v_rndne_f32_e32 v93, v90
	v_fma_f32 v92, 0x3fb8aa3b, v33, -v90
	v_ldexp_f32 v35, v35, v83
	v_mul_f32_e32 v83, 0x3fb8aa3b, v36
	v_cmp_ngt_f32_e32 vcc_lo, 0xc2ce8ed0, v84
	v_dual_fmac_f32 v82, 0x32a5705f, v34 :: v_dual_sub_f32 v85, v85, v91
	v_sub_f32_e32 v90, v90, v93
	s_delay_alu instid0(VALU_DEP_4) | instskip(SKIP_3) | instid1(VALU_DEP_4)
	v_rndne_f32_e32 v107, v83
	v_fma_f32 v106, 0x3fb8aa3b, v36, -v83
	v_dual_fmac_f32 v92, 0x32a5705f, v33 :: v_dual_cndmask_b32 v39, 0, v39
	v_cmp_nlt_f32_e32 vcc_lo, 0x42b17218, v84
	v_dual_sub_f32 v83, v83, v107 :: v_dual_add_f32 v82, v85, v82
	s_delay_alu instid0(VALU_DEP_3) | instskip(SKIP_2) | instid1(VALU_DEP_4)
	v_dual_add_f32 v85, v90, v92 :: v_dual_cndmask_b32 v90, 0x7f800000, v39
	v_cmp_ngt_f32_e32 vcc_lo, 0xc2ce8ed0, v37
	v_fmac_f32_e32 v106, 0x32a5705f, v36
	v_exp_f32_e32 v82, v82
	s_delay_alu instid0(VALU_DEP_3)
	v_exp_f32_e32 v84, v85
	v_nop
	v_cvt_i32_f32_e32 v85, v93
	v_dual_cndmask_b32 v35, 0, v35, vcc_lo :: v_dual_add_f32 v39, v83, v106
	v_cvt_i32_f32_e32 v83, v91
	v_cmp_ngt_f32_e32 vcc_lo, 0xc2ce8ed0, v34
	v_cvt_i32_f32_e32 v91, v107
	v_ldexp_f32 v84, v84, v85
	v_exp_f32_e32 v39, v39
	v_ldexp_f32 v82, v82, v83
	v_cvt_f16_f32_e32 v83, v90
	s_delay_alu instid0(VALU_DEP_2) | instskip(SKIP_1) | instid1(TRANS32_DEP_1)
	v_cndmask_b32_e32 v82, 0, v82, vcc_lo
	v_cmp_ngt_f32_e32 vcc_lo, 0xc2ce8ed0, v33
	v_ldexp_f32 v39, v39, v91
	s_delay_alu instid0(VALU_DEP_4)
	v_and_b32_e32 v106, 0xffff, v83
	v_cvt_pk_f16_f32 v83, v26, v27
	v_cndmask_b32_e32 v84, 0, v84, vcc_lo
	v_cmp_ngt_f32_e32 vcc_lo, 0xc2ce8ed0, v36
	v_cndmask_b32_e32 v85, 0, v39, vcc_lo
	v_cmp_nlt_f32_e32 vcc_lo, 0x42b17218, v34
	v_cvt_pk_f16_f32 v34, v18, v19
	v_pk_add_f32 v[18:19], v[18:19], v[20:21]
	v_cndmask_b32_e32 v39, 0x7f800000, v82, vcc_lo
	v_cmp_nlt_f32_e32 vcc_lo, 0x42b17218, v37
	v_cvt_pk_f16_f32 v82, v20, v21
	s_delay_alu instid0(VALU_DEP_4) | instskip(NEXT) | instid1(VALU_DEP_4)
	v_pk_fma_f32 v[46:47], v[46:47], v[16:17], v[18:19]
	v_cvt_pk_f16_f32 v37, v38, v39
	v_cndmask_b32_e32 v92, 0x7f800000, v35, vcc_lo
	v_cmp_nlt_f32_e32 vcc_lo, 0x42b17218, v33
	v_cvt_pk_f16_f32 v35, v24, v25
	v_pk_mul_f16 v33, v80, v105
	v_mul_u32_u24_e32 v80, 0x10001, v106
	v_pk_add_f32 v[24:25], v[24:25], v[26:27]
	v_cndmask_b32_e32 v93, 0x7f800000, v84, vcc_lo
	v_cmp_nlt_f32_e32 vcc_lo, 0x42b17218, v36
	v_cvt_pk_f16_f32 v36, v88, v89
	v_cvt_pk_f16_f32 v84, v94, v95
	v_pk_fma_f32 v[44:45], v[44:45], v[22:23], v[24:25]
	v_cndmask_b32_e32 v91, 0x7f800000, v85, vcc_lo
	v_cvt_pk_f16_f32 v85, v92, v93
	ds_store_b128 v74, v[34:37]
	ds_store_b128 v74, v[82:85] offset:512
	s_wait_loadcnt 0x1
	ds_store_b128 v71, v[8:11]
	s_wait_loadcnt 0x0
	ds_store_b128 v72, v[12:15]
	s_wait_dscnt 0x0
	s_barrier_signal -1
	s_barrier_wait -1
	ds_load_b128 v[8:11], v70
	v_cvt_f16_f32_e32 v106, v91
	v_pk_add_f32 v[14:15], v[88:89], v[94:95]
	v_pk_mul_f16 v35, v77, v80
	v_pk_mul_f16 v36, v78, v80
	;; [unrolled: 1-line block ×3, first 2 shown]
	v_and_b32_e32 v37, 0xffff, v106
	v_pk_fma_f32 v[42:43], v[42:43], v[86:87], v[14:15]
	s_delay_alu instid0(VALU_DEP_2) | instskip(NEXT) | instid1(VALU_DEP_1)
	v_mul_u32_u24_e32 v20, 0x10001, v37
	v_pk_mul_f16 v37, v75, v20
	s_wait_dscnt 0x0
	v_lshrrev_b32_e32 v75, 16, v9
	v_pk_add_f32 v[12:13], v[38:39], v[92:93]
	v_pk_mul_f16 v38, v76, v20
	v_lshrrev_b32_e32 v39, 16, v8
	v_and_b32_e32 v8, 0xffff, v8
	v_lshrrev_b32_e32 v76, 16, v10
	v_pk_fma_f32 v[40:41], v[40:41], v[90:91], v[12:13]
	ds_load_2addr_b64 v[12:15], v73 offset1:32
	ds_load_b128 v[16:19], v70 offset:16
	ds_load_b128 v[20:23], v70 offset:32
	;; [unrolled: 1-line block ×3, first 2 shown]
	v_lshrrev_b32_e32 v77, 16, v11
	v_and_b32_e32 v11, 0xffff, v11
	v_and_b32_e32 v9, 0xffff, v9
	;; [unrolled: 1-line block ×3, first 2 shown]
	v_mul_u32_u24_e32 v8, 0x10001, v8
	v_mul_u32_u24_e32 v39, 0x10001, v39
	;; [unrolled: 1-line block ×7, first 2 shown]
	s_wait_dscnt 0x3
	v_pk_fma_f16 v35, v12, v11, v35
	v_pk_fma_f16 v36, v13, v11, v36
	s_wait_dscnt 0x2
	v_lshrrev_b32_e32 v11, 16, v16
	v_mul_u32_u24_e32 v77, 0x10001, v77
	v_pk_fma_f16 v78, v12, v8, v96
	v_pk_fma_f16 v79, v12, v39, v101
	;; [unrolled: 1-line block ×14, first 2 shown]
	v_and_b32_e32 v16, 0xffff, v16
	v_dual_lshrrev_b32 v38, 16, v17 :: v_dual_lshrrev_b32 v75, 16, v18
	v_lshrrev_b32_e32 v76, 16, v19
	v_and_b32_e32 v17, 0xffff, v17
	v_and_b32_e32 v18, 0xffff, v18
	;; [unrolled: 1-line block ×3, first 2 shown]
	v_mul_u32_u24_e32 v16, 0x10001, v16
	v_mul_u32_u24_e32 v11, 0x10001, v11
	;; [unrolled: 1-line block ×8, first 2 shown]
	v_pk_fma_f16 v77, v14, v16, v78
	v_pk_fma_f16 v78, v14, v11, v79
	;; [unrolled: 1-line block ×12, first 2 shown]
	ds_load_2addr_b64 v[8:11], v73 offset0:64 offset1:96
	v_pk_fma_f16 v37, v15, v38, v39
	v_pk_fma_f16 v34, v15, v75, v34
	;; [unrolled: 1-line block ×4, first 2 shown]
	s_wait_dscnt 0x2
	v_lshrrev_b32_e32 v15, 16, v20
	v_and_b32_e32 v20, 0xffff, v20
	v_dual_lshrrev_b32 v36, 16, v21 :: v_dual_lshrrev_b32 v38, 16, v22
	v_lshrrev_b32_e32 v39, 16, v23
	v_and_b32_e32 v21, 0xffff, v21
	v_and_b32_e32 v22, 0xffff, v22
	;; [unrolled: 1-line block ×3, first 2 shown]
	v_mul_u32_u24_e32 v20, 0x10001, v20
	v_mul_u32_u24_e32 v15, 0x10001, v15
	;; [unrolled: 1-line block ×8, first 2 shown]
	s_wait_dscnt 0x0
	v_pk_fma_f16 v75, v8, v20, v77
	v_pk_fma_f16 v76, v8, v15, v78
	;; [unrolled: 1-line block ×16, first 2 shown]
	v_lshrrev_b32_e32 v12, 16, v24
	v_and_b32_e32 v13, 0xffff, v24
	v_dual_lshrrev_b32 v14, 16, v25 :: v_dual_lshrrev_b32 v15, 16, v26
	v_and_b32_e32 v24, 0xffff, v25
	v_lshrrev_b32_e32 v19, 16, v27
	s_delay_alu instid0(VALU_DEP_4)
	v_mul_u32_u24_e32 v25, 0x10001, v13
	v_and_b32_e32 v13, 0xffff, v26
	v_mul_u32_u24_e32 v26, 0x10001, v12
	v_and_b32_e32 v12, 0xffff, v27
	v_mul_u32_u24_e32 v27, 0x10001, v14
	v_mul_u32_u24_e32 v36, 0x10001, v15
	;; [unrolled: 1-line block ×5, first 2 shown]
	ds_load_b128 v[12:15], v70 offset:64
	v_mul_u32_u24_e32 v38, 0x10001, v19
	v_pk_fma_f16 v39, v10, v25, v75
	v_pk_fma_f16 v75, v10, v26, v76
	v_pk_fma_f16 v76, v10, v24, v77
	v_pk_fma_f16 v77, v10, v27, v78
	v_pk_fma_f16 v78, v10, v34, v79
	v_pk_fma_f16 v33, v10, v36, v33
	v_pk_fma_f16 v35, v10, v37, v35
	v_pk_fma_f16 v79, v10, v38, v8
	v_pk_fma_f16 v20, v11, v25, v20
	v_pk_fma_f16 v25, v11, v26, v16
	v_pk_fma_f16 v24, v11, v24, v17
	v_pk_fma_f16 v21, v11, v27, v21
	v_pk_fma_f16 v26, v11, v34, v18
	v_pk_fma_f16 v22, v11, v36, v22
	ds_load_2addr_b64 v[16:19], v73 offset0:128 offset1:160
	v_pk_fma_f16 v23, v11, v37, v23
	v_pk_fma_f16 v27, v11, v38, v9
	ds_load_b128 v[8:11], v70 offset:80
	s_wait_dscnt 0x2
	v_lshrrev_b32_e32 v38, 16, v15
	v_and_b32_e32 v15, 0xffff, v15
	v_lshrrev_b32_e32 v34, 16, v12
	v_and_b32_e32 v12, 0xffff, v12
	v_dual_lshrrev_b32 v36, 16, v13 :: v_dual_lshrrev_b32 v37, 16, v14
	v_and_b32_e32 v13, 0xffff, v13
	v_and_b32_e32 v14, 0xffff, v14
	v_mul_u32_u24_e32 v15, 0x10001, v15
	v_mul_u32_u24_e32 v12, 0x10001, v12
	;; [unrolled: 1-line block ×7, first 2 shown]
	s_wait_dscnt 0x1
	v_pk_fma_f16 v35, v16, v15, v35
	v_pk_fma_f16 v23, v17, v15, v23
	;; [unrolled: 1-line block ×3, first 2 shown]
	s_wait_dscnt 0x0
	v_lshrrev_b32_e32 v15, 16, v8
	v_mul_u32_u24_e32 v38, 0x10001, v38
	v_and_b32_e32 v8, 0xffff, v8
	v_pk_fma_f16 v76, v16, v13, v76
	v_pk_fma_f16 v78, v16, v14, v78
	;; [unrolled: 1-line block ×9, first 2 shown]
	v_dual_lshrrev_b32 v24, 16, v9 :: v_dual_lshrrev_b32 v25, 16, v10
	v_and_b32_e32 v9, 0xffff, v9
	v_mul_u32_u24_e32 v27, 0x10001, v8
	v_and_b32_e32 v8, 0xffff, v10
	v_and_b32_e32 v10, 0xffff, v11
	v_pk_fma_f16 v75, v16, v34, v75
	v_pk_fma_f16 v77, v16, v36, v77
	;; [unrolled: 1-line block ×3, first 2 shown]
	v_lshrrev_b32_e32 v26, 16, v11
	v_mul_u32_u24_e32 v34, 0x10001, v9
	v_mul_u32_u24_e32 v36, 0x10001, v8
	;; [unrolled: 1-line block ×3, first 2 shown]
	ds_load_b128 v[8:11], v70 offset:96
	v_pk_fma_f16 v16, v16, v38, v79
	v_mul_u32_u24_e32 v15, 0x10001, v15
	v_mul_u32_u24_e32 v24, 0x10001, v24
	;; [unrolled: 1-line block ×4, first 2 shown]
	v_pk_fma_f16 v38, v18, v27, v39
	v_pk_fma_f16 v39, v18, v15, v75
	;; [unrolled: 1-line block ×14, first 2 shown]
	ds_load_2addr_b64 v[12:15], v73 offset0:192 offset1:224
	v_pk_fma_f16 v23, v19, v37, v23
	v_pk_fma_f16 v25, v19, v26, v17
	ds_load_b128 v[16:19], v70 offset:112
	s_wait_dscnt 0x2
	v_dual_lshrrev_b32 v26, 16, v8 :: v_dual_lshrrev_b32 v37, 16, v10
	v_and_b32_e32 v8, 0xffff, v8
	v_lshrrev_b32_e32 v36, 16, v9
	v_and_b32_e32 v9, 0xffff, v9
	v_lshrrev_b32_e32 v79, 16, v11
	v_and_b32_e32 v10, 0xffff, v10
	v_mul_u32_u24_e32 v8, 0x10001, v8
	v_mul_u32_u24_e32 v26, 0x10001, v26
	v_and_b32_e32 v11, 0xffff, v11
	v_mul_u32_u24_e32 v9, 0x10001, v9
	v_mul_u32_u24_e32 v36, 0x10001, v36
	;; [unrolled: 1-line block ×5, first 2 shown]
	s_wait_dscnt 0x1
	v_pk_fma_f16 v38, v12, v8, v38
	v_pk_fma_f16 v39, v12, v26, v39
	;; [unrolled: 1-line block ×6, first 2 shown]
	s_wait_dscnt 0x0
	v_lshrrev_b32_e32 v8, 16, v16
	v_mul_u32_u24_e32 v79, 0x10001, v79
	v_and_b32_e32 v9, 0xffff, v16
	v_pk_fma_f16 v77, v12, v10, v77
	v_pk_fma_f16 v35, v12, v11, v35
	;; [unrolled: 1-line block ×7, first 2 shown]
	v_dual_lshrrev_b32 v10, 16, v17 :: v_dual_lshrrev_b32 v11, 16, v18
	v_mul_u32_u24_e32 v25, 0x10001, v9
	v_and_b32_e32 v9, 0xffff, v18
	v_mul_u32_u24_e32 v18, 0x10001, v8
	v_and_b32_e32 v8, 0xffff, v19
	v_pk_fma_f16 v76, v12, v36, v76
	v_pk_fma_f16 v33, v12, v37, v33
	v_lshrrev_b32_e32 v16, 16, v19
	v_and_b32_e32 v17, 0xffff, v17
	v_mul_u32_u24_e32 v19, 0x10001, v10
	v_mul_u32_u24_e32 v34, 0x10001, v9
	;; [unrolled: 1-line block ×4, first 2 shown]
	ds_load_b128 v[8:11], v70 offset:128
	v_pk_fma_f16 v12, v12, v79, v78
	v_mul_u32_u24_e32 v17, 0x10001, v17
	v_mul_u32_u24_e32 v78, 0x10001, v16
	v_pk_fma_f16 v38, v14, v25, v38
	v_pk_fma_f16 v25, v15, v25, v27
	;; [unrolled: 1-line block ×3, first 2 shown]
	v_add_nc_u32_e32 v20, 0x800, v73
	v_pk_fma_f16 v39, v14, v18, v39
	v_pk_fma_f16 v75, v14, v17, v75
	;; [unrolled: 1-line block ×11, first 2 shown]
	ds_load_2addr_b64 v[16:19], v20 offset1:32
	v_pk_fma_f16 v23, v15, v37, v23
	v_pk_fma_f16 v34, v15, v78, v13
	ds_load_b128 v[12:15], v70 offset:144
	s_wait_dscnt 0x2
	v_lshrrev_b32_e32 v36, 16, v8
	v_and_b32_e32 v8, 0xffff, v8
	v_dual_lshrrev_b32 v37, 16, v9 :: v_dual_lshrrev_b32 v78, 16, v10
	v_and_b32_e32 v9, 0xffff, v9
	v_lshrrev_b32_e32 v80, 16, v11
	s_delay_alu instid0(VALU_DEP_4)
	v_mul_u32_u24_e32 v8, 0x10001, v8
	v_and_b32_e32 v10, 0xffff, v10
	v_and_b32_e32 v11, 0xffff, v11
	v_mul_u32_u24_e32 v9, 0x10001, v9
	v_mul_u32_u24_e32 v36, 0x10001, v36
	;; [unrolled: 1-line block ×6, first 2 shown]
	s_wait_dscnt 0x1
	v_pk_fma_f16 v38, v16, v8, v38
	v_pk_fma_f16 v75, v16, v9, v75
	;; [unrolled: 1-line block ×4, first 2 shown]
	s_wait_dscnt 0x0
	v_lshrrev_b32_e32 v8, 16, v12
	v_mul_u32_u24_e32 v80, 0x10001, v80
	v_and_b32_e32 v9, 0xffff, v12
	v_pk_fma_f16 v77, v16, v10, v77
	v_pk_fma_f16 v35, v16, v11, v35
	;; [unrolled: 1-line block ×8, first 2 shown]
	v_dual_lshrrev_b32 v10, 16, v13 :: v_dual_lshrrev_b32 v11, 16, v14
	v_mul_u32_u24_e32 v34, 0x10001, v9
	v_and_b32_e32 v9, 0xffff, v14
	v_mul_u32_u24_e32 v14, 0x10001, v8
	v_and_b32_e32 v8, 0xffff, v15
	v_pk_fma_f16 v39, v16, v36, v39
	v_pk_fma_f16 v76, v16, v37, v76
	v_pk_fma_f16 v33, v16, v78, v33
	v_lshrrev_b32_e32 v12, 16, v15
	v_and_b32_e32 v13, 0xffff, v13
	v_mul_u32_u24_e32 v15, 0x10001, v10
	v_mul_u32_u24_e32 v36, 0x10001, v9
	;; [unrolled: 1-line block ×4, first 2 shown]
	ds_load_b128 v[8:11], v70 offset:160
	v_pk_fma_f16 v16, v16, v80, v79
	v_mul_u32_u24_e32 v13, 0x10001, v13
	v_mul_u32_u24_e32 v79, 0x10001, v12
	v_pk_fma_f16 v38, v18, v34, v38
	v_pk_fma_f16 v39, v18, v14, v39
	v_pk_fma_f16 v76, v18, v15, v76
	v_pk_fma_f16 v75, v18, v13, v75
	v_pk_fma_f16 v77, v18, v36, v77
	v_pk_fma_f16 v33, v18, v37, v33
	v_pk_fma_f16 v35, v18, v78, v35
	v_pk_fma_f16 v80, v18, v79, v16
	v_pk_fma_f16 v25, v19, v34, v25
	v_pk_fma_f16 v27, v19, v14, v27
	v_pk_fma_f16 v26, v19, v13, v26
	v_pk_fma_f16 v21, v19, v15, v21
	v_pk_fma_f16 v24, v19, v36, v24
	v_pk_fma_f16 v22, v19, v37, v22
	ds_load_2addr_b64 v[12:15], v20 offset0:64 offset1:96
	v_pk_fma_f16 v23, v19, v78, v23
	v_pk_fma_f16 v34, v19, v79, v17
	ds_load_b128 v[16:19], v70 offset:176
	s_wait_dscnt 0x2
	v_lshrrev_b32_e32 v36, 16, v8
	v_and_b32_e32 v8, 0xffff, v8
	v_dual_lshrrev_b32 v37, 16, v9 :: v_dual_lshrrev_b32 v78, 16, v10
	v_and_b32_e32 v9, 0xffff, v9
	v_lshrrev_b32_e32 v79, 16, v11
	s_delay_alu instid0(VALU_DEP_4)
	v_mul_u32_u24_e32 v8, 0x10001, v8
	v_and_b32_e32 v10, 0xffff, v10
	v_and_b32_e32 v11, 0xffff, v11
	v_mul_u32_u24_e32 v9, 0x10001, v9
	v_mul_u32_u24_e32 v36, 0x10001, v36
	;; [unrolled: 1-line block ×6, first 2 shown]
	s_wait_dscnt 0x1
	v_pk_fma_f16 v38, v12, v8, v38
	v_pk_fma_f16 v75, v12, v9, v75
	;; [unrolled: 1-line block ×4, first 2 shown]
	s_wait_dscnt 0x0
	v_lshrrev_b32_e32 v8, 16, v16
	v_mul_u32_u24_e32 v79, 0x10001, v79
	v_and_b32_e32 v9, 0xffff, v16
	v_pk_fma_f16 v77, v12, v10, v77
	v_pk_fma_f16 v35, v12, v11, v35
	;; [unrolled: 1-line block ×8, first 2 shown]
	v_dual_lshrrev_b32 v10, 16, v17 :: v_dual_lshrrev_b32 v11, 16, v18
	v_mul_u32_u24_e32 v34, 0x10001, v9
	v_and_b32_e32 v9, 0xffff, v18
	v_mul_u32_u24_e32 v18, 0x10001, v8
	v_and_b32_e32 v8, 0xffff, v19
	v_pk_fma_f16 v39, v12, v36, v39
	v_pk_fma_f16 v76, v12, v37, v76
	;; [unrolled: 1-line block ×3, first 2 shown]
	v_lshrrev_b32_e32 v16, 16, v19
	v_and_b32_e32 v17, 0xffff, v17
	v_mul_u32_u24_e32 v19, 0x10001, v10
	v_mul_u32_u24_e32 v36, 0x10001, v9
	;; [unrolled: 1-line block ×4, first 2 shown]
	ds_load_b128 v[8:11], v70 offset:192
	v_pk_fma_f16 v12, v12, v79, v80
	v_mul_u32_u24_e32 v17, 0x10001, v17
	v_mul_u32_u24_e32 v79, 0x10001, v16
	v_pk_fma_f16 v38, v14, v34, v38
	v_pk_fma_f16 v39, v14, v18, v39
	;; [unrolled: 1-line block ×14, first 2 shown]
	ds_load_2addr_b64 v[16:19], v20 offset0:128 offset1:160
	v_pk_fma_f16 v23, v15, v78, v23
	v_pk_fma_f16 v34, v15, v79, v13
	ds_load_b128 v[12:15], v70 offset:208
	s_wait_dscnt 0x2
	v_lshrrev_b32_e32 v36, 16, v8
	v_and_b32_e32 v8, 0xffff, v8
	v_dual_lshrrev_b32 v37, 16, v9 :: v_dual_lshrrev_b32 v78, 16, v10
	v_and_b32_e32 v9, 0xffff, v9
	v_lshrrev_b32_e32 v79, 16, v11
	s_delay_alu instid0(VALU_DEP_4)
	v_mul_u32_u24_e32 v8, 0x10001, v8
	v_and_b32_e32 v10, 0xffff, v10
	v_and_b32_e32 v11, 0xffff, v11
	v_mul_u32_u24_e32 v9, 0x10001, v9
	v_mul_u32_u24_e32 v36, 0x10001, v36
	;; [unrolled: 1-line block ×6, first 2 shown]
	s_wait_dscnt 0x1
	v_pk_fma_f16 v38, v16, v8, v38
	v_pk_fma_f16 v75, v16, v9, v75
	v_pk_fma_f16 v25, v17, v8, v25
	v_pk_fma_f16 v26, v17, v9, v26
	s_wait_dscnt 0x0
	v_lshrrev_b32_e32 v8, 16, v12
	v_mul_u32_u24_e32 v79, 0x10001, v79
	v_and_b32_e32 v9, 0xffff, v12
	v_pk_fma_f16 v77, v16, v10, v77
	v_pk_fma_f16 v35, v16, v11, v35
	;; [unrolled: 1-line block ×8, first 2 shown]
	v_dual_lshrrev_b32 v10, 16, v13 :: v_dual_lshrrev_b32 v11, 16, v14
	v_mul_u32_u24_e32 v34, 0x10001, v9
	v_and_b32_e32 v9, 0xffff, v14
	v_mul_u32_u24_e32 v14, 0x10001, v8
	v_and_b32_e32 v8, 0xffff, v15
	v_pk_fma_f16 v39, v16, v36, v39
	v_pk_fma_f16 v76, v16, v37, v76
	;; [unrolled: 1-line block ×3, first 2 shown]
	v_lshrrev_b32_e32 v12, 16, v15
	v_and_b32_e32 v13, 0xffff, v13
	v_mul_u32_u24_e32 v15, 0x10001, v10
	v_mul_u32_u24_e32 v36, 0x10001, v9
	v_mul_u32_u24_e32 v37, 0x10001, v11
	v_mul_u32_u24_e32 v78, 0x10001, v8
	ds_load_b128 v[8:11], v70 offset:224
	v_pk_fma_f16 v16, v16, v79, v80
	v_mul_u32_u24_e32 v13, 0x10001, v13
	v_mul_u32_u24_e32 v79, 0x10001, v12
	v_pk_fma_f16 v38, v18, v34, v38
	v_pk_fma_f16 v39, v18, v14, v39
	;; [unrolled: 1-line block ×14, first 2 shown]
	ds_load_2addr_b64 v[12:15], v20 offset0:192 offset1:224
	v_pk_fma_f16 v23, v19, v78, v23
	v_pk_fma_f16 v34, v19, v79, v17
	ds_load_b128 v[16:19], v70 offset:240
	s_wait_dscnt 0x2
	v_lshrrev_b32_e32 v36, 16, v8
	v_and_b32_e32 v8, 0xffff, v8
	v_dual_lshrrev_b32 v37, 16, v9 :: v_dual_lshrrev_b32 v78, 16, v10
	v_and_b32_e32 v9, 0xffff, v9
	v_lshrrev_b32_e32 v79, 16, v11
	s_delay_alu instid0(VALU_DEP_4)
	v_mul_u32_u24_e32 v8, 0x10001, v8
	v_and_b32_e32 v10, 0xffff, v10
	v_and_b32_e32 v11, 0xffff, v11
	v_mul_u32_u24_e32 v9, 0x10001, v9
	v_mul_u32_u24_e32 v36, 0x10001, v36
	;; [unrolled: 1-line block ×6, first 2 shown]
	s_wait_dscnt 0x1
	v_pk_fma_f16 v38, v12, v8, v38
	v_pk_fma_f16 v75, v12, v9, v75
	;; [unrolled: 1-line block ×4, first 2 shown]
	s_wait_dscnt 0x0
	v_lshrrev_b32_e32 v8, 16, v16
	v_and_b32_e32 v9, 0xffff, v16
	v_mul_u32_u24_e32 v79, 0x10001, v79
	v_pk_fma_f16 v39, v12, v36, v39
	v_pk_fma_f16 v77, v12, v10, v77
	;; [unrolled: 1-line block ×7, first 2 shown]
	v_dual_lshrrev_b32 v10, 16, v17 :: v_dual_lshrrev_b32 v11, 16, v18
	v_mul_u32_u24_e32 v21, 0x10001, v9
	v_and_b32_e32 v9, 0xffff, v18
	v_mul_u32_u24_e32 v18, 0x10001, v8
	v_and_b32_e32 v8, 0xffff, v19
	v_pk_fma_f16 v76, v12, v37, v76
	v_pk_fma_f16 v33, v12, v78, v33
	;; [unrolled: 1-line block ×4, first 2 shown]
	v_lshrrev_b32_e32 v16, 16, v19
	v_and_b32_e32 v17, 0xffff, v17
	v_mul_u32_u24_e32 v19, 0x10001, v10
	v_mul_u32_u24_e32 v34, 0x10001, v9
	;; [unrolled: 1-line block ×4, first 2 shown]
	ds_load_b128 v[8:11], v70 offset:256
	v_pk_fma_f16 v12, v12, v79, v80
	v_mul_u32_u24_e32 v17, 0x10001, v17
	v_mul_u32_u24_e32 v79, 0x10001, v16
	v_pk_fma_f16 v38, v14, v21, v38
	v_pk_fma_f16 v25, v15, v21, v25
	v_add_nc_u32_e32 v21, 0x1000, v73
	v_pk_fma_f16 v39, v14, v18, v39
	v_pk_fma_f16 v75, v14, v17, v75
	;; [unrolled: 1-line block ×12, first 2 shown]
	ds_load_2addr_b64 v[16:19], v21 offset1:32
	v_pk_fma_f16 v23, v15, v78, v23
	v_pk_fma_f16 v34, v15, v79, v13
	ds_load_b128 v[12:15], v70 offset:272
	s_wait_dscnt 0x2
	v_lshrrev_b32_e32 v37, 16, v8
	v_and_b32_e32 v8, 0xffff, v8
	v_dual_lshrrev_b32 v78, 16, v9 :: v_dual_lshrrev_b32 v79, 16, v10
	v_and_b32_e32 v9, 0xffff, v9
	v_lshrrev_b32_e32 v81, 16, v11
	s_delay_alu instid0(VALU_DEP_4)
	v_mul_u32_u24_e32 v8, 0x10001, v8
	v_and_b32_e32 v10, 0xffff, v10
	v_and_b32_e32 v11, 0xffff, v11
	v_mul_u32_u24_e32 v9, 0x10001, v9
	v_mul_u32_u24_e32 v37, 0x10001, v37
	;; [unrolled: 1-line block ×6, first 2 shown]
	s_wait_dscnt 0x1
	v_pk_fma_f16 v38, v16, v8, v38
	v_pk_fma_f16 v75, v16, v9, v75
	;; [unrolled: 1-line block ×4, first 2 shown]
	s_wait_dscnt 0x0
	v_lshrrev_b32_e32 v8, 16, v12
	v_mul_u32_u24_e32 v81, 0x10001, v81
	v_and_b32_e32 v9, 0xffff, v12
	v_pk_fma_f16 v77, v16, v10, v77
	v_pk_fma_f16 v35, v16, v11, v35
	;; [unrolled: 1-line block ×8, first 2 shown]
	v_dual_lshrrev_b32 v10, 16, v13 :: v_dual_lshrrev_b32 v11, 16, v14
	v_mul_u32_u24_e32 v34, 0x10001, v9
	v_and_b32_e32 v9, 0xffff, v14
	v_mul_u32_u24_e32 v14, 0x10001, v8
	v_and_b32_e32 v8, 0xffff, v15
	v_pk_fma_f16 v39, v16, v37, v39
	v_pk_fma_f16 v76, v16, v78, v76
	;; [unrolled: 1-line block ×3, first 2 shown]
	v_lshrrev_b32_e32 v12, 16, v15
	v_and_b32_e32 v13, 0xffff, v13
	v_mul_u32_u24_e32 v15, 0x10001, v10
	v_mul_u32_u24_e32 v37, 0x10001, v9
	;; [unrolled: 1-line block ×4, first 2 shown]
	ds_load_b128 v[8:11], v70 offset:288
	v_pk_fma_f16 v16, v16, v81, v80
	v_mul_u32_u24_e32 v13, 0x10001, v13
	v_mul_u32_u24_e32 v80, 0x10001, v12
	v_pk_fma_f16 v38, v18, v34, v38
	v_pk_fma_f16 v39, v18, v14, v39
	;; [unrolled: 1-line block ×14, first 2 shown]
	ds_load_2addr_b64 v[12:15], v21 offset0:64 offset1:96
	v_pk_fma_f16 v23, v19, v79, v23
	v_pk_fma_f16 v36, v19, v80, v17
	ds_load_b128 v[16:19], v70 offset:304
	s_wait_dscnt 0x2
	v_lshrrev_b32_e32 v80, 16, v11
	v_and_b32_e32 v11, 0xffff, v11
	v_lshrrev_b32_e32 v37, 16, v8
	v_and_b32_e32 v8, 0xffff, v8
	v_dual_lshrrev_b32 v78, 16, v9 :: v_dual_lshrrev_b32 v79, 16, v10
	v_and_b32_e32 v9, 0xffff, v9
	v_and_b32_e32 v10, 0xffff, v10
	v_mul_u32_u24_e32 v11, 0x10001, v11
	v_mul_u32_u24_e32 v8, 0x10001, v8
	;; [unrolled: 1-line block ×7, first 2 shown]
	s_wait_dscnt 0x1
	v_pk_fma_f16 v35, v12, v11, v35
	v_pk_fma_f16 v23, v13, v11, v23
	;; [unrolled: 1-line block ×3, first 2 shown]
	s_wait_dscnt 0x0
	v_lshrrev_b32_e32 v11, 16, v16
	v_mul_u32_u24_e32 v80, 0x10001, v80
	v_and_b32_e32 v16, 0xffff, v16
	v_pk_fma_f16 v75, v12, v9, v75
	v_pk_fma_f16 v77, v12, v10, v77
	;; [unrolled: 1-line block ×9, first 2 shown]
	v_dual_lshrrev_b32 v24, 16, v17 :: v_dual_lshrrev_b32 v27, 16, v18
	v_and_b32_e32 v17, 0xffff, v17
	v_mul_u32_u24_e32 v36, 0x10001, v16
	v_and_b32_e32 v16, 0xffff, v18
	v_and_b32_e32 v18, 0xffff, v19
	v_pk_fma_f16 v39, v12, v37, v39
	v_pk_fma_f16 v76, v12, v78, v76
	;; [unrolled: 1-line block ×3, first 2 shown]
	v_lshrrev_b32_e32 v34, 16, v19
	v_mul_u32_u24_e32 v37, 0x10001, v17
	v_mul_u32_u24_e32 v78, 0x10001, v16
	;; [unrolled: 1-line block ×3, first 2 shown]
	ds_load_b128 v[16:19], v70 offset:320
	v_pk_fma_f16 v12, v12, v80, v81
	v_mul_u32_u24_e32 v11, 0x10001, v11
	v_mul_u32_u24_e32 v24, 0x10001, v24
	;; [unrolled: 1-line block ×4, first 2 shown]
	v_pk_fma_f16 v38, v14, v36, v38
	v_pk_fma_f16 v39, v14, v11, v39
	;; [unrolled: 1-line block ×14, first 2 shown]
	ds_load_2addr_b64 v[8:11], v21 offset0:128 offset1:160
	v_pk_fma_f16 v23, v15, v79, v23
	v_pk_fma_f16 v27, v15, v34, v13
	ds_load_b128 v[12:15], v70 offset:336
	s_wait_dscnt 0x2
	v_lshrrev_b32_e32 v78, 16, v17
	v_and_b32_e32 v17, 0xffff, v17
	v_dual_lshrrev_b32 v34, 16, v16 :: v_dual_lshrrev_b32 v79, 16, v18
	v_and_b32_e32 v16, 0xffff, v16
	v_lshrrev_b32_e32 v81, 16, v19
	s_delay_alu instid0(VALU_DEP_4)
	v_mul_u32_u24_e32 v17, 0x10001, v17
	v_and_b32_e32 v18, 0xffff, v18
	v_and_b32_e32 v19, 0xffff, v19
	v_mul_u32_u24_e32 v16, 0x10001, v16
	v_mul_u32_u24_e32 v34, 0x10001, v34
	;; [unrolled: 1-line block ×6, first 2 shown]
	s_wait_dscnt 0x1
	v_pk_fma_f16 v75, v8, v17, v75
	v_pk_fma_f16 v132, v9, v17, v37
	;; [unrolled: 1-line block ×3, first 2 shown]
	s_wait_dscnt 0x0
	v_lshrrev_b32_e32 v17, 16, v12
	v_and_b32_e32 v12, 0xffff, v12
	v_mul_u32_u24_e32 v81, 0x10001, v81
	v_pk_fma_f16 v39, v8, v34, v39
	v_pk_fma_f16 v128, v8, v78, v76
	v_mul_u32_u24_e32 v17, 0x10001, v17
	v_mul_u32_u24_e32 v12, 0x10001, v12
	v_pk_fma_f16 v129, v8, v18, v77
	v_pk_fma_f16 v33, v8, v79, v33
	;; [unrolled: 1-line block ×11, first 2 shown]
	v_add_nc_u64_e32 v[26:27], s[24:25], v[56:57]
	v_pk_fma_f16 v143, v10, v12, v38
	v_pk_fma_f16 v144, v10, v17, v39
	v_add_nc_u64_e32 v[38:39], s[24:25], v[58:59]
	v_dual_lshrrev_b32 v18, 16, v13 :: v_dual_lshrrev_b32 v19, 16, v14
	v_lshrrev_b32_e32 v137, 16, v15
	v_add_nc_u64_e32 v[26:27], v[26:27], v[50:51]
	v_and_b32_e32 v13, 0xffff, v13
	v_and_b32_e32 v14, 0xffff, v14
	v_add_nc_u64_e32 v[38:39], v[38:39], v[50:51]
	v_and_b32_e32 v15, 0xffff, v15
	v_pk_fma_f16 v145, v11, v12, v8
	v_add_nc_u32_e32 v8, 0x1800, v73
	v_mul_u32_u24_e32 v138, 0x10001, v13
	v_mul_u32_u24_e32 v139, 0x10001, v18
	;; [unrolled: 1-line block ×5, first 2 shown]
	v_pk_fma_f16 v146, v11, v17, v16
	ds_load_2addr_b64 v[12:15], v21 offset0:192 offset1:224
	ds_load_b128 v[22:25], v70 offset:352
	ds_load_b128 v[34:37], v70 offset:368
	ds_load_2addr_b64 v[76:79], v8 offset1:32
	ds_load_b128 v[80:83], v70 offset:384
	ds_load_b128 v[84:87], v70 offset:400
	ds_load_2addr_b64 v[88:91], v8 offset0:64 offset1:96
	ds_load_b128 v[92:95], v70 offset:416
	ds_load_b128 v[96:99], v70 offset:432
	ds_load_2addr_b64 v[100:103], v8 offset0:128 offset1:160
	;; [unrolled: 3-line block ×3, first 2 shown]
	ds_load_b128 v[112:115], v70 offset:480
	ds_load_b128 v[116:119], v70 offset:496
	s_wait_dscnt 0x0
	s_barrier_signal -1
	s_barrier_wait -1
	s_clause 0x1
	global_load_b128 v[120:123], v[26:27], off
	global_load_b128 v[124:127], v[38:39], off
	s_wait_xcnt 0x1
	v_mul_u32_u24_e32 v26, 0x10001, v137
	v_pk_fma_f16 v27, v10, v138, v75
	s_wait_xcnt 0x0
	v_pk_fma_f16 v38, v10, v139, v128
	v_pk_fma_f16 v39, v10, v140, v129
	;; [unrolled: 1-line block ×11, first 2 shown]
	v_lshrrev_b32_e32 v11, 16, v22
	v_and_b32_e32 v22, 0xffff, v22
	v_dual_lshrrev_b32 v26, 16, v23 :: v_dual_lshrrev_b32 v133, 16, v24
	v_lshrrev_b32_e32 v134, 16, v25
	v_and_b32_e32 v23, 0xffff, v23
	v_and_b32_e32 v24, 0xffff, v24
	;; [unrolled: 1-line block ×3, first 2 shown]
	v_mul_u32_u24_e32 v22, 0x10001, v22
	v_mul_u32_u24_e32 v11, 0x10001, v11
	;; [unrolled: 1-line block ×8, first 2 shown]
	v_pk_fma_f16 v135, v12, v22, v143
	v_pk_fma_f16 v136, v12, v11, v144
	v_pk_fma_f16 v27, v12, v23, v27
	v_pk_fma_f16 v38, v12, v26, v38
	v_pk_fma_f16 v39, v12, v24, v39
	v_pk_fma_f16 v33, v12, v133, v33
	v_pk_fma_f16 v75, v12, v25, v75
	v_pk_fma_f16 v10, v12, v134, v10
	v_pk_fma_f16 v12, v13, v22, v145
	v_pk_fma_f16 v11, v13, v11, v146
	v_pk_fma_f16 v22, v13, v23, v128
	v_pk_fma_f16 v23, v13, v26, v129
	v_pk_fma_f16 v24, v13, v24, v130
	v_pk_fma_f16 v26, v13, v133, v131
	v_pk_fma_f16 v25, v13, v25, v132
	v_pk_fma_f16 v9, v13, v134, v9
	v_lshrrev_b32_e32 v13, 16, v34
	v_and_b32_e32 v34, 0xffff, v34
	v_dual_lshrrev_b32 v128, 16, v35 :: v_dual_lshrrev_b32 v129, 16, v36
	v_lshrrev_b32_e32 v130, 16, v37
	v_and_b32_e32 v35, 0xffff, v35
	v_and_b32_e32 v36, 0xffff, v36
	;; [unrolled: 1-line block ×3, first 2 shown]
	v_mul_u32_u24_e32 v34, 0x10001, v34
	v_mul_u32_u24_e32 v13, 0x10001, v13
	;; [unrolled: 1-line block ×8, first 2 shown]
	v_pk_fma_f16 v131, v14, v34, v135
	v_pk_fma_f16 v132, v14, v13, v136
	;; [unrolled: 1-line block ×16, first 2 shown]
	v_lshrrev_b32_e32 v15, 16, v80
	v_and_b32_e32 v25, 0xffff, v80
	v_dual_lshrrev_b32 v26, 16, v81 :: v_dual_lshrrev_b32 v34, 16, v82
	v_and_b32_e32 v37, 0xffff, v82
	v_and_b32_e32 v80, 0xffff, v83
	v_lshrrev_b32_e32 v35, 16, v83
	v_and_b32_e32 v36, 0xffff, v81
	v_mul_u32_u24_e32 v15, 0x10001, v15
	v_mul_u32_u24_e32 v37, 0x10001, v37
	;; [unrolled: 1-line block ×7, first 2 shown]
	v_pk_fma_f16 v82, v76, v15, v132
	v_pk_fma_f16 v11, v77, v15, v11
	v_pk_fma_f16 v15, v77, v37, v22
	v_pk_fma_f16 v22, v77, v34, v23
	v_pk_fma_f16 v23, v77, v80, v24
	v_lshrrev_b32_e32 v24, 16, v84
	v_mul_u32_u24_e32 v35, 0x10001, v35
	v_pk_fma_f16 v81, v76, v25, v131
	v_pk_fma_f16 v27, v76, v36, v27
	v_pk_fma_f16 v38, v76, v26, v38
	v_pk_fma_f16 v39, v76, v37, v39
	v_pk_fma_f16 v33, v76, v34, v33
	v_pk_fma_f16 v75, v76, v80, v75
	v_pk_fma_f16 v10, v76, v35, v10
	v_pk_fma_f16 v12, v77, v25, v12
	v_pk_fma_f16 v13, v77, v36, v13
	v_pk_fma_f16 v14, v77, v26, v14
	v_pk_fma_f16 v9, v77, v35, v9
	v_and_b32_e32 v25, 0xffff, v84
	v_dual_lshrrev_b32 v26, 16, v85 :: v_dual_lshrrev_b32 v34, 16, v86
	v_lshrrev_b32_e32 v35, 16, v87
	v_and_b32_e32 v36, 0xffff, v85
	v_and_b32_e32 v37, 0xffff, v86
	v_mul_u32_u24_e32 v24, 0x10001, v24
	v_and_b32_e32 v76, 0xffff, v87
	v_mul_u32_u24_e32 v25, 0x10001, v25
	v_mul_u32_u24_e32 v36, 0x10001, v36
	v_mul_u32_u24_e32 v26, 0x10001, v26
	v_mul_u32_u24_e32 v37, 0x10001, v37
	v_mul_u32_u24_e32 v34, 0x10001, v34
	v_mul_u32_u24_e32 v76, 0x10001, v76
	v_pk_fma_f16 v80, v78, v24, v82
	v_pk_fma_f16 v11, v79, v24, v11
	v_lshrrev_b32_e32 v24, 16, v92
	v_mul_u32_u24_e32 v35, 0x10001, v35
	v_pk_fma_f16 v77, v78, v25, v81
	v_pk_fma_f16 v27, v78, v36, v27
	v_pk_fma_f16 v38, v78, v26, v38
	v_pk_fma_f16 v39, v78, v37, v39
	v_pk_fma_f16 v33, v78, v34, v33
	v_pk_fma_f16 v75, v78, v76, v75
	v_pk_fma_f16 v10, v78, v35, v10
	v_pk_fma_f16 v12, v79, v25, v12
	v_pk_fma_f16 v13, v79, v36, v13
	v_pk_fma_f16 v14, v79, v26, v14
	v_pk_fma_f16 v15, v79, v37, v15
	v_pk_fma_f16 v22, v79, v34, v22
	v_pk_fma_f16 v23, v79, v76, v23
	v_pk_fma_f16 v9, v79, v35, v9
	v_and_b32_e32 v25, 0xffff, v92
	v_dual_lshrrev_b32 v26, 16, v93 :: v_dual_lshrrev_b32 v34, 16, v94
	v_lshrrev_b32_e32 v35, 16, v95
	v_and_b32_e32 v36, 0xffff, v93
	v_and_b32_e32 v37, 0xffff, v94
	v_mul_u32_u24_e32 v24, 0x10001, v24
	v_and_b32_e32 v76, 0xffff, v95
	v_mul_u32_u24_e32 v25, 0x10001, v25
	v_mul_u32_u24_e32 v36, 0x10001, v36
	v_mul_u32_u24_e32 v26, 0x10001, v26
	v_mul_u32_u24_e32 v37, 0x10001, v37
	v_mul_u32_u24_e32 v34, 0x10001, v34
	v_mul_u32_u24_e32 v76, 0x10001, v76
	v_pk_fma_f16 v78, v88, v24, v80
	v_pk_fma_f16 v11, v89, v24, v11
	v_lshrrev_b32_e32 v24, 16, v96
	v_mul_u32_u24_e32 v35, 0x10001, v35
	v_pk_fma_f16 v77, v88, v25, v77
	v_pk_fma_f16 v27, v88, v36, v27
	v_pk_fma_f16 v38, v88, v26, v38
	v_pk_fma_f16 v39, v88, v37, v39
	v_pk_fma_f16 v33, v88, v34, v33
	v_pk_fma_f16 v75, v88, v76, v75
	v_pk_fma_f16 v10, v88, v35, v10
	v_pk_fma_f16 v12, v89, v25, v12
	v_pk_fma_f16 v13, v89, v36, v13
	v_pk_fma_f16 v14, v89, v26, v14
	v_pk_fma_f16 v15, v89, v37, v15
	v_pk_fma_f16 v22, v89, v34, v22
	v_pk_fma_f16 v23, v89, v76, v23
	v_pk_fma_f16 v9, v89, v35, v9
	v_and_b32_e32 v25, 0xffff, v96
	v_dual_lshrrev_b32 v26, 16, v97 :: v_dual_lshrrev_b32 v34, 16, v98
	v_lshrrev_b32_e32 v35, 16, v99
	v_and_b32_e32 v36, 0xffff, v97
	v_and_b32_e32 v37, 0xffff, v98
	v_mul_u32_u24_e32 v24, 0x10001, v24
	v_and_b32_e32 v76, 0xffff, v99
	v_mul_u32_u24_e32 v25, 0x10001, v25
	v_mul_u32_u24_e32 v36, 0x10001, v36
	v_mul_u32_u24_e32 v26, 0x10001, v26
	v_mul_u32_u24_e32 v37, 0x10001, v37
	v_mul_u32_u24_e32 v34, 0x10001, v34
	v_mul_u32_u24_e32 v76, 0x10001, v76
	v_pk_fma_f16 v78, v90, v24, v78
	v_pk_fma_f16 v11, v91, v24, v11
	v_lshrrev_b32_e32 v24, 16, v104
	v_mul_u32_u24_e32 v35, 0x10001, v35
	v_pk_fma_f16 v77, v90, v25, v77
	v_pk_fma_f16 v27, v90, v36, v27
	v_pk_fma_f16 v38, v90, v26, v38
	v_pk_fma_f16 v39, v90, v37, v39
	v_pk_fma_f16 v33, v90, v34, v33
	v_pk_fma_f16 v75, v90, v76, v75
	v_pk_fma_f16 v10, v90, v35, v10
	v_pk_fma_f16 v12, v91, v25, v12
	v_pk_fma_f16 v13, v91, v36, v13
	v_pk_fma_f16 v14, v91, v26, v14
	v_pk_fma_f16 v15, v91, v37, v15
	v_pk_fma_f16 v22, v91, v34, v22
	v_pk_fma_f16 v23, v91, v76, v23
	v_pk_fma_f16 v9, v91, v35, v9
	v_and_b32_e32 v25, 0xffff, v104
	v_dual_lshrrev_b32 v26, 16, v105 :: v_dual_lshrrev_b32 v34, 16, v106
	v_lshrrev_b32_e32 v35, 16, v107
	v_and_b32_e32 v36, 0xffff, v105
	v_and_b32_e32 v37, 0xffff, v106
	v_mul_u32_u24_e32 v24, 0x10001, v24
	v_and_b32_e32 v76, 0xffff, v107
	v_mul_u32_u24_e32 v25, 0x10001, v25
	v_mul_u32_u24_e32 v36, 0x10001, v36
	v_mul_u32_u24_e32 v26, 0x10001, v26
	v_mul_u32_u24_e32 v37, 0x10001, v37
	v_mul_u32_u24_e32 v34, 0x10001, v34
	v_mul_u32_u24_e32 v76, 0x10001, v76
	v_pk_fma_f16 v78, v100, v24, v78
	v_pk_fma_f16 v11, v101, v24, v11
	v_lshrrev_b32_e32 v24, 16, v108
	v_mul_u32_u24_e32 v35, 0x10001, v35
	v_pk_fma_f16 v77, v100, v25, v77
	v_pk_fma_f16 v27, v100, v36, v27
	v_pk_fma_f16 v38, v100, v26, v38
	v_pk_fma_f16 v39, v100, v37, v39
	v_pk_fma_f16 v33, v100, v34, v33
	v_pk_fma_f16 v75, v100, v76, v75
	v_pk_fma_f16 v10, v100, v35, v10
	v_pk_fma_f16 v12, v101, v25, v12
	v_pk_fma_f16 v13, v101, v36, v13
	v_pk_fma_f16 v14, v101, v26, v14
	v_pk_fma_f16 v15, v101, v37, v15
	v_pk_fma_f16 v22, v101, v34, v22
	v_pk_fma_f16 v23, v101, v76, v23
	v_pk_fma_f16 v9, v101, v35, v9
	v_and_b32_e32 v25, 0xffff, v108
	v_dual_lshrrev_b32 v26, 16, v109 :: v_dual_lshrrev_b32 v34, 16, v110
	v_lshrrev_b32_e32 v35, 16, v111
	v_and_b32_e32 v36, 0xffff, v109
	v_and_b32_e32 v37, 0xffff, v110
	v_mul_u32_u24_e32 v24, 0x10001, v24
	v_and_b32_e32 v76, 0xffff, v111
	v_mul_u32_u24_e32 v25, 0x10001, v25
	v_mul_u32_u24_e32 v36, 0x10001, v36
	v_mul_u32_u24_e32 v26, 0x10001, v26
	v_mul_u32_u24_e32 v37, 0x10001, v37
	v_mul_u32_u24_e32 v34, 0x10001, v34
	v_mul_u32_u24_e32 v76, 0x10001, v76
	v_pk_fma_f16 v78, v102, v24, v78
	v_pk_fma_f16 v11, v103, v24, v11
	v_lshrrev_b32_e32 v24, 16, v112
	v_mul_u32_u24_e32 v35, 0x10001, v35
	v_pk_fma_f16 v77, v102, v25, v77
	v_pk_fma_f16 v27, v102, v36, v27
	v_pk_fma_f16 v38, v102, v26, v38
	v_pk_fma_f16 v39, v102, v37, v39
	v_pk_fma_f16 v33, v102, v34, v33
	;; [unrolled: 1-line block ×11, first 2 shown]
	v_and_b32_e32 v25, 0xffff, v112
	v_dual_lshrrev_b32 v26, 16, v113 :: v_dual_lshrrev_b32 v34, 16, v114
	v_lshrrev_b32_e32 v35, 16, v115
	v_and_b32_e32 v36, 0xffff, v113
	v_and_b32_e32 v37, 0xffff, v114
	;; [unrolled: 1-line block ×3, first 2 shown]
	v_mul_u32_u24_e32 v25, 0x10001, v25
	v_mul_u32_u24_e32 v24, 0x10001, v24
	;; [unrolled: 1-line block ×8, first 2 shown]
	v_pk_fma_f16 v77, v16, v25, v77
	v_pk_fma_f16 v78, v16, v24, v78
	;; [unrolled: 1-line block ×9, first 2 shown]
	v_lshrrev_b32_e32 v10, 16, v116
	v_and_b32_e32 v11, 0xffff, v116
	v_pk_fma_f16 v25, v17, v25, v12
	v_pk_fma_f16 v36, v17, v36, v13
	;; [unrolled: 1-line block ×4, first 2 shown]
	v_dual_lshrrev_b32 v12, 16, v117 :: v_dual_lshrrev_b32 v13, 16, v118
	v_mul_u32_u24_e32 v34, 0x10001, v11
	v_and_b32_e32 v11, 0xffff, v118
	v_mul_u32_u24_e32 v35, 0x10001, v10
	v_and_b32_e32 v10, 0xffff, v119
	v_pk_fma_f16 v15, v17, v37, v15
	v_pk_fma_f16 v23, v17, v76, v23
	v_mul_u32_u24_e32 v37, 0x10001, v12
	v_mul_u32_u24_e32 v76, 0x10001, v11
	;; [unrolled: 1-line block ×4, first 2 shown]
	s_wait_loadcnt 0x1
	ds_store_b128 v71, v[120:123]
	s_wait_loadcnt 0x0
	ds_store_b128 v72, v[124:127]
	s_wait_dscnt 0x0
	s_barrier_signal -1
	s_barrier_wait -1
	ds_load_b128 v[10:13], v70 offset:512
	v_pk_fma_f16 v14, v17, v26, v14
	v_lshrrev_b32_e32 v17, 16, v119
	v_and_b32_e32 v26, 0xffff, v117
	v_pk_fma_f16 v81, v18, v34, v77
	v_pk_fma_f16 v82, v18, v35, v78
	;; [unrolled: 1-line block ×3, first 2 shown]
	v_mul_u32_u24_e32 v17, 0x10001, v17
	v_mul_u32_u24_e32 v26, 0x10001, v26
	v_pk_fma_f16 v39, v18, v76, v39
	v_pk_fma_f16 v33, v18, v79, v33
	;; [unrolled: 1-line block ×13, first 2 shown]
	ds_load_2addr_b64 v[14:17], v73 offset1:32
	ds_load_b128 v[22:25], v70 offset:528
	ds_load_b128 v[34:37], v70 offset:544
	;; [unrolled: 1-line block ×3, first 2 shown]
	s_wait_dscnt 0x4
	v_lshrrev_b32_e32 v90, 16, v13
	v_and_b32_e32 v13, 0xffff, v13
	v_lshrrev_b32_e32 v19, 16, v10
	v_and_b32_e32 v10, 0xffff, v10
	v_dual_lshrrev_b32 v88, 16, v11 :: v_dual_lshrrev_b32 v89, 16, v12
	v_and_b32_e32 v11, 0xffff, v11
	v_and_b32_e32 v12, 0xffff, v12
	v_mul_u32_u24_e32 v13, 0x10001, v13
	v_mul_u32_u24_e32 v10, 0x10001, v10
	;; [unrolled: 1-line block ×7, first 2 shown]
	s_wait_dscnt 0x3
	v_pk_fma_f16 v75, v14, v13, v75
	v_pk_fma_f16 v80, v15, v13, v80
	s_wait_dscnt 0x2
	v_lshrrev_b32_e32 v13, 16, v22
	v_mul_u32_u24_e32 v90, 0x10001, v90
	v_pk_fma_f16 v81, v14, v10, v81
	v_pk_fma_f16 v82, v14, v19, v82
	;; [unrolled: 1-line block ×14, first 2 shown]
	v_and_b32_e32 v15, 0xffff, v22
	v_dual_lshrrev_b32 v22, 16, v23 :: v_dual_lshrrev_b32 v83, 16, v24
	v_lshrrev_b32_e32 v84, 16, v25
	v_and_b32_e32 v23, 0xffff, v23
	v_and_b32_e32 v24, 0xffff, v24
	;; [unrolled: 1-line block ×3, first 2 shown]
	v_mul_u32_u24_e32 v15, 0x10001, v15
	v_mul_u32_u24_e32 v13, 0x10001, v13
	;; [unrolled: 1-line block ×8, first 2 shown]
	v_pk_fma_f16 v81, v16, v15, v81
	v_pk_fma_f16 v82, v16, v13, v82
	;; [unrolled: 1-line block ×13, first 2 shown]
	ds_load_2addr_b64 v[10:13], v73 offset0:64 offset1:96
	v_pk_fma_f16 v23, v17, v83, v26
	v_pk_fma_f16 v24, v17, v25, v80
	;; [unrolled: 1-line block ×3, first 2 shown]
	s_wait_dscnt 0x2
	v_lshrrev_b32_e32 v17, 16, v34
	v_and_b32_e32 v25, 0xffff, v34
	v_dual_lshrrev_b32 v26, 16, v35 :: v_dual_lshrrev_b32 v34, 16, v36
	v_lshrrev_b32_e32 v80, 16, v37
	v_and_b32_e32 v35, 0xffff, v35
	v_and_b32_e32 v36, 0xffff, v36
	;; [unrolled: 1-line block ×3, first 2 shown]
	v_mul_u32_u24_e32 v25, 0x10001, v25
	v_mul_u32_u24_e32 v17, 0x10001, v17
	v_mul_u32_u24_e32 v35, 0x10001, v35
	v_mul_u32_u24_e32 v26, 0x10001, v26
	v_mul_u32_u24_e32 v36, 0x10001, v36
	v_mul_u32_u24_e32 v34, 0x10001, v34
	v_mul_u32_u24_e32 v37, 0x10001, v37
	v_mul_u32_u24_e32 v80, 0x10001, v80
	s_wait_dscnt 0x0
	v_pk_fma_f16 v81, v10, v25, v81
	v_pk_fma_f16 v82, v10, v17, v82
	;; [unrolled: 1-line block ×8, first 2 shown]
	v_and_b32_e32 v14, 0xffff, v76
	v_pk_fma_f16 v25, v11, v25, v15
	v_pk_fma_f16 v83, v11, v17, v16
	;; [unrolled: 1-line block ×3, first 2 shown]
	v_dual_lshrrev_b32 v15, 16, v77 :: v_dual_lshrrev_b32 v16, 16, v78
	v_and_b32_e32 v17, 0xffff, v77
	v_mul_u32_u24_e32 v34, 0x10001, v14
	v_and_b32_e32 v14, 0xffff, v78
	v_pk_fma_f16 v18, v11, v35, v18
	v_pk_fma_f16 v19, v11, v26, v19
	;; [unrolled: 1-line block ×5, first 2 shown]
	v_lshrrev_b32_e32 v11, 16, v76
	v_and_b32_e32 v35, 0xffff, v79
	v_mul_u32_u24_e32 v36, 0x10001, v17
	v_mul_u32_u24_e32 v37, 0x10001, v15
	;; [unrolled: 1-line block ×4, first 2 shown]
	ds_load_b128 v[14:17], v70 offset:576
	v_lshrrev_b32_e32 v24, 16, v79
	v_mul_u32_u24_e32 v11, 0x10001, v11
	v_mul_u32_u24_e32 v35, 0x10001, v35
	v_pk_fma_f16 v79, v12, v34, v81
	v_pk_fma_f16 v27, v12, v36, v27
	v_mul_u32_u24_e32 v78, 0x10001, v24
	v_pk_fma_f16 v80, v12, v11, v82
	v_pk_fma_f16 v38, v12, v37, v38
	;; [unrolled: 1-line block ×12, first 2 shown]
	ds_load_2addr_b64 v[22:25], v73 offset0:128 offset1:160
	v_pk_fma_f16 v26, v13, v35, v26
	v_pk_fma_f16 v9, v13, v78, v9
	ds_load_b128 v[10:13], v70 offset:592
	s_wait_dscnt 0x2
	v_lshrrev_b32_e32 v78, 16, v17
	v_and_b32_e32 v17, 0xffff, v17
	v_lshrrev_b32_e32 v35, 16, v14
	v_and_b32_e32 v14, 0xffff, v14
	v_dual_lshrrev_b32 v76, 16, v15 :: v_dual_lshrrev_b32 v77, 16, v16
	v_and_b32_e32 v15, 0xffff, v15
	v_and_b32_e32 v16, 0xffff, v16
	v_mul_u32_u24_e32 v17, 0x10001, v17
	v_mul_u32_u24_e32 v14, 0x10001, v14
	;; [unrolled: 1-line block ×7, first 2 shown]
	s_wait_dscnt 0x1
	v_pk_fma_f16 v75, v22, v17, v75
	v_pk_fma_f16 v26, v23, v17, v26
	v_pk_fma_f16 v79, v22, v14, v79
	s_wait_dscnt 0x0
	v_lshrrev_b32_e32 v17, 16, v10
	v_mul_u32_u24_e32 v78, 0x10001, v78
	v_and_b32_e32 v10, 0xffff, v10
	v_pk_fma_f16 v80, v22, v35, v80
	v_pk_fma_f16 v27, v22, v15, v27
	;; [unrolled: 1-line block ×10, first 2 shown]
	v_dual_lshrrev_b32 v23, 16, v11 :: v_dual_lshrrev_b32 v35, 16, v12
	v_and_b32_e32 v11, 0xffff, v11
	v_mul_u32_u24_e32 v37, 0x10001, v10
	v_and_b32_e32 v10, 0xffff, v12
	v_and_b32_e32 v12, 0xffff, v13
	v_pk_fma_f16 v38, v22, v76, v38
	v_pk_fma_f16 v33, v22, v77, v33
	;; [unrolled: 1-line block ×3, first 2 shown]
	v_lshrrev_b32_e32 v36, 16, v13
	v_mul_u32_u24_e32 v76, 0x10001, v11
	v_mul_u32_u24_e32 v77, 0x10001, v10
	;; [unrolled: 1-line block ×3, first 2 shown]
	ds_load_b128 v[10:13], v70 offset:608
	v_mul_u32_u24_e32 v17, 0x10001, v17
	v_mul_u32_u24_e32 v23, 0x10001, v23
	;; [unrolled: 1-line block ×4, first 2 shown]
	v_pk_fma_f16 v79, v24, v37, v79
	v_pk_fma_f16 v80, v24, v17, v80
	;; [unrolled: 1-line block ×14, first 2 shown]
	ds_load_2addr_b64 v[14:17], v73 offset0:192 offset1:224
	v_pk_fma_f16 v26, v25, v78, v26
	v_pk_fma_f16 v9, v25, v36, v9
	ds_load_b128 v[22:25], v70 offset:624
	s_wait_dscnt 0x2
	v_lshrrev_b32_e32 v35, 16, v10
	v_and_b32_e32 v10, 0xffff, v10
	v_dual_lshrrev_b32 v36, 16, v11 :: v_dual_lshrrev_b32 v78, 16, v12
	v_and_b32_e32 v11, 0xffff, v11
	v_lshrrev_b32_e32 v82, 16, v13
	s_delay_alu instid0(VALU_DEP_4)
	v_mul_u32_u24_e32 v10, 0x10001, v10
	v_and_b32_e32 v12, 0xffff, v12
	v_mul_u32_u24_e32 v35, 0x10001, v35
	v_and_b32_e32 v13, 0xffff, v13
	v_mul_u32_u24_e32 v11, 0x10001, v11
	v_mul_u32_u24_e32 v36, 0x10001, v36
	;; [unrolled: 1-line block ×5, first 2 shown]
	s_wait_dscnt 0x1
	v_pk_fma_f16 v79, v14, v10, v79
	v_pk_fma_f16 v80, v14, v35, v80
	;; [unrolled: 1-line block ×6, first 2 shown]
	s_wait_dscnt 0x0
	v_lshrrev_b32_e32 v10, 16, v22
	v_and_b32_e32 v11, 0xffff, v22
	v_mul_u32_u24_e32 v82, 0x10001, v82
	v_pk_fma_f16 v38, v14, v36, v38
	v_pk_fma_f16 v39, v14, v12, v39
	;; [unrolled: 1-line block ×6, first 2 shown]
	v_dual_lshrrev_b32 v12, 16, v23 :: v_dual_lshrrev_b32 v13, 16, v24
	v_and_b32_e32 v22, 0xffff, v23
	v_mul_u32_u24_e32 v23, 0x10001, v11
	v_and_b32_e32 v11, 0xffff, v24
	v_mul_u32_u24_e32 v24, 0x10001, v10
	v_and_b32_e32 v10, 0xffff, v25
	v_pk_fma_f16 v33, v14, v78, v33
	v_pk_fma_f16 v19, v15, v78, v19
	;; [unrolled: 1-line block ×3, first 2 shown]
	v_lshrrev_b32_e32 v15, 16, v25
	v_mul_u32_u24_e32 v25, 0x10001, v12
	v_mul_u32_u24_e32 v76, 0x10001, v11
	;; [unrolled: 1-line block ×4, first 2 shown]
	ds_load_b128 v[10:13], v70 offset:640
	v_pk_fma_f16 v14, v14, v82, v81
	v_mul_u32_u24_e32 v22, 0x10001, v22
	v_mul_u32_u24_e32 v15, 0x10001, v15
	v_pk_fma_f16 v79, v16, v23, v79
	v_pk_fma_f16 v80, v16, v24, v80
	v_pk_fma_f16 v38, v16, v25, v38
	v_pk_fma_f16 v27, v16, v22, v27
	v_pk_fma_f16 v39, v16, v76, v39
	v_pk_fma_f16 v33, v16, v77, v33
	v_pk_fma_f16 v75, v16, v78, v75
	v_pk_fma_f16 v81, v16, v15, v14
	v_pk_fma_f16 v37, v17, v23, v37
	v_pk_fma_f16 v34, v17, v24, v34
	v_pk_fma_f16 v35, v17, v22, v35
	v_pk_fma_f16 v18, v17, v25, v18
	v_pk_fma_f16 v36, v17, v76, v36
	v_pk_fma_f16 v19, v17, v77, v19
	ds_load_2addr_b64 v[22:25], v20 offset1:32
	v_pk_fma_f16 v26, v17, v78, v26
	v_pk_fma_f16 v9, v17, v15, v9
	ds_load_b128 v[14:17], v70 offset:656
	s_wait_dscnt 0x2
	v_lshrrev_b32_e32 v76, 16, v10
	v_and_b32_e32 v10, 0xffff, v10
	v_dual_lshrrev_b32 v77, 16, v11 :: v_dual_lshrrev_b32 v78, 16, v12
	v_and_b32_e32 v11, 0xffff, v11
	v_lshrrev_b32_e32 v82, 16, v13
	s_delay_alu instid0(VALU_DEP_4)
	v_mul_u32_u24_e32 v10, 0x10001, v10
	v_and_b32_e32 v12, 0xffff, v12
	v_and_b32_e32 v13, 0xffff, v13
	v_mul_u32_u24_e32 v11, 0x10001, v11
	v_mul_u32_u24_e32 v76, 0x10001, v76
	v_mul_u32_u24_e32 v77, 0x10001, v77
	v_mul_u32_u24_e32 v12, 0x10001, v12
	v_mul_u32_u24_e32 v78, 0x10001, v78
	v_mul_u32_u24_e32 v13, 0x10001, v13
	s_wait_dscnt 0x1
	v_pk_fma_f16 v79, v22, v10, v79
	v_pk_fma_f16 v27, v22, v11, v27
	;; [unrolled: 1-line block ×4, first 2 shown]
	s_wait_dscnt 0x0
	v_lshrrev_b32_e32 v10, 16, v14
	v_mul_u32_u24_e32 v82, 0x10001, v82
	v_and_b32_e32 v11, 0xffff, v14
	v_pk_fma_f16 v39, v22, v12, v39
	v_pk_fma_f16 v75, v22, v13, v75
	;; [unrolled: 1-line block ×8, first 2 shown]
	v_dual_lshrrev_b32 v12, 16, v15 :: v_dual_lshrrev_b32 v13, 16, v16
	v_mul_u32_u24_e32 v23, 0x10001, v11
	v_and_b32_e32 v11, 0xffff, v16
	v_mul_u32_u24_e32 v16, 0x10001, v10
	v_and_b32_e32 v10, 0xffff, v17
	v_pk_fma_f16 v80, v22, v76, v80
	v_pk_fma_f16 v38, v22, v77, v38
	v_pk_fma_f16 v33, v22, v78, v33
	v_lshrrev_b32_e32 v14, 16, v17
	v_and_b32_e32 v15, 0xffff, v15
	v_mul_u32_u24_e32 v17, 0x10001, v12
	v_mul_u32_u24_e32 v76, 0x10001, v11
	;; [unrolled: 1-line block ×4, first 2 shown]
	ds_load_b128 v[10:13], v70 offset:672
	v_pk_fma_f16 v22, v22, v82, v81
	v_mul_u32_u24_e32 v15, 0x10001, v15
	v_mul_u32_u24_e32 v81, 0x10001, v14
	v_pk_fma_f16 v79, v24, v23, v79
	v_pk_fma_f16 v80, v24, v16, v80
	;; [unrolled: 1-line block ×14, first 2 shown]
	ds_load_2addr_b64 v[14:17], v20 offset0:64 offset1:96
	v_pk_fma_f16 v26, v25, v78, v26
	v_pk_fma_f16 v9, v25, v81, v9
	ds_load_b128 v[22:25], v70 offset:688
	s_wait_dscnt 0x2
	v_lshrrev_b32_e32 v76, 16, v10
	v_and_b32_e32 v10, 0xffff, v10
	v_dual_lshrrev_b32 v77, 16, v11 :: v_dual_lshrrev_b32 v78, 16, v12
	v_and_b32_e32 v11, 0xffff, v11
	v_lshrrev_b32_e32 v81, 16, v13
	s_delay_alu instid0(VALU_DEP_4)
	v_mul_u32_u24_e32 v10, 0x10001, v10
	v_and_b32_e32 v12, 0xffff, v12
	v_and_b32_e32 v13, 0xffff, v13
	v_mul_u32_u24_e32 v11, 0x10001, v11
	v_mul_u32_u24_e32 v76, 0x10001, v76
	;; [unrolled: 1-line block ×6, first 2 shown]
	s_wait_dscnt 0x1
	v_pk_fma_f16 v79, v14, v10, v79
	v_pk_fma_f16 v27, v14, v11, v27
	;; [unrolled: 1-line block ×4, first 2 shown]
	s_wait_dscnt 0x0
	v_lshrrev_b32_e32 v10, 16, v22
	v_and_b32_e32 v11, 0xffff, v22
	v_mul_u32_u24_e32 v81, 0x10001, v81
	v_pk_fma_f16 v39, v14, v12, v39
	v_pk_fma_f16 v75, v14, v13, v75
	;; [unrolled: 1-line block ×4, first 2 shown]
	v_dual_lshrrev_b32 v12, 16, v23 :: v_dual_lshrrev_b32 v13, 16, v24
	v_and_b32_e32 v22, 0xffff, v23
	v_mul_u32_u24_e32 v23, 0x10001, v11
	v_and_b32_e32 v11, 0xffff, v24
	v_mul_u32_u24_e32 v24, 0x10001, v10
	v_and_b32_e32 v10, 0xffff, v25
	v_pk_fma_f16 v80, v14, v76, v80
	v_pk_fma_f16 v38, v14, v77, v38
	;; [unrolled: 1-line block ×7, first 2 shown]
	v_lshrrev_b32_e32 v15, 16, v25
	v_mul_u32_u24_e32 v25, 0x10001, v12
	v_mul_u32_u24_e32 v76, 0x10001, v11
	;; [unrolled: 1-line block ×4, first 2 shown]
	ds_load_b128 v[10:13], v70 offset:704
	v_pk_fma_f16 v14, v14, v81, v82
	v_mul_u32_u24_e32 v22, 0x10001, v22
	v_mul_u32_u24_e32 v15, 0x10001, v15
	v_pk_fma_f16 v79, v16, v23, v79
	v_pk_fma_f16 v80, v16, v24, v80
	;; [unrolled: 1-line block ×14, first 2 shown]
	ds_load_2addr_b64 v[22:25], v20 offset0:128 offset1:160
	v_pk_fma_f16 v26, v17, v78, v26
	v_pk_fma_f16 v9, v17, v15, v9
	ds_load_b128 v[14:17], v70 offset:720
	s_wait_dscnt 0x2
	v_lshrrev_b32_e32 v76, 16, v10
	v_and_b32_e32 v10, 0xffff, v10
	v_dual_lshrrev_b32 v77, 16, v11 :: v_dual_lshrrev_b32 v78, 16, v12
	v_and_b32_e32 v11, 0xffff, v11
	v_lshrrev_b32_e32 v82, 16, v13
	s_delay_alu instid0(VALU_DEP_4)
	v_mul_u32_u24_e32 v10, 0x10001, v10
	v_and_b32_e32 v12, 0xffff, v12
	v_and_b32_e32 v13, 0xffff, v13
	v_mul_u32_u24_e32 v11, 0x10001, v11
	v_mul_u32_u24_e32 v76, 0x10001, v76
	;; [unrolled: 1-line block ×6, first 2 shown]
	s_wait_dscnt 0x1
	v_pk_fma_f16 v79, v22, v10, v79
	v_pk_fma_f16 v27, v22, v11, v27
	;; [unrolled: 1-line block ×4, first 2 shown]
	s_wait_dscnt 0x0
	v_lshrrev_b32_e32 v10, 16, v14
	v_mul_u32_u24_e32 v82, 0x10001, v82
	v_and_b32_e32 v11, 0xffff, v14
	v_pk_fma_f16 v39, v22, v12, v39
	v_pk_fma_f16 v75, v22, v13, v75
	;; [unrolled: 1-line block ×8, first 2 shown]
	v_dual_lshrrev_b32 v12, 16, v15 :: v_dual_lshrrev_b32 v13, 16, v16
	v_mul_u32_u24_e32 v23, 0x10001, v11
	v_and_b32_e32 v11, 0xffff, v16
	v_mul_u32_u24_e32 v16, 0x10001, v10
	v_and_b32_e32 v10, 0xffff, v17
	v_pk_fma_f16 v80, v22, v76, v80
	v_pk_fma_f16 v38, v22, v77, v38
	;; [unrolled: 1-line block ×3, first 2 shown]
	v_lshrrev_b32_e32 v14, 16, v17
	v_and_b32_e32 v15, 0xffff, v15
	v_mul_u32_u24_e32 v17, 0x10001, v12
	v_mul_u32_u24_e32 v76, 0x10001, v11
	;; [unrolled: 1-line block ×4, first 2 shown]
	ds_load_b128 v[10:13], v70 offset:736
	v_pk_fma_f16 v22, v22, v82, v81
	v_mul_u32_u24_e32 v15, 0x10001, v15
	v_mul_u32_u24_e32 v81, 0x10001, v14
	v_pk_fma_f16 v79, v24, v23, v79
	v_pk_fma_f16 v80, v24, v16, v80
	;; [unrolled: 1-line block ×14, first 2 shown]
	ds_load_2addr_b64 v[14:17], v20 offset0:192 offset1:224
	v_pk_fma_f16 v20, v25, v78, v26
	v_pk_fma_f16 v9, v25, v81, v9
	ds_load_b128 v[22:25], v70 offset:752
	s_wait_dscnt 0x2
	v_lshrrev_b32_e32 v26, 16, v10
	v_and_b32_e32 v10, 0xffff, v10
	v_dual_lshrrev_b32 v76, 16, v11 :: v_dual_lshrrev_b32 v77, 16, v12
	v_and_b32_e32 v11, 0xffff, v11
	v_lshrrev_b32_e32 v78, 16, v13
	s_delay_alu instid0(VALU_DEP_4)
	v_mul_u32_u24_e32 v10, 0x10001, v10
	v_and_b32_e32 v12, 0xffff, v12
	v_mul_u32_u24_e32 v26, 0x10001, v26
	v_and_b32_e32 v13, 0xffff, v13
	v_mul_u32_u24_e32 v11, 0x10001, v11
	v_mul_u32_u24_e32 v76, 0x10001, v76
	;; [unrolled: 1-line block ×5, first 2 shown]
	s_wait_dscnt 0x1
	v_pk_fma_f16 v79, v14, v10, v79
	v_pk_fma_f16 v80, v14, v26, v80
	;; [unrolled: 1-line block ×6, first 2 shown]
	s_wait_dscnt 0x0
	v_lshrrev_b32_e32 v10, 16, v22
	v_and_b32_e32 v11, 0xffff, v22
	v_mul_u32_u24_e32 v78, 0x10001, v78
	v_pk_fma_f16 v39, v14, v12, v39
	v_pk_fma_f16 v75, v14, v13, v75
	;; [unrolled: 1-line block ×4, first 2 shown]
	v_dual_lshrrev_b32 v12, 16, v23 :: v_dual_lshrrev_b32 v13, 16, v24
	v_and_b32_e32 v22, 0xffff, v23
	v_mul_u32_u24_e32 v23, 0x10001, v11
	v_and_b32_e32 v11, 0xffff, v24
	v_mul_u32_u24_e32 v24, 0x10001, v10
	v_and_b32_e32 v10, 0xffff, v25
	v_pk_fma_f16 v38, v14, v76, v38
	v_pk_fma_f16 v33, v14, v77, v33
	;; [unrolled: 1-line block ×5, first 2 shown]
	v_lshrrev_b32_e32 v15, 16, v25
	v_mul_u32_u24_e32 v25, 0x10001, v12
	v_mul_u32_u24_e32 v36, 0x10001, v11
	v_mul_u32_u24_e32 v76, 0x10001, v13
	v_mul_u32_u24_e32 v77, 0x10001, v10
	ds_load_b128 v[10:13], v70 offset:768
	v_pk_fma_f16 v14, v14, v78, v82
	v_mul_u32_u24_e32 v22, 0x10001, v22
	v_mul_u32_u24_e32 v15, 0x10001, v15
	v_pk_fma_f16 v78, v16, v23, v79
	v_pk_fma_f16 v79, v16, v24, v80
	;; [unrolled: 1-line block ×14, first 2 shown]
	ds_load_2addr_b64 v[22:25], v21 offset1:32
	v_pk_fma_f16 v20, v17, v77, v20
	v_pk_fma_f16 v9, v17, v15, v9
	ds_load_b128 v[14:17], v70 offset:784
	s_wait_dscnt 0x2
	v_lshrrev_b32_e32 v36, 16, v10
	v_and_b32_e32 v10, 0xffff, v10
	v_dual_lshrrev_b32 v76, 16, v11 :: v_dual_lshrrev_b32 v77, 16, v12
	v_and_b32_e32 v11, 0xffff, v11
	v_lshrrev_b32_e32 v81, 16, v13
	s_delay_alu instid0(VALU_DEP_4)
	v_mul_u32_u24_e32 v10, 0x10001, v10
	v_and_b32_e32 v12, 0xffff, v12
	v_and_b32_e32 v13, 0xffff, v13
	v_mul_u32_u24_e32 v11, 0x10001, v11
	v_mul_u32_u24_e32 v36, 0x10001, v36
	;; [unrolled: 1-line block ×6, first 2 shown]
	s_wait_dscnt 0x1
	v_pk_fma_f16 v78, v22, v10, v78
	v_pk_fma_f16 v27, v22, v11, v27
	;; [unrolled: 1-line block ×4, first 2 shown]
	s_wait_dscnt 0x0
	v_lshrrev_b32_e32 v10, 16, v14
	v_mul_u32_u24_e32 v81, 0x10001, v81
	v_and_b32_e32 v11, 0xffff, v14
	v_pk_fma_f16 v39, v22, v12, v39
	v_pk_fma_f16 v75, v22, v13, v75
	;; [unrolled: 1-line block ×8, first 2 shown]
	v_dual_lshrrev_b32 v12, 16, v15 :: v_dual_lshrrev_b32 v13, 16, v16
	v_mul_u32_u24_e32 v23, 0x10001, v11
	v_and_b32_e32 v11, 0xffff, v16
	v_mul_u32_u24_e32 v16, 0x10001, v10
	v_and_b32_e32 v10, 0xffff, v17
	v_pk_fma_f16 v79, v22, v36, v79
	v_pk_fma_f16 v38, v22, v76, v38
	;; [unrolled: 1-line block ×3, first 2 shown]
	v_lshrrev_b32_e32 v14, 16, v17
	v_and_b32_e32 v15, 0xffff, v15
	v_mul_u32_u24_e32 v17, 0x10001, v12
	v_mul_u32_u24_e32 v36, 0x10001, v11
	;; [unrolled: 1-line block ×4, first 2 shown]
	ds_load_b128 v[10:13], v70 offset:800
	v_pk_fma_f16 v22, v22, v81, v80
	v_mul_u32_u24_e32 v15, 0x10001, v15
	v_mul_u32_u24_e32 v80, 0x10001, v14
	v_pk_fma_f16 v78, v24, v23, v78
	v_pk_fma_f16 v79, v24, v16, v79
	;; [unrolled: 1-line block ×14, first 2 shown]
	ds_load_2addr_b64 v[14:17], v21 offset0:64 offset1:96
	v_pk_fma_f16 v20, v25, v77, v20
	v_pk_fma_f16 v9, v25, v80, v9
	ds_load_b128 v[22:25], v70 offset:816
	s_wait_dscnt 0x2
	v_lshrrev_b32_e32 v36, 16, v10
	v_and_b32_e32 v10, 0xffff, v10
	v_dual_lshrrev_b32 v76, 16, v11 :: v_dual_lshrrev_b32 v77, 16, v12
	v_and_b32_e32 v11, 0xffff, v11
	v_lshrrev_b32_e32 v80, 16, v13
	s_delay_alu instid0(VALU_DEP_4)
	v_mul_u32_u24_e32 v10, 0x10001, v10
	v_and_b32_e32 v12, 0xffff, v12
	v_and_b32_e32 v13, 0xffff, v13
	v_mul_u32_u24_e32 v11, 0x10001, v11
	v_mul_u32_u24_e32 v36, 0x10001, v36
	;; [unrolled: 1-line block ×6, first 2 shown]
	s_wait_dscnt 0x1
	v_pk_fma_f16 v78, v14, v10, v78
	v_pk_fma_f16 v27, v14, v11, v27
	;; [unrolled: 1-line block ×4, first 2 shown]
	s_wait_dscnt 0x0
	v_lshrrev_b32_e32 v10, 16, v22
	v_and_b32_e32 v11, 0xffff, v22
	v_mul_u32_u24_e32 v80, 0x10001, v80
	v_pk_fma_f16 v39, v14, v12, v39
	v_pk_fma_f16 v75, v14, v13, v75
	;; [unrolled: 1-line block ×4, first 2 shown]
	v_dual_lshrrev_b32 v12, 16, v23 :: v_dual_lshrrev_b32 v13, 16, v24
	v_and_b32_e32 v22, 0xffff, v23
	v_mul_u32_u24_e32 v23, 0x10001, v11
	v_and_b32_e32 v11, 0xffff, v24
	v_mul_u32_u24_e32 v24, 0x10001, v10
	v_and_b32_e32 v10, 0xffff, v25
	v_pk_fma_f16 v79, v14, v36, v79
	v_pk_fma_f16 v38, v14, v76, v38
	;; [unrolled: 1-line block ×7, first 2 shown]
	v_lshrrev_b32_e32 v15, 16, v25
	v_mul_u32_u24_e32 v25, 0x10001, v12
	v_mul_u32_u24_e32 v36, 0x10001, v11
	v_mul_u32_u24_e32 v76, 0x10001, v13
	v_mul_u32_u24_e32 v77, 0x10001, v10
	ds_load_b128 v[10:13], v70 offset:832
	v_pk_fma_f16 v14, v14, v80, v81
	v_mul_u32_u24_e32 v22, 0x10001, v22
	v_mul_u32_u24_e32 v15, 0x10001, v15
	v_pk_fma_f16 v78, v16, v23, v78
	v_pk_fma_f16 v79, v16, v24, v79
	;; [unrolled: 1-line block ×14, first 2 shown]
	ds_load_2addr_b64 v[22:25], v21 offset0:128 offset1:160
	v_pk_fma_f16 v20, v17, v77, v20
	v_pk_fma_f16 v9, v17, v15, v9
	ds_load_b128 v[14:17], v70 offset:848
	s_wait_dscnt 0x2
	v_lshrrev_b32_e32 v36, 16, v10
	v_and_b32_e32 v10, 0xffff, v10
	v_dual_lshrrev_b32 v76, 16, v11 :: v_dual_lshrrev_b32 v77, 16, v12
	v_and_b32_e32 v11, 0xffff, v11
	v_lshrrev_b32_e32 v81, 16, v13
	s_delay_alu instid0(VALU_DEP_4)
	v_mul_u32_u24_e32 v10, 0x10001, v10
	v_and_b32_e32 v12, 0xffff, v12
	v_and_b32_e32 v13, 0xffff, v13
	v_mul_u32_u24_e32 v11, 0x10001, v11
	v_mul_u32_u24_e32 v36, 0x10001, v36
	;; [unrolled: 1-line block ×6, first 2 shown]
	s_wait_dscnt 0x1
	v_pk_fma_f16 v78, v22, v10, v78
	v_pk_fma_f16 v27, v22, v11, v27
	;; [unrolled: 1-line block ×4, first 2 shown]
	s_wait_dscnt 0x0
	v_lshrrev_b32_e32 v10, 16, v14
	v_mul_u32_u24_e32 v81, 0x10001, v81
	v_and_b32_e32 v11, 0xffff, v14
	v_pk_fma_f16 v39, v22, v12, v39
	v_pk_fma_f16 v75, v22, v13, v75
	;; [unrolled: 1-line block ×8, first 2 shown]
	v_dual_lshrrev_b32 v12, 16, v15 :: v_dual_lshrrev_b32 v13, 16, v16
	v_mul_u32_u24_e32 v23, 0x10001, v11
	v_and_b32_e32 v11, 0xffff, v16
	v_mul_u32_u24_e32 v16, 0x10001, v10
	v_and_b32_e32 v10, 0xffff, v17
	v_pk_fma_f16 v79, v22, v36, v79
	v_pk_fma_f16 v38, v22, v76, v38
	;; [unrolled: 1-line block ×3, first 2 shown]
	v_lshrrev_b32_e32 v14, 16, v17
	v_and_b32_e32 v15, 0xffff, v15
	v_mul_u32_u24_e32 v17, 0x10001, v12
	v_mul_u32_u24_e32 v36, 0x10001, v11
	;; [unrolled: 1-line block ×4, first 2 shown]
	ds_load_b128 v[10:13], v70 offset:864
	v_pk_fma_f16 v22, v22, v81, v80
	v_mul_u32_u24_e32 v15, 0x10001, v15
	v_mul_u32_u24_e32 v80, 0x10001, v14
	v_pk_fma_f16 v78, v24, v23, v78
	v_pk_fma_f16 v79, v24, v16, v79
	;; [unrolled: 1-line block ×14, first 2 shown]
	ds_load_2addr_b64 v[14:17], v21 offset0:192 offset1:224
	v_pk_fma_f16 v37, v25, v77, v20
	ds_load_b128 v[18:21], v70 offset:880
	v_pk_fma_f16 v9, v25, v80, v9
	s_wait_dscnt 0x2
	v_lshrrev_b32_e32 v25, 16, v10
	v_and_b32_e32 v10, 0xffff, v10
	v_dual_lshrrev_b32 v76, 16, v11 :: v_dual_lshrrev_b32 v77, 16, v12
	v_lshrrev_b32_e32 v80, 16, v13
	v_and_b32_e32 v11, 0xffff, v11
	v_and_b32_e32 v12, 0xffff, v12
	;; [unrolled: 1-line block ×3, first 2 shown]
	v_mul_u32_u24_e32 v10, 0x10001, v10
	v_mul_u32_u24_e32 v25, 0x10001, v25
	;; [unrolled: 1-line block ×8, first 2 shown]
	s_wait_dscnt 0x1
	v_pk_fma_f16 v78, v14, v10, v78
	v_pk_fma_f16 v79, v14, v25, v79
	;; [unrolled: 1-line block ×11, first 2 shown]
	s_wait_dscnt 0x0
	v_lshrrev_b32_e32 v10, 16, v18
	v_and_b32_e32 v11, 0xffff, v18
	v_pk_fma_f16 v26, v15, v12, v35
	v_pk_fma_f16 v35, v15, v13, v37
	v_dual_lshrrev_b32 v12, 16, v19 :: v_dual_lshrrev_b32 v13, 16, v20
	v_and_b32_e32 v18, 0xffff, v19
	v_mul_u32_u24_e32 v19, 0x10001, v11
	v_and_b32_e32 v11, 0xffff, v20
	v_mul_u32_u24_e32 v20, 0x10001, v10
	v_and_b32_e32 v10, 0xffff, v21
	v_pk_fma_f16 v25, v15, v76, v34
	v_pk_fma_f16 v34, v15, v77, v36
	;; [unrolled: 1-line block ×3, first 2 shown]
	v_lshrrev_b32_e32 v15, 16, v21
	v_mul_u32_u24_e32 v21, 0x10001, v12
	v_mul_u32_u24_e32 v36, 0x10001, v11
	;; [unrolled: 1-line block ×4, first 2 shown]
	ds_load_b128 v[10:13], v70 offset:896
	v_mul_u32_u24_e32 v18, 0x10001, v18
	v_mul_u32_u24_e32 v15, 0x10001, v15
	v_pk_fma_f16 v77, v16, v19, v78
	v_pk_fma_f16 v78, v16, v20, v79
	;; [unrolled: 1-line block ×14, first 2 shown]
	ds_load_2addr_b64 v[18:21], v8 offset1:32
	v_pk_fma_f16 v35, v17, v76, v35
	v_pk_fma_f16 v9, v17, v15, v9
	ds_load_b128 v[14:17], v70 offset:912
	s_wait_dscnt 0x2
	v_lshrrev_b32_e32 v36, 16, v10
	v_and_b32_e32 v10, 0xffff, v10
	v_dual_lshrrev_b32 v37, 16, v11 :: v_dual_lshrrev_b32 v76, 16, v12
	v_and_b32_e32 v11, 0xffff, v11
	v_lshrrev_b32_e32 v80, 16, v13
	s_delay_alu instid0(VALU_DEP_4)
	v_mul_u32_u24_e32 v10, 0x10001, v10
	v_and_b32_e32 v12, 0xffff, v12
	v_and_b32_e32 v13, 0xffff, v13
	v_mul_u32_u24_e32 v11, 0x10001, v11
	v_mul_u32_u24_e32 v36, 0x10001, v36
	;; [unrolled: 1-line block ×6, first 2 shown]
	s_wait_dscnt 0x1
	v_pk_fma_f16 v77, v18, v10, v77
	v_pk_fma_f16 v27, v18, v11, v27
	;; [unrolled: 1-line block ×4, first 2 shown]
	s_wait_dscnt 0x0
	v_lshrrev_b32_e32 v10, 16, v14
	v_mul_u32_u24_e32 v80, 0x10001, v80
	v_and_b32_e32 v11, 0xffff, v14
	v_pk_fma_f16 v39, v18, v12, v39
	v_pk_fma_f16 v75, v18, v13, v75
	;; [unrolled: 1-line block ×8, first 2 shown]
	v_dual_lshrrev_b32 v12, 16, v15 :: v_dual_lshrrev_b32 v13, 16, v16
	v_mul_u32_u24_e32 v19, 0x10001, v11
	v_and_b32_e32 v11, 0xffff, v16
	v_mul_u32_u24_e32 v16, 0x10001, v10
	v_and_b32_e32 v10, 0xffff, v17
	v_pk_fma_f16 v78, v18, v36, v78
	v_pk_fma_f16 v38, v18, v37, v38
	v_pk_fma_f16 v33, v18, v76, v33
	v_lshrrev_b32_e32 v14, 16, v17
	v_and_b32_e32 v15, 0xffff, v15
	v_mul_u32_u24_e32 v17, 0x10001, v12
	v_mul_u32_u24_e32 v36, 0x10001, v11
	;; [unrolled: 1-line block ×4, first 2 shown]
	ds_load_b128 v[10:13], v70 offset:928
	v_pk_fma_f16 v18, v18, v80, v79
	v_mul_u32_u24_e32 v15, 0x10001, v15
	v_mul_u32_u24_e32 v79, 0x10001, v14
	v_pk_fma_f16 v77, v20, v19, v77
	v_pk_fma_f16 v78, v20, v16, v78
	v_pk_fma_f16 v38, v20, v17, v38
	v_pk_fma_f16 v27, v20, v15, v27
	v_pk_fma_f16 v39, v20, v36, v39
	v_pk_fma_f16 v33, v20, v37, v33
	v_pk_fma_f16 v75, v20, v76, v75
	v_pk_fma_f16 v80, v20, v79, v18
	v_pk_fma_f16 v22, v21, v19, v22
	v_pk_fma_f16 v23, v21, v16, v23
	v_pk_fma_f16 v24, v21, v15, v24
	v_pk_fma_f16 v25, v21, v17, v25
	v_pk_fma_f16 v26, v21, v36, v26
	v_pk_fma_f16 v34, v21, v37, v34
	ds_load_2addr_b64 v[14:17], v8 offset0:64 offset1:96
	v_pk_fma_f16 v35, v21, v76, v35
	v_pk_fma_f16 v9, v21, v79, v9
	ds_load_b128 v[18:21], v70 offset:944
	s_wait_dscnt 0x2
	v_lshrrev_b32_e32 v36, 16, v10
	v_and_b32_e32 v10, 0xffff, v10
	v_dual_lshrrev_b32 v37, 16, v11 :: v_dual_lshrrev_b32 v76, 16, v12
	v_and_b32_e32 v11, 0xffff, v11
	v_lshrrev_b32_e32 v79, 16, v13
	s_delay_alu instid0(VALU_DEP_4)
	v_mul_u32_u24_e32 v10, 0x10001, v10
	v_and_b32_e32 v12, 0xffff, v12
	v_and_b32_e32 v13, 0xffff, v13
	v_mul_u32_u24_e32 v11, 0x10001, v11
	v_mul_u32_u24_e32 v36, 0x10001, v36
	;; [unrolled: 1-line block ×6, first 2 shown]
	s_wait_dscnt 0x1
	v_pk_fma_f16 v77, v14, v10, v77
	v_pk_fma_f16 v27, v14, v11, v27
	;; [unrolled: 1-line block ×4, first 2 shown]
	s_wait_dscnt 0x0
	v_lshrrev_b32_e32 v10, 16, v18
	v_and_b32_e32 v11, 0xffff, v18
	v_mul_u32_u24_e32 v79, 0x10001, v79
	v_pk_fma_f16 v39, v14, v12, v39
	v_pk_fma_f16 v75, v14, v13, v75
	;; [unrolled: 1-line block ×4, first 2 shown]
	v_dual_lshrrev_b32 v12, 16, v19 :: v_dual_lshrrev_b32 v13, 16, v20
	v_and_b32_e32 v18, 0xffff, v19
	v_mul_u32_u24_e32 v19, 0x10001, v11
	v_and_b32_e32 v11, 0xffff, v20
	v_mul_u32_u24_e32 v20, 0x10001, v10
	v_and_b32_e32 v10, 0xffff, v21
	v_pk_fma_f16 v78, v14, v36, v78
	v_pk_fma_f16 v38, v14, v37, v38
	v_pk_fma_f16 v33, v14, v76, v33
	v_pk_fma_f16 v23, v15, v36, v23
	v_pk_fma_f16 v25, v15, v37, v25
	v_pk_fma_f16 v34, v15, v76, v34
	v_pk_fma_f16 v9, v15, v79, v9
	v_lshrrev_b32_e32 v15, 16, v21
	v_mul_u32_u24_e32 v21, 0x10001, v12
	v_mul_u32_u24_e32 v36, 0x10001, v11
	;; [unrolled: 1-line block ×4, first 2 shown]
	ds_load_b128 v[10:13], v70 offset:960
	v_pk_fma_f16 v14, v14, v79, v80
	v_mul_u32_u24_e32 v18, 0x10001, v18
	v_mul_u32_u24_e32 v15, 0x10001, v15
	v_pk_fma_f16 v77, v16, v19, v77
	v_pk_fma_f16 v78, v16, v20, v78
	;; [unrolled: 1-line block ×14, first 2 shown]
	ds_load_2addr_b64 v[18:21], v8 offset0:128 offset1:160
	v_pk_fma_f16 v35, v17, v76, v35
	v_pk_fma_f16 v9, v17, v15, v9
	ds_load_b128 v[14:17], v70 offset:976
	s_wait_dscnt 0x2
	v_lshrrev_b32_e32 v36, 16, v10
	v_and_b32_e32 v10, 0xffff, v10
	v_dual_lshrrev_b32 v37, 16, v11 :: v_dual_lshrrev_b32 v76, 16, v12
	v_and_b32_e32 v11, 0xffff, v11
	v_lshrrev_b32_e32 v80, 16, v13
	s_delay_alu instid0(VALU_DEP_4)
	v_mul_u32_u24_e32 v10, 0x10001, v10
	v_and_b32_e32 v12, 0xffff, v12
	v_and_b32_e32 v13, 0xffff, v13
	v_mul_u32_u24_e32 v11, 0x10001, v11
	v_mul_u32_u24_e32 v36, 0x10001, v36
	;; [unrolled: 1-line block ×6, first 2 shown]
	s_wait_dscnt 0x1
	v_pk_fma_f16 v77, v18, v10, v77
	v_pk_fma_f16 v27, v18, v11, v27
	;; [unrolled: 1-line block ×4, first 2 shown]
	s_wait_dscnt 0x0
	v_lshrrev_b32_e32 v10, 16, v14
	v_mul_u32_u24_e32 v80, 0x10001, v80
	v_and_b32_e32 v11, 0xffff, v14
	v_pk_fma_f16 v39, v18, v12, v39
	v_pk_fma_f16 v75, v18, v13, v75
	;; [unrolled: 1-line block ×8, first 2 shown]
	v_dual_lshrrev_b32 v12, 16, v15 :: v_dual_lshrrev_b32 v13, 16, v16
	v_mul_u32_u24_e32 v19, 0x10001, v11
	v_and_b32_e32 v11, 0xffff, v16
	v_mul_u32_u24_e32 v16, 0x10001, v10
	v_and_b32_e32 v10, 0xffff, v17
	v_pk_fma_f16 v78, v18, v36, v78
	v_pk_fma_f16 v38, v18, v37, v38
	;; [unrolled: 1-line block ×3, first 2 shown]
	v_lshrrev_b32_e32 v14, 16, v17
	v_and_b32_e32 v15, 0xffff, v15
	v_mul_u32_u24_e32 v17, 0x10001, v12
	v_mul_u32_u24_e32 v36, 0x10001, v11
	;; [unrolled: 1-line block ×4, first 2 shown]
	ds_load_b128 v[10:13], v70 offset:992
	v_pk_fma_f16 v18, v18, v80, v79
	v_mul_u32_u24_e32 v15, 0x10001, v15
	v_mul_u32_u24_e32 v79, 0x10001, v14
	v_pk_fma_f16 v77, v20, v19, v77
	v_pk_fma_f16 v78, v20, v16, v78
	;; [unrolled: 1-line block ×14, first 2 shown]
	ds_load_2addr_b64 v[14:17], v8 offset0:192 offset1:224
	v_pk_fma_f16 v8, v21, v76, v35
	v_pk_fma_f16 v9, v21, v79, v9
	ds_load_b128 v[18:21], v70 offset:1008
	s_wait_dscnt 0x2
	v_lshrrev_b32_e32 v76, 16, v13
	v_and_b32_e32 v13, 0xffff, v13
	s_wait_dscnt 0x0
	s_barrier_signal -1
	s_barrier_wait -1
	s_load_b32 s5, s[20:21], 0x4
	v_lshrrev_b32_e32 v35, 16, v10
	v_and_b32_e32 v10, 0xffff, v10
	v_dual_lshrrev_b32 v36, 16, v11 :: v_dual_lshrrev_b32 v37, 16, v12
	v_and_b32_e32 v11, 0xffff, v11
	v_and_b32_e32 v12, 0xffff, v12
	v_mul_u32_u24_e32 v13, 0x10001, v13
	v_mul_u32_u24_e32 v10, 0x10001, v10
	;; [unrolled: 1-line block ×7, first 2 shown]
	v_pk_fma_f16 v75, v14, v13, v75
	v_pk_fma_f16 v8, v15, v13, v8
	v_lshrrev_b32_e32 v13, 16, v18
	v_mul_u32_u24_e32 v76, 0x10001, v76
	v_pk_fma_f16 v77, v14, v10, v77
	v_pk_fma_f16 v27, v14, v11, v27
	;; [unrolled: 1-line block ×10, first 2 shown]
	v_and_b32_e32 v15, 0xffff, v18
	v_dual_lshrrev_b32 v18, 16, v19 :: v_dual_lshrrev_b32 v25, 16, v20
	v_and_b32_e32 v19, 0xffff, v19
	v_lshrrev_b32_e32 v26, 16, v21
	v_and_b32_e32 v20, 0xffff, v20
	v_and_b32_e32 v21, 0xffff, v21
	v_pk_fma_f16 v78, v14, v35, v78
	v_pk_fma_f16 v38, v14, v36, v38
	;; [unrolled: 1-line block ×4, first 2 shown]
	v_mul_u32_u24_e32 v15, 0x10001, v15
	v_mul_u32_u24_e32 v13, 0x10001, v13
	;; [unrolled: 1-line block ×8, first 2 shown]
	s_wait_kmcnt 0x0
	s_lshl_b32 s5, s5, 6
	v_pk_fma_f16 v89, v16, v15, v77
	v_pk_fma_f16 v88, v16, v13, v78
	;; [unrolled: 1-line block ×16, first 2 shown]
	s_add_co_i32 s4, s5, s4
	s_delay_alu instid0(SALU_CYCLE_1)
	s_cmp_ge_i32 s4, s30
	s_cbranch_scc1 .LBB71_75
; %bb.74:                               ;   in Loop: Header=BB71_9 Depth=1
	v_dual_mov_b32 v96, v0 :: v_dual_mov_b32 v98, v1
	v_dual_mov_b32 v97, v2 :: v_dual_mov_b32 v95, v3
	;; [unrolled: 1-line block ×4, first 2 shown]
	s_branch .LBB71_9
.LBB71_75:
	v_mov_b32_e32 v8, v65
.LBB71_76:
	v_cmp_lt_i32_e32 vcc_lo, v32, v64
	s_cmp_lg_u64 s[12:13], 0
	s_cselect_b32 s3, -1, 0
	s_cmp_eq_u32 s31, 0
	v_cndmask_b32_e32 v9, v8, v32, vcc_lo
	v_cmp_lt_i32_e32 vcc_lo, v31, v64
	s_cselect_b32 s4, -1, 0
	s_delay_alu instid0(SALU_CYCLE_1) | instskip(NEXT) | instid1(VALU_DEP_2)
	s_and_b32 s3, s4, s3
	v_lshlrev_b32_e32 v9, 2, v9
	ds_bpermute_b32 v10, v9, v46
	ds_bpermute_b32 v11, v9, v47
	ds_bpermute_b32 v12, v9, v44
	ds_bpermute_b32 v13, v9, v45
	ds_bpermute_b32 v14, v9, v42
	ds_bpermute_b32 v15, v9, v43
	ds_bpermute_b32 v16, v9, v40
	ds_bpermute_b32 v17, v9, v41
	v_cndmask_b32_e32 v9, v8, v31, vcc_lo
	v_cmp_lt_i32_e32 vcc_lo, v30, v64
	s_delay_alu instid0(VALU_DEP_2)
	v_lshlrev_b32_e32 v9, 2, v9
	s_wait_dscnt 0x6
	v_pk_add_f32 v[10:11], v[46:47], v[10:11]
	s_wait_dscnt 0x4
	v_pk_add_f32 v[12:13], v[44:45], v[12:13]
	;; [unrolled: 2-line block ×3, first 2 shown]
	ds_bpermute_b32 v18, v9, v10
	s_wait_dscnt 0x1
	v_pk_add_f32 v[16:17], v[40:41], v[16:17]
	ds_bpermute_b32 v19, v9, v11
	ds_bpermute_b32 v20, v9, v12
	ds_bpermute_b32 v21, v9, v13
	ds_bpermute_b32 v22, v9, v14
	ds_bpermute_b32 v23, v9, v15
	ds_bpermute_b32 v24, v9, v16
	ds_bpermute_b32 v25, v9, v17
	v_cndmask_b32_e32 v9, v8, v30, vcc_lo
	v_cmp_lt_i32_e32 vcc_lo, v29, v64
	s_delay_alu instid0(VALU_DEP_2)
	v_lshlrev_b32_e32 v9, 2, v9
	s_wait_dscnt 0x6
	v_pk_add_f32 v[10:11], v[10:11], v[18:19]
	s_wait_dscnt 0x4
	v_pk_add_f32 v[12:13], v[12:13], v[20:21]
	;; [unrolled: 2-line block ×3, first 2 shown]
	ds_bpermute_b32 v18, v9, v10
	s_wait_dscnt 0x1
	v_pk_add_f32 v[16:17], v[16:17], v[24:25]
	ds_bpermute_b32 v19, v9, v11
	ds_bpermute_b32 v20, v9, v12
	;; [unrolled: 1-line block ×7, first 2 shown]
	v_cndmask_b32_e32 v9, v8, v29, vcc_lo
	v_cmp_lt_i32_e32 vcc_lo, v28, v64
	s_delay_alu instid0(VALU_DEP_2) | instskip(SKIP_1) | instid1(VALU_DEP_1)
	v_dual_cndmask_b32 v8, v8, v28 :: v_dual_lshlrev_b32 v9, 2, v9
	s_and_b32 vcc_lo, exec_lo, s3
	v_lshlrev_b32_e32 v26, 2, v8
	s_wait_dscnt 0x6
	v_pk_add_f32 v[10:11], v[10:11], v[18:19]
	s_wait_dscnt 0x4
	v_pk_add_f32 v[12:13], v[12:13], v[20:21]
	;; [unrolled: 2-line block ×3, first 2 shown]
	ds_bpermute_b32 v18, v9, v10
	s_wait_dscnt 0x1
	v_pk_add_f32 v[16:17], v[16:17], v[24:25]
	ds_bpermute_b32 v19, v9, v11
	ds_bpermute_b32 v20, v9, v12
	;; [unrolled: 1-line block ×7, first 2 shown]
	s_wait_dscnt 0x6
	v_pk_add_f32 v[8:9], v[10:11], v[18:19]
	s_wait_dscnt 0x4
	v_pk_add_f32 v[10:11], v[12:13], v[20:21]
	;; [unrolled: 2-line block ×3, first 2 shown]
	ds_bpermute_b32 v12, v26, v8
	s_wait_dscnt 0x1
	v_pk_add_f32 v[16:17], v[16:17], v[24:25]
	ds_bpermute_b32 v13, v26, v9
	ds_bpermute_b32 v20, v26, v10
	;; [unrolled: 1-line block ×7, first 2 shown]
	s_wait_dscnt 0x6
	v_pk_add_f32 v[14:15], v[8:9], v[12:13]
	s_wait_dscnt 0x4
	v_pk_add_f32 v[12:13], v[10:11], v[20:21]
	;; [unrolled: 2-line block ×4, first 2 shown]
	s_cbranch_vccz .LBB71_78
; %bb.77:
	s_ashr_i32 s29, s28, 31
	v_dual_mov_b32 v16, 0 :: v_dual_max_num_f32 v17, v1, v1
	s_lshl_b64 s[4:5], s[28:29], 2
	v_dual_max_num_f32 v21, v5, v5 :: v_dual_max_num_f32 v22, v6, v6
	s_add_nc_u64 s[4:5], s[12:13], s[4:5]
	s_clause 0x1
	global_load_b128 v[24:27], v16, s[4:5]
	global_load_b128 v[28:31], v16, s[4:5] offset:16
	s_wait_xcnt 0x0
	v_dual_max_num_f32 v16, v0, v0 :: v_dual_max_num_f32 v18, v2, v2
	v_max_num_f32_e32 v23, v7, v7
	v_dual_max_num_f32 v19, v3, v3 :: v_dual_max_num_f32 v20, v4, v4
	s_wait_loadcnt 0x1
	v_dual_max_num_f32 v32, v24, v24 :: v_dual_max_num_f32 v33, v25, v25
	s_wait_loadcnt 0x0
	v_dual_max_num_f32 v34, v26, v26 :: v_dual_max_num_f32 v37, v29, v29
	v_dual_max_num_f32 v38, v30, v30 :: v_dual_max_num_f32 v39, v31, v31
	s_delay_alu instid0(VALU_DEP_3) | instskip(SKIP_1) | instid1(VALU_DEP_4)
	v_dual_max_num_f32 v16, v16, v32 :: v_dual_max_num_f32 v35, v27, v27
	v_dual_max_num_f32 v36, v28, v28 :: v_dual_max_num_f32 v17, v17, v33
	;; [unrolled: 1-line block ×3, first 2 shown]
	s_delay_alu instid0(VALU_DEP_4) | instskip(NEXT) | instid1(VALU_DEP_4)
	v_dual_max_num_f32 v22, v22, v38 :: v_dual_max_num_f32 v23, v23, v39
	v_dual_sub_f32 v0, v0, v16 :: v_dual_max_num_f32 v19, v19, v35
	s_delay_alu instid0(VALU_DEP_4)
	v_max_num_f32_e32 v20, v20, v36
	v_dual_sub_f32 v24, v24, v16 :: v_dual_sub_f32 v1, v1, v17
	v_dual_sub_f32 v25, v25, v17 :: v_dual_sub_f32 v32, v2, v18
	;; [unrolled: 1-line block ×3, first 2 shown]
	v_dual_sub_f32 v31, v31, v23 :: v_dual_mul_f32 v2, 0x3fb8aa3b, v0
	v_dual_sub_f32 v26, v26, v18 :: v_dual_sub_f32 v33, v3, v19
	v_dual_sub_f32 v28, v28, v20 :: v_dual_sub_f32 v35, v5, v21
	v_mul_f32_e32 v3, 0x3fb8aa3b, v24
	v_dual_mul_f32 v43, 0x3fb8aa3b, v29 :: v_dual_mul_f32 v44, 0x3fb8aa3b, v36
	v_fma_f32 v48, 0x3fb8aa3b, v0, -v2
	v_rndne_f32_e32 v49, v2
	v_dual_sub_f32 v27, v27, v19 :: v_dual_sub_f32 v34, v4, v20
	v_dual_sub_f32 v30, v30, v22 :: v_dual_sub_f32 v37, v7, v23
	v_mul_f32_e32 v4, 0x3fb8aa3b, v1
	v_dual_mul_f32 v5, 0x3fb8aa3b, v25 :: v_dual_mul_f32 v6, 0x3fb8aa3b, v32
	v_dual_mul_f32 v41, 0x3fb8aa3b, v28 :: v_dual_mul_f32 v42, 0x3fb8aa3b, v35
	v_dual_mul_f32 v47, 0x3fb8aa3b, v31 :: v_dual_sub_f32 v2, v2, v49
	v_fma_f32 v50, 0x3fb8aa3b, v24, -v3
	v_rndne_f32_e32 v51, v3
	v_rndne_f32_e32 v74, v43
	v_fmac_f32_e32 v48, 0x32a5705f, v0
	v_dual_mul_f32 v7, 0x3fb8aa3b, v26 :: v_dual_mul_f32 v38, 0x3fb8aa3b, v33
	v_dual_mul_f32 v45, 0x3fb8aa3b, v30 :: v_dual_mul_f32 v46, 0x3fb8aa3b, v37
	v_fma_f32 v52, 0x3fb8aa3b, v1, -v4
	v_rndne_f32_e32 v53, v4
	v_rndne_f32_e32 v55, v5
	v_rndne_f32_e32 v70, v41
	v_fma_f32 v71, 0x3fb8aa3b, v35, -v42
	v_rndne_f32_e32 v72, v42
	v_fma_f32 v73, 0x3fb8aa3b, v29, -v43
	v_rndne_f32_e32 v92, v44
	v_dual_fmac_f32 v50, 0x32a5705f, v24 :: v_dual_sub_f32 v3, v3, v51
	v_dual_sub_f32 v43, v43, v74 :: v_dual_add_f32 v2, v2, v48
	v_dual_mul_f32 v39, 0x3fb8aa3b, v27 :: v_dual_mul_f32 v40, 0x3fb8aa3b, v34
	v_fma_f32 v54, 0x3fb8aa3b, v25, -v5
	v_rndne_f32_e32 v59, v7
	v_rndne_f32_e32 v64, v38
	v_fma_f32 v69, 0x3fb8aa3b, v28, -v41
	v_fma_f32 v91, 0x3fb8aa3b, v36, -v44
	;; [unrolled: 1-line block ×3, first 2 shown]
	v_fmac_f32_e32 v52, 0x32a5705f, v1
	v_dual_sub_f32 v4, v4, v53 :: v_dual_sub_f32 v5, v5, v55
	v_dual_sub_f32 v41, v41, v70 :: v_dual_sub_f32 v42, v42, v72
	v_dual_fmac_f32 v71, 0x32a5705f, v35 :: v_dual_sub_f32 v44, v44, v92
	v_add_f32_e32 v3, v3, v50
	v_exp_f32_e32 v2, v2
	v_cvt_i32_f32_e32 v49, v49
	v_fma_f32 v56, 0x3fb8aa3b, v32, -v6
	v_rndne_f32_e32 v57, v6
	v_fma_f32 v58, 0x3fb8aa3b, v26, -v7
	v_fma_f32 v63, 0x3fb8aa3b, v33, -v38
	;; [unrolled: 1-line block ×3, first 2 shown]
	v_rndne_f32_e32 v66, v39
	v_dual_fmac_f32 v54, 0x32a5705f, v25 :: v_dual_sub_f32 v7, v7, v59
	v_dual_sub_f32 v38, v38, v64 :: v_dual_fmac_f32 v93, 0x32a5705f, v30
	v_dual_add_f32 v4, v4, v52 :: v_dual_add_f32 v42, v42, v71
	v_exp_f32_e32 v3, v3
	v_rndne_f32_e32 v94, v45
	v_fma_f32 v97, 0x3fb8aa3b, v31, -v47
	v_cvt_i32_f32_e32 v51, v51
	v_ldexp_f32 v2, v2, v49
	v_cmp_ngt_f32_e32 vcc_lo, 0xc2ce8ed0, v0
	v_dual_fmac_f32 v56, 0x32a5705f, v32 :: v_dual_fmac_f32 v63, 0x32a5705f, v33
	v_dual_sub_f32 v6, v6, v57 :: v_dual_sub_f32 v39, v39, v66
	v_fmac_f32_e32 v65, 0x32a5705f, v27
	v_add_f32_e32 v5, v5, v54
	v_exp_f32_e32 v4, v4
	v_rndne_f32_e32 v98, v47
	v_cvt_i32_f32_e32 v53, v53
	v_dual_sub_f32 v45, v45, v94 :: v_dual_add_f32 v6, v6, v56
	v_dual_fmac_f32 v97, 0x32a5705f, v31 :: v_dual_cndmask_b32 v2, 0, v2
	v_ldexp_f32 v3, v3, v51
	v_cmp_ngt_f32_e32 vcc_lo, 0xc2ce8ed0, v24
	v_dual_fmac_f32 v58, 0x32a5705f, v26 :: v_dual_fmac_f32 v69, 0x32a5705f, v28
	v_add_f32_e32 v39, v39, v65
	v_exp_f32_e32 v5, v5
	v_cvt_i32_f32_e32 v55, v55
	s_delay_alu instid0(VALU_DEP_3)
	v_dual_sub_f32 v47, v47, v98 :: v_dual_add_f32 v41, v41, v69
	v_dual_add_f32 v45, v45, v93 :: v_dual_cndmask_b32 v3, 0, v3, vcc_lo
	v_ldexp_f32 v4, v4, v53
	v_cmp_ngt_f32_e32 vcc_lo, 0xc2ce8ed0, v1
	v_dual_fmac_f32 v91, 0x32a5705f, v36 :: v_dual_add_f32 v38, v38, v63
	v_add_f32_e32 v7, v7, v58
	v_exp_f32_e32 v6, v6
	v_cvt_i32_f32_e32 v57, v57
	v_dual_add_f32 v47, v47, v97 :: v_dual_cndmask_b32 v4, 0, v4
	v_ldexp_f32 v5, v5, v55
	v_cmp_ngt_f32_e32 vcc_lo, 0xc2ce8ed0, v25
	v_fma_f32 v67, 0x3fb8aa3b, v34, -v40
	v_rndne_f32_e32 v68, v40
	v_add_f32_e32 v44, v44, v91
	v_exp_f32_e32 v7, v7
	v_cvt_i32_f32_e32 v59, v59
	v_ldexp_f32 v6, v6, v57
	v_cndmask_b32_e32 v5, 0, v5, vcc_lo
	v_cmp_ngt_f32_e32 vcc_lo, 0xc2ce8ed0, v32
	v_fma_f32 v95, 0x3fb8aa3b, v37, -v46
	v_dual_fmac_f32 v67, 0x32a5705f, v34 :: v_dual_sub_f32 v40, v40, v68
	v_exp_f32_e32 v38, v38
	v_cvt_i32_f32_e32 v64, v64
	v_ldexp_f32 v7, v7, v59
	v_cndmask_b32_e32 v6, 0, v6, vcc_lo
	v_cmp_ngt_f32_e32 vcc_lo, 0xc2ce8ed0, v26
	v_dual_fmac_f32 v95, 0x32a5705f, v37 :: v_dual_add_f32 v40, v40, v67
	v_exp_f32_e32 v39, v39
	v_cvt_i32_f32_e32 v66, v66
	v_ldexp_f32 v38, v38, v64
	v_cndmask_b32_e32 v7, 0, v7, vcc_lo
	v_cmp_ngt_f32_e32 vcc_lo, 0xc2ce8ed0, v33
	v_exp_f32_e32 v40, v40
	v_cvt_i32_f32_e32 v68, v68
	v_ldexp_f32 v39, v39, v66
	v_rndne_f32_e32 v96, v46
	v_cndmask_b32_e32 v38, 0, v38, vcc_lo
	v_cmp_ngt_f32_e32 vcc_lo, 0xc2ce8ed0, v27
	v_fmac_f32_e32 v73, 0x32a5705f, v29
	v_exp_f32_e32 v41, v41
	v_cvt_i32_f32_e32 v70, v70
	v_ldexp_f32 v40, v40, v68
	v_cndmask_b32_e32 v39, 0, v39, vcc_lo
	v_cmp_ngt_f32_e32 vcc_lo, 0xc2ce8ed0, v34
	v_dual_sub_f32 v46, v46, v96 :: v_dual_add_f32 v43, v43, v73
	v_exp_f32_e32 v42, v42
	v_cvt_i32_f32_e32 v72, v72
	v_ldexp_f32 v41, v41, v70
	v_cndmask_b32_e32 v40, 0, v40, vcc_lo
	v_cmp_ngt_f32_e32 vcc_lo, 0xc2ce8ed0, v28
	v_add_f32_e32 v46, v46, v95
	v_exp_f32_e32 v43, v43
	v_cvt_i32_f32_e32 v74, v74
	v_ldexp_f32 v42, v42, v72
	v_cndmask_b32_e32 v41, 0, v41, vcc_lo
	v_cmp_ngt_f32_e32 vcc_lo, 0xc2ce8ed0, v35
	v_exp_f32_e32 v44, v44
	v_cvt_i32_f32_e32 v92, v92
	v_ldexp_f32 v43, v43, v74
	v_exp_f32_e32 v45, v45
	v_cndmask_b32_e32 v42, 0, v42, vcc_lo
	v_cmp_ngt_f32_e32 vcc_lo, 0xc2ce8ed0, v29
	v_cvt_i32_f32_e32 v94, v94
	v_ldexp_f32 v44, v44, v92
	v_exp_f32_e32 v46, v46
	v_cvt_i32_f32_e32 v96, v96
	v_cndmask_b32_e32 v43, 0, v43, vcc_lo
	v_cmp_ngt_f32_e32 vcc_lo, 0xc2ce8ed0, v36
	v_ldexp_f32 v45, v45, v94
	v_exp_f32_e32 v47, v47
	v_cvt_i32_f32_e32 v98, v98
	v_ldexp_f32 v46, v46, v96
	v_cndmask_b32_e32 v44, 0, v44, vcc_lo
	v_cmp_ngt_f32_e32 vcc_lo, 0xc2ce8ed0, v30
	s_delay_alu instid0(TRANS32_DEP_1) | instid1(VALU_DEP_4)
	v_ldexp_f32 v47, v47, v98
	v_cndmask_b32_e32 v45, 0, v45, vcc_lo
	v_cmp_ngt_f32_e32 vcc_lo, 0xc2ce8ed0, v37
	v_cndmask_b32_e32 v46, 0, v46, vcc_lo
	v_cmp_ngt_f32_e32 vcc_lo, 0xc2ce8ed0, v31
	v_cndmask_b32_e32 v47, 0, v47, vcc_lo
	v_cmp_nlt_f32_e32 vcc_lo, 0x42b17218, v0
	v_cndmask_b32_e32 v0, 0x7f800000, v2, vcc_lo
	v_cmp_nlt_f32_e32 vcc_lo, 0x42b17218, v24
	;; [unrolled: 2-line block ×5, first 2 shown]
	v_cvt_f16_f32_e32 v32, v0
	s_delay_alu instid0(VALU_DEP_3) | instskip(SKIP_2) | instid1(VALU_DEP_4)
	v_pk_fma_f32 v[14:15], v[14:15], v[0:1], v[2:3]
	v_cndmask_b32_e32 v4, 0x7f800000, v6, vcc_lo
	v_cmp_nlt_f32_e32 vcc_lo, 0x42b17218, v26
	v_and_b32_e32 v0, 0xffff, v32
	v_cndmask_b32_e32 v6, 0x7f800000, v7, vcc_lo
	v_cmp_nlt_f32_e32 vcc_lo, 0x42b17218, v33
	v_cvt_f16_f32_e32 v33, v1
	s_delay_alu instid0(VALU_DEP_4) | instskip(SKIP_2) | instid1(VALU_DEP_4)
	v_mul_u32_u24_e32 v0, 0x10001, v0
	v_cndmask_b32_e32 v5, 0x7f800000, v38, vcc_lo
	v_cmp_nlt_f32_e32 vcc_lo, 0x42b17218, v27
	v_and_b32_e32 v1, 0xffff, v33
	s_delay_alu instid0(VALU_DEP_4)
	v_pk_mul_f16 v89, v89, v0
	v_pk_mul_f16 v90, v90, v0
	v_cndmask_b32_e32 v7, 0x7f800000, v39, vcc_lo
	v_cmp_nlt_f32_e32 vcc_lo, 0x42b17218, v34
	v_cvt_f16_f32_e32 v34, v4
	v_mul_u32_u24_e32 v1, 0x10001, v1
	s_delay_alu instid0(VALU_DEP_4)
	v_pk_fma_f32 v[12:13], v[12:13], v[4:5], v[6:7]
	v_cndmask_b32_e32 v24, 0x7f800000, v40, vcc_lo
	v_cmp_nlt_f32_e32 vcc_lo, 0x42b17218, v28
	v_and_b32_e32 v2, 0xffff, v34
	v_pk_mul_f16 v88, v88, v1
	v_pk_mul_f16 v87, v87, v1
	v_cndmask_b32_e32 v26, 0x7f800000, v41, vcc_lo
	v_cmp_nlt_f32_e32 vcc_lo, 0x42b17218, v35
	v_cvt_f16_f32_e32 v35, v5
	v_mul_u32_u24_e32 v2, 0x10001, v2
	v_cndmask_b32_e32 v25, 0x7f800000, v42, vcc_lo
	v_cmp_nlt_f32_e32 vcc_lo, 0x42b17218, v29
	s_delay_alu instid0(VALU_DEP_4) | instskip(NEXT) | instid1(VALU_DEP_4)
	v_and_b32_e32 v3, 0xffff, v35
	v_pk_mul_f16 v86, v86, v2
	v_pk_mul_f16 v85, v85, v2
	v_cndmask_b32_e32 v27, 0x7f800000, v43, vcc_lo
	v_cmp_nlt_f32_e32 vcc_lo, 0x42b17218, v36
	v_cvt_f16_f32_e32 v36, v24
	v_mul_u32_u24_e32 v3, 0x10001, v3
	s_delay_alu instid0(VALU_DEP_4)
	v_pk_fma_f32 v[10:11], v[10:11], v[24:25], v[26:27]
	v_cndmask_b32_e32 v28, 0x7f800000, v44, vcc_lo
	v_cmp_nlt_f32_e32 vcc_lo, 0x42b17218, v30
	v_and_b32_e32 v4, 0xffff, v36
	v_pk_mul_f16 v84, v84, v3
	v_pk_mul_f16 v83, v83, v3
	v_cvt_f16_f32_e32 v38, v28
	v_cndmask_b32_e32 v30, 0x7f800000, v45, vcc_lo
	v_cmp_nlt_f32_e32 vcc_lo, 0x42b17218, v37
	v_cvt_f16_f32_e32 v37, v25
	v_mul_u32_u24_e32 v4, 0x10001, v4
	v_and_b32_e32 v6, 0xffff, v38
	v_cndmask_b32_e32 v29, 0x7f800000, v46, vcc_lo
	s_delay_alu instid0(VALU_DEP_4) | instskip(SKIP_1) | instid1(VALU_DEP_4)
	v_and_b32_e32 v5, 0xffff, v37
	v_cmp_nlt_f32_e32 vcc_lo, 0x42b17218, v31
	v_mul_u32_u24_e32 v6, 0x10001, v6
	v_pk_mul_f16 v82, v82, v4
	v_cvt_f16_f32_e32 v39, v29
	v_mul_u32_u24_e32 v5, 0x10001, v5
	v_cndmask_b32_e32 v31, 0x7f800000, v47, vcc_lo
	v_pk_mul_f16 v81, v81, v4
	v_pk_mul_f16 v77, v77, v6
	v_and_b32_e32 v7, 0xffff, v39
	v_pk_mul_f16 v80, v80, v5
	v_pk_mul_f16 v79, v79, v5
	;; [unrolled: 1-line block ×3, first 2 shown]
	v_pk_fma_f32 v[8:9], v[8:9], v[28:29], v[30:31]
	v_mul_u32_u24_e32 v7, 0x10001, v7
	s_delay_alu instid0(VALU_DEP_1)
	v_pk_mul_f16 v75, v75, v7
	v_pk_mul_f16 v76, v76, v7
	v_mov_b64_e32 v[0:1], v[16:17]
	v_mov_b64_e32 v[2:3], v[18:19]
	;; [unrolled: 1-line block ×4, first 2 shown]
.LBB71_78:
	s_mov_b32 s3, exec_lo
	v_cmpx_gt_i32_e64 s22, v62
	s_cbranch_execz .LBB71_111
; %bb.79:
	s_load_b32 s0, s[0:1], 0xd4
	v_mov_b32_e32 v16, 1.0
	s_wait_kmcnt 0x0
	s_cmp_lg_u32 s0, 1
	s_cselect_b32 s1, -1, 0
	s_cmp_eq_u32 s0, 1
	s_cselect_b32 s3, -1, 0
	s_and_b32 vcc_lo, exec_lo, s1
	s_cbranch_vccnz .LBB71_81
; %bb.80:
	v_div_scale_f32 v16, null, v14, v14, 1.0
	s_delay_alu instid0(VALU_DEP_1) | instskip(SKIP_1) | instid1(TRANS32_DEP_1)
	v_rcp_f32_e32 v17, v16
	v_nop
	v_fma_f32 v18, -v16, v17, 1.0
	s_delay_alu instid0(VALU_DEP_1) | instskip(SKIP_1) | instid1(VALU_DEP_1)
	v_fmac_f32_e32 v17, v18, v17
	v_div_scale_f32 v18, vcc_lo, 1.0, v14, 1.0
	v_mul_f32_e32 v19, v18, v17
	s_delay_alu instid0(VALU_DEP_1) | instskip(NEXT) | instid1(VALU_DEP_1)
	v_fma_f32 v20, -v16, v19, v18
	v_fmac_f32_e32 v19, v20, v17
	s_delay_alu instid0(VALU_DEP_1) | instskip(NEXT) | instid1(VALU_DEP_1)
	v_fma_f32 v16, -v16, v19, v18
	v_div_fmas_f32 v16, v16, v17, v19
	s_delay_alu instid0(VALU_DEP_1)
	v_div_fixup_f32 v16, v16, v14, 1.0
.LBB71_81:
	v_mad_u32 v17, s2, s22, v62
	v_dual_lshrrev_b32 v19, 16, v89 :: v_dual_mov_b32 v21, 0
	v_lshrrev_b32_e32 v23, 16, v90
	v_cvt_f32_f16_e32 v18, v89
	v_cvt_f32_f16_e32 v22, v90
	s_delay_alu instid0(VALU_DEP_4) | instskip(SKIP_4) | instid1(VALU_DEP_1)
	v_cvt_f32_f16_e32 v19, v19
	v_cmp_eq_u32_e32 vcc_lo, 0, v61
	v_cvt_f32_f16_e32 v23, v23
	v_mad_u32 v17, v17, s23, s28
	s_and_b32 s1, vcc_lo, s1
	v_mad_u32 v17, s0, v17, s31
	s_delay_alu instid0(VALU_DEP_1) | instskip(SKIP_1) | instid1(VALU_DEP_2)
	v_lshl_add_u32 v20, v17, 7, v60
	v_pk_mul_f32 v[18:19], v[16:17], v[18:19] op_sel_hi:[0,1]
	v_lshl_add_u64 v[24:25], v[20:21], 2, s[16:17]
	v_pk_mul_f32 v[20:21], v[16:17], v[22:23] op_sel_hi:[0,1]
	global_store_b128 v[24:25], v[18:21], off
	s_wait_xcnt 0x0
	s_and_saveexec_b32 s2, s1
	s_cbranch_execz .LBB71_83
; %bb.82:
	v_dual_mov_b32 v18, v0 :: v_dual_mov_b32 v19, v14
	global_store_b64 v17, v[18:19], s[18:19] scale_offset
.LBB71_83:
	s_wait_xcnt 0x0
	s_or_b32 exec_lo, exec_lo, s2
	v_cndmask_b32_e64 v16, 0, 1, s3
	v_mov_b32_e32 v0, 1.0
	s_and_not1_b32 vcc_lo, exec_lo, s3
	s_cbranch_vccnz .LBB71_85
; %bb.84:
	v_div_scale_f32 v0, null, v15, v15, 1.0
	s_delay_alu instid0(VALU_DEP_1) | instskip(SKIP_1) | instid1(TRANS32_DEP_1)
	v_rcp_f32_e32 v14, v0
	v_nop
	v_fma_f32 v18, -v0, v14, 1.0
	s_delay_alu instid0(VALU_DEP_1) | instskip(SKIP_1) | instid1(VALU_DEP_1)
	v_fmac_f32_e32 v14, v18, v14
	v_div_scale_f32 v18, vcc_lo, 1.0, v15, 1.0
	v_mul_f32_e32 v19, v18, v14
	s_delay_alu instid0(VALU_DEP_1) | instskip(NEXT) | instid1(VALU_DEP_1)
	v_fma_f32 v20, -v0, v19, v18
	v_fmac_f32_e32 v19, v20, v14
	s_delay_alu instid0(VALU_DEP_1) | instskip(NEXT) | instid1(VALU_DEP_1)
	v_fma_f32 v0, -v0, v19, v18
	v_div_fmas_f32 v0, v0, v14, v19
	s_delay_alu instid0(VALU_DEP_1)
	v_div_fixup_f32 v0, v0, v15, 1.0
.LBB71_85:
	v_dual_add_nc_u32 v17, s0, v17 :: v_dual_lshrrev_b32 v14, 16, v88
	v_dual_mov_b32 v19, 0 :: v_dual_lshrrev_b32 v23, 16, v87
	v_cvt_f32_f16_e32 v20, v88
	s_delay_alu instid0(VALU_DEP_3) | instskip(NEXT) | instid1(VALU_DEP_4)
	v_lshl_add_u32 v18, v17, 7, v60
	v_cvt_f32_f16_e32 v21, v14
	v_cvt_f32_f16_e32 v22, v87
	;; [unrolled: 1-line block ×3, first 2 shown]
	s_delay_alu instid0(VALU_DEP_4) | instskip(NEXT) | instid1(VALU_DEP_4)
	v_lshl_add_u64 v[24:25], v[18:19], 2, s[16:17]
	v_pk_mul_f32 v[18:19], v[0:1], v[20:21] op_sel_hi:[0,1]
	s_delay_alu instid0(VALU_DEP_3)
	v_pk_mul_f32 v[20:21], v[0:1], v[22:23] op_sel_hi:[0,1]
	global_store_b128 v[24:25], v[18:21], off
	s_wait_xcnt 0x0
	s_and_saveexec_b32 s2, s1
	s_cbranch_execz .LBB71_87
; %bb.86:
	v_mov_b32_e32 v14, v1
	global_store_b64 v17, v[14:15], s[18:19] scale_offset
.LBB71_87:
	s_wait_xcnt 0x0
	s_or_b32 exec_lo, exec_lo, s2
	v_cmp_ne_u32_e32 vcc_lo, 1, v16
	v_mov_b32_e32 v0, 1.0
	s_cbranch_vccnz .LBB71_89
; %bb.88:
	v_div_scale_f32 v0, null, v12, v12, 1.0
	s_delay_alu instid0(VALU_DEP_1) | instskip(SKIP_1) | instid1(TRANS32_DEP_1)
	v_rcp_f32_e32 v1, v0
	v_nop
	v_fma_f32 v14, -v0, v1, 1.0
	s_delay_alu instid0(VALU_DEP_1) | instskip(SKIP_1) | instid1(VALU_DEP_1)
	v_fmac_f32_e32 v1, v14, v1
	v_div_scale_f32 v14, vcc_lo, 1.0, v12, 1.0
	v_mul_f32_e32 v15, v14, v1
	s_delay_alu instid0(VALU_DEP_1) | instskip(NEXT) | instid1(VALU_DEP_1)
	v_fma_f32 v18, -v0, v15, v14
	v_fmac_f32_e32 v15, v18, v1
	s_delay_alu instid0(VALU_DEP_1) | instskip(NEXT) | instid1(VALU_DEP_1)
	v_fma_f32 v0, -v0, v15, v14
	v_div_fmas_f32 v0, v0, v1, v15
	s_delay_alu instid0(VALU_DEP_1)
	v_div_fixup_f32 v0, v0, v12, 1.0
.LBB71_89:
	v_dual_add_nc_u32 v1, s0, v17 :: v_dual_lshrrev_b32 v17, 16, v86
	v_dual_mov_b32 v15, 0 :: v_dual_lshrrev_b32 v21, 16, v85
	v_cvt_f32_f16_e32 v18, v86
	s_delay_alu instid0(VALU_DEP_3) | instskip(NEXT) | instid1(VALU_DEP_4)
	v_lshl_add_u32 v14, v1, 7, v60
	v_cvt_f32_f16_e32 v19, v17
	v_cvt_f32_f16_e32 v20, v85
	;; [unrolled: 1-line block ×3, first 2 shown]
	s_delay_alu instid0(VALU_DEP_4) | instskip(NEXT) | instid1(VALU_DEP_4)
	v_lshl_add_u64 v[14:15], v[14:15], 2, s[16:17]
	v_pk_mul_f32 v[18:19], v[0:1], v[18:19] op_sel_hi:[0,1]
	s_delay_alu instid0(VALU_DEP_3)
	v_pk_mul_f32 v[20:21], v[0:1], v[20:21] op_sel_hi:[0,1]
	global_store_b128 v[14:15], v[18:21], off
	s_wait_xcnt 0x0
	s_and_saveexec_b32 s2, s1
	s_cbranch_execz .LBB71_91
; %bb.90:
	v_dual_mov_b32 v14, v2 :: v_dual_mov_b32 v15, v12
	global_store_b64 v1, v[14:15], s[18:19] scale_offset
.LBB71_91:
	s_wait_xcnt 0x0
	s_or_b32 exec_lo, exec_lo, s2
	v_cmp_ne_u32_e32 vcc_lo, 1, v16
	v_mov_b32_e32 v0, 1.0
	s_cbranch_vccnz .LBB71_93
; %bb.92:
	v_div_scale_f32 v0, null, v13, v13, 1.0
	s_delay_alu instid0(VALU_DEP_1) | instskip(SKIP_1) | instid1(TRANS32_DEP_1)
	v_rcp_f32_e32 v2, v0
	v_nop
	v_fma_f32 v12, -v0, v2, 1.0
	s_delay_alu instid0(VALU_DEP_1) | instskip(SKIP_1) | instid1(VALU_DEP_1)
	v_fmac_f32_e32 v2, v12, v2
	v_div_scale_f32 v12, vcc_lo, 1.0, v13, 1.0
	v_mul_f32_e32 v14, v12, v2
	s_delay_alu instid0(VALU_DEP_1) | instskip(NEXT) | instid1(VALU_DEP_1)
	v_fma_f32 v15, -v0, v14, v12
	v_fmac_f32_e32 v14, v15, v2
	s_delay_alu instid0(VALU_DEP_1) | instskip(NEXT) | instid1(VALU_DEP_1)
	v_fma_f32 v0, -v0, v14, v12
	v_div_fmas_f32 v0, v0, v2, v14
	s_delay_alu instid0(VALU_DEP_1)
	v_div_fixup_f32 v0, v0, v13, 1.0
.LBB71_93:
	v_dual_add_nc_u32 v1, s0, v1 :: v_dual_lshrrev_b32 v2, 16, v84
	v_dual_mov_b32 v15, 0 :: v_dual_lshrrev_b32 v12, 16, v83
	v_cvt_f32_f16_e32 v18, v84
	s_delay_alu instid0(VALU_DEP_3) | instskip(NEXT) | instid1(VALU_DEP_4)
	v_lshl_add_u32 v14, v1, 7, v60
	v_cvt_f32_f16_e32 v19, v2
	v_cvt_f32_f16_e32 v20, v83
	;; [unrolled: 1-line block ×3, first 2 shown]
	s_delay_alu instid0(VALU_DEP_4) | instskip(NEXT) | instid1(VALU_DEP_4)
	v_lshl_add_u64 v[14:15], v[14:15], 2, s[16:17]
	v_pk_mul_f32 v[18:19], v[0:1], v[18:19] op_sel_hi:[0,1]
	s_delay_alu instid0(VALU_DEP_3)
	v_pk_mul_f32 v[20:21], v[0:1], v[20:21] op_sel_hi:[0,1]
	global_store_b128 v[14:15], v[18:21], off
	s_wait_xcnt 0x0
	s_and_saveexec_b32 s2, s1
	s_cbranch_execz .LBB71_95
; %bb.94:
	v_mov_b32_e32 v12, v3
	global_store_b64 v1, v[12:13], s[18:19] scale_offset
.LBB71_95:
	s_wait_xcnt 0x0
	s_or_b32 exec_lo, exec_lo, s2
	v_cmp_ne_u32_e32 vcc_lo, 1, v16
	v_mov_b32_e32 v0, 1.0
	s_cbranch_vccnz .LBB71_97
; %bb.96:
	v_div_scale_f32 v0, null, v10, v10, 1.0
	s_delay_alu instid0(VALU_DEP_1) | instskip(SKIP_1) | instid1(TRANS32_DEP_1)
	v_rcp_f32_e32 v2, v0
	v_nop
	v_fma_f32 v3, -v0, v2, 1.0
	s_delay_alu instid0(VALU_DEP_1) | instskip(SKIP_1) | instid1(VALU_DEP_1)
	v_fmac_f32_e32 v2, v3, v2
	v_div_scale_f32 v3, vcc_lo, 1.0, v10, 1.0
	v_mul_f32_e32 v12, v3, v2
	s_delay_alu instid0(VALU_DEP_1) | instskip(NEXT) | instid1(VALU_DEP_1)
	v_fma_f32 v13, -v0, v12, v3
	v_fmac_f32_e32 v12, v13, v2
	s_delay_alu instid0(VALU_DEP_1) | instskip(NEXT) | instid1(VALU_DEP_1)
	v_fma_f32 v0, -v0, v12, v3
	v_div_fmas_f32 v0, v0, v2, v12
	s_delay_alu instid0(VALU_DEP_1)
	v_div_fixup_f32 v0, v0, v10, 1.0
.LBB71_97:
	v_dual_add_nc_u32 v1, s0, v1 :: v_dual_lshrrev_b32 v12, 16, v82
	v_dual_mov_b32 v3, 0 :: v_dual_lshrrev_b32 v15, 16, v81
	v_cvt_f32_f16_e32 v14, v81
	s_delay_alu instid0(VALU_DEP_3) | instskip(NEXT) | instid1(VALU_DEP_4)
	v_lshl_add_u32 v2, v1, 7, v60
	v_cvt_f32_f16_e32 v13, v12
	v_cvt_f32_f16_e32 v12, v82
	;; [unrolled: 1-line block ×3, first 2 shown]
	s_delay_alu instid0(VALU_DEP_4) | instskip(NEXT) | instid1(VALU_DEP_3)
	v_lshl_add_u64 v[2:3], v[2:3], 2, s[16:17]
	v_pk_mul_f32 v[12:13], v[0:1], v[12:13] op_sel_hi:[0,1]
	s_delay_alu instid0(VALU_DEP_3)
	v_pk_mul_f32 v[14:15], v[0:1], v[14:15] op_sel_hi:[0,1]
	global_store_b128 v[2:3], v[12:15], off
	s_wait_xcnt 0x0
	s_and_saveexec_b32 s2, s1
	s_cbranch_execz .LBB71_99
; %bb.98:
	v_dual_mov_b32 v2, v4 :: v_dual_mov_b32 v3, v10
	global_store_b64 v1, v[2:3], s[18:19] scale_offset
.LBB71_99:
	s_wait_xcnt 0x0
	s_or_b32 exec_lo, exec_lo, s2
	v_cmp_ne_u32_e32 vcc_lo, 1, v16
	v_mov_b32_e32 v0, 1.0
	s_cbranch_vccnz .LBB71_101
; %bb.100:
	v_div_scale_f32 v0, null, v11, v11, 1.0
	s_delay_alu instid0(VALU_DEP_1) | instskip(SKIP_1) | instid1(TRANS32_DEP_1)
	v_rcp_f32_e32 v2, v0
	v_nop
	v_fma_f32 v3, -v0, v2, 1.0
	s_delay_alu instid0(VALU_DEP_1) | instskip(SKIP_1) | instid1(VALU_DEP_1)
	v_fmac_f32_e32 v2, v3, v2
	v_div_scale_f32 v3, vcc_lo, 1.0, v11, 1.0
	v_mul_f32_e32 v4, v3, v2
	s_delay_alu instid0(VALU_DEP_1) | instskip(NEXT) | instid1(VALU_DEP_1)
	v_fma_f32 v10, -v0, v4, v3
	v_fmac_f32_e32 v4, v10, v2
	s_delay_alu instid0(VALU_DEP_1) | instskip(NEXT) | instid1(VALU_DEP_1)
	v_fma_f32 v0, -v0, v4, v3
	v_div_fmas_f32 v0, v0, v2, v4
	s_delay_alu instid0(VALU_DEP_1)
	v_div_fixup_f32 v0, v0, v11, 1.0
.LBB71_101:
	v_dual_add_nc_u32 v1, s0, v1 :: v_dual_lshrrev_b32 v4, 16, v80
	v_dual_mov_b32 v3, 0 :: v_dual_lshrrev_b32 v10, 16, v79
	v_cvt_f32_f16_e32 v12, v80
	s_delay_alu instid0(VALU_DEP_3) | instskip(NEXT) | instid1(VALU_DEP_4)
	v_lshl_add_u32 v2, v1, 7, v60
	v_cvt_f32_f16_e32 v13, v4
	v_cvt_f32_f16_e32 v14, v79
	;; [unrolled: 1-line block ×3, first 2 shown]
	s_delay_alu instid0(VALU_DEP_4) | instskip(NEXT) | instid1(VALU_DEP_4)
	v_lshl_add_u64 v[2:3], v[2:3], 2, s[16:17]
	v_pk_mul_f32 v[12:13], v[0:1], v[12:13] op_sel_hi:[0,1]
	s_delay_alu instid0(VALU_DEP_3)
	v_pk_mul_f32 v[14:15], v[0:1], v[14:15] op_sel_hi:[0,1]
	global_store_b128 v[2:3], v[12:15], off
	s_wait_xcnt 0x0
	s_and_saveexec_b32 s2, s1
	s_cbranch_execz .LBB71_103
; %bb.102:
	v_mov_b32_e32 v10, v5
	global_store_b64 v1, v[10:11], s[18:19] scale_offset
.LBB71_103:
	s_wait_xcnt 0x0
	s_or_b32 exec_lo, exec_lo, s2
	v_cmp_ne_u32_e32 vcc_lo, 1, v16
	v_mov_b32_e32 v0, 1.0
	s_cbranch_vccnz .LBB71_105
; %bb.104:
	v_div_scale_f32 v0, null, v8, v8, 1.0
	s_delay_alu instid0(VALU_DEP_1) | instskip(SKIP_1) | instid1(TRANS32_DEP_1)
	v_rcp_f32_e32 v2, v0
	v_nop
	v_fma_f32 v3, -v0, v2, 1.0
	s_delay_alu instid0(VALU_DEP_1) | instskip(SKIP_1) | instid1(VALU_DEP_1)
	v_fmac_f32_e32 v2, v3, v2
	v_div_scale_f32 v3, vcc_lo, 1.0, v8, 1.0
	v_mul_f32_e32 v4, v3, v2
	s_delay_alu instid0(VALU_DEP_1) | instskip(NEXT) | instid1(VALU_DEP_1)
	v_fma_f32 v5, -v0, v4, v3
	v_fmac_f32_e32 v4, v5, v2
	s_delay_alu instid0(VALU_DEP_1) | instskip(NEXT) | instid1(VALU_DEP_1)
	v_fma_f32 v0, -v0, v4, v3
	v_div_fmas_f32 v0, v0, v2, v4
	s_delay_alu instid0(VALU_DEP_1)
	v_div_fixup_f32 v0, v0, v8, 1.0
.LBB71_105:
	v_dual_add_nc_u32 v1, s0, v1 :: v_dual_mov_b32 v3, 0
	v_dual_lshrrev_b32 v4, 16, v77 :: v_dual_lshrrev_b32 v11, 16, v78
	v_cvt_f32_f16_e32 v10, v78
	s_delay_alu instid0(VALU_DEP_3) | instskip(NEXT) | instid1(VALU_DEP_3)
	v_lshl_add_u32 v2, v1, 7, v60
	v_cvt_f32_f16_e32 v5, v4
	v_cvt_f32_f16_e32 v4, v77
	;; [unrolled: 1-line block ×3, first 2 shown]
	s_delay_alu instid0(VALU_DEP_4) | instskip(NEXT) | instid1(VALU_DEP_3)
	v_lshl_add_u64 v[12:13], v[2:3], 2, s[16:17]
	v_pk_mul_f32 v[2:3], v[0:1], v[4:5] op_sel_hi:[0,1]
	s_delay_alu instid0(VALU_DEP_3)
	v_pk_mul_f32 v[4:5], v[0:1], v[10:11] op_sel_hi:[0,1]
	global_store_b128 v[12:13], v[2:5], off
	s_wait_xcnt 0x0
	s_and_saveexec_b32 s2, s1
	s_cbranch_execz .LBB71_107
; %bb.106:
	v_dual_mov_b32 v2, v6 :: v_dual_mov_b32 v3, v8
	global_store_b64 v1, v[2:3], s[18:19] scale_offset
.LBB71_107:
	s_wait_xcnt 0x0
	s_or_b32 exec_lo, exec_lo, s2
	v_cmp_ne_u32_e32 vcc_lo, 1, v16
	v_mov_b32_e32 v0, 1.0
	s_cbranch_vccnz .LBB71_109
; %bb.108:
	v_div_scale_f32 v0, null, v9, v9, 1.0
	s_delay_alu instid0(VALU_DEP_1) | instskip(SKIP_1) | instid1(TRANS32_DEP_1)
	v_rcp_f32_e32 v2, v0
	v_nop
	v_fma_f32 v3, -v0, v2, 1.0
	s_delay_alu instid0(VALU_DEP_1) | instskip(SKIP_1) | instid1(VALU_DEP_1)
	v_fmac_f32_e32 v2, v3, v2
	v_div_scale_f32 v3, vcc_lo, 1.0, v9, 1.0
	v_mul_f32_e32 v4, v3, v2
	s_delay_alu instid0(VALU_DEP_1) | instskip(NEXT) | instid1(VALU_DEP_1)
	v_fma_f32 v5, -v0, v4, v3
	v_fmac_f32_e32 v4, v5, v2
	s_delay_alu instid0(VALU_DEP_1) | instskip(NEXT) | instid1(VALU_DEP_1)
	v_fma_f32 v0, -v0, v4, v3
	v_div_fmas_f32 v0, v0, v2, v4
	s_delay_alu instid0(VALU_DEP_1)
	v_div_fixup_f32 v0, v0, v9, 1.0
.LBB71_109:
	v_dual_add_nc_u32 v1, s0, v1 :: v_dual_lshrrev_b32 v4, 16, v75
	v_dual_mov_b32 v3, 0 :: v_dual_lshrrev_b32 v6, 16, v76
	v_cvt_f32_f16_e32 v10, v76
	s_delay_alu instid0(VALU_DEP_3) | instskip(NEXT) | instid1(VALU_DEP_4)
	v_lshl_add_u32 v2, v1, 7, v60
	v_cvt_f32_f16_e32 v5, v4
	v_cvt_f32_f16_e32 v4, v75
	;; [unrolled: 1-line block ×3, first 2 shown]
	s_delay_alu instid0(VALU_DEP_4) | instskip(NEXT) | instid1(VALU_DEP_3)
	v_lshl_add_u64 v[12:13], v[2:3], 2, s[16:17]
	v_pk_mul_f32 v[2:3], v[0:1], v[4:5] op_sel_hi:[0,1]
	s_delay_alu instid0(VALU_DEP_3)
	v_pk_mul_f32 v[4:5], v[0:1], v[10:11] op_sel_hi:[0,1]
	global_store_b128 v[12:13], v[2:5], off
	s_wait_xcnt 0x0
	s_and_b32 exec_lo, exec_lo, s1
	s_cbranch_execz .LBB71_111
; %bb.110:
	v_mov_b32_e32 v8, v7
	global_store_b64 v1, v[8:9], s[18:19] scale_offset
.LBB71_111:
	s_sendmsg sendmsg(MSG_DEALLOC_VGPRS)
	s_endpgm
	.section	.rodata,"a",@progbits
	.p2align	6, 0x0
	.amdhsa_kernel _ZL15flash_attn_tileILi128ELi128ELi8ELi8ELb1EEvPKcS1_S1_S1_S1_PKiPfP15HIP_vector_typeIfLj2EEffffjfiS5_IjLj3EEiiiiiiiiiiiliiliiiiil
		.amdhsa_group_segment_fixed_size 33792
		.amdhsa_private_segment_fixed_size 0
		.amdhsa_kernarg_size 464
		.amdhsa_user_sgpr_count 2
		.amdhsa_user_sgpr_dispatch_ptr 0
		.amdhsa_user_sgpr_queue_ptr 0
		.amdhsa_user_sgpr_kernarg_segment_ptr 1
		.amdhsa_user_sgpr_dispatch_id 0
		.amdhsa_user_sgpr_kernarg_preload_length 0
		.amdhsa_user_sgpr_kernarg_preload_offset 0
		.amdhsa_user_sgpr_private_segment_size 0
		.amdhsa_wavefront_size32 1
		.amdhsa_uses_dynamic_stack 0
		.amdhsa_enable_private_segment 0
		.amdhsa_system_sgpr_workgroup_id_x 1
		.amdhsa_system_sgpr_workgroup_id_y 1
		.amdhsa_system_sgpr_workgroup_id_z 1
		.amdhsa_system_sgpr_workgroup_info 0
		.amdhsa_system_vgpr_workitem_id 1
		.amdhsa_next_free_vgpr 147
		.amdhsa_next_free_sgpr 43
		.amdhsa_named_barrier_count 0
		.amdhsa_reserve_vcc 1
		.amdhsa_float_round_mode_32 0
		.amdhsa_float_round_mode_16_64 0
		.amdhsa_float_denorm_mode_32 3
		.amdhsa_float_denorm_mode_16_64 3
		.amdhsa_fp16_overflow 0
		.amdhsa_memory_ordered 1
		.amdhsa_forward_progress 1
		.amdhsa_inst_pref_size 255
		.amdhsa_round_robin_scheduling 0
		.amdhsa_exception_fp_ieee_invalid_op 0
		.amdhsa_exception_fp_denorm_src 0
		.amdhsa_exception_fp_ieee_div_zero 0
		.amdhsa_exception_fp_ieee_overflow 0
		.amdhsa_exception_fp_ieee_underflow 0
		.amdhsa_exception_fp_ieee_inexact 0
		.amdhsa_exception_int_div_zero 0
	.end_amdhsa_kernel
	.section	.text._ZL15flash_attn_tileILi128ELi128ELi8ELi8ELb1EEvPKcS1_S1_S1_S1_PKiPfP15HIP_vector_typeIfLj2EEffffjfiS5_IjLj3EEiiiiiiiiiiiliiliiiiil,"axG",@progbits,_ZL15flash_attn_tileILi128ELi128ELi8ELi8ELb1EEvPKcS1_S1_S1_S1_PKiPfP15HIP_vector_typeIfLj2EEffffjfiS5_IjLj3EEiiiiiiiiiiiliiliiiiil,comdat
.Lfunc_end71:
	.size	_ZL15flash_attn_tileILi128ELi128ELi8ELi8ELb1EEvPKcS1_S1_S1_S1_PKiPfP15HIP_vector_typeIfLj2EEffffjfiS5_IjLj3EEiiiiiiiiiiiliiliiiiil, .Lfunc_end71-_ZL15flash_attn_tileILi128ELi128ELi8ELi8ELb1EEvPKcS1_S1_S1_S1_PKiPfP15HIP_vector_typeIfLj2EEffffjfiS5_IjLj3EEiiiiiiiiiiiliiliiiiil
                                        ; -- End function
	.set _ZL15flash_attn_tileILi128ELi128ELi8ELi8ELb1EEvPKcS1_S1_S1_S1_PKiPfP15HIP_vector_typeIfLj2EEffffjfiS5_IjLj3EEiiiiiiiiiiiliiliiiiil.num_vgpr, 147
	.set _ZL15flash_attn_tileILi128ELi128ELi8ELi8ELb1EEvPKcS1_S1_S1_S1_PKiPfP15HIP_vector_typeIfLj2EEffffjfiS5_IjLj3EEiiiiiiiiiiiliiliiiiil.num_agpr, 0
	.set _ZL15flash_attn_tileILi128ELi128ELi8ELi8ELb1EEvPKcS1_S1_S1_S1_PKiPfP15HIP_vector_typeIfLj2EEffffjfiS5_IjLj3EEiiiiiiiiiiiliiliiiiil.numbered_sgpr, 43
	.set _ZL15flash_attn_tileILi128ELi128ELi8ELi8ELb1EEvPKcS1_S1_S1_S1_PKiPfP15HIP_vector_typeIfLj2EEffffjfiS5_IjLj3EEiiiiiiiiiiiliiliiiiil.num_named_barrier, 0
	.set _ZL15flash_attn_tileILi128ELi128ELi8ELi8ELb1EEvPKcS1_S1_S1_S1_PKiPfP15HIP_vector_typeIfLj2EEffffjfiS5_IjLj3EEiiiiiiiiiiiliiliiiiil.private_seg_size, 0
	.set _ZL15flash_attn_tileILi128ELi128ELi8ELi8ELb1EEvPKcS1_S1_S1_S1_PKiPfP15HIP_vector_typeIfLj2EEffffjfiS5_IjLj3EEiiiiiiiiiiiliiliiiiil.uses_vcc, 1
	.set _ZL15flash_attn_tileILi128ELi128ELi8ELi8ELb1EEvPKcS1_S1_S1_S1_PKiPfP15HIP_vector_typeIfLj2EEffffjfiS5_IjLj3EEiiiiiiiiiiiliiliiiiil.uses_flat_scratch, 0
	.set _ZL15flash_attn_tileILi128ELi128ELi8ELi8ELb1EEvPKcS1_S1_S1_S1_PKiPfP15HIP_vector_typeIfLj2EEffffjfiS5_IjLj3EEiiiiiiiiiiiliiliiiiil.has_dyn_sized_stack, 0
	.set _ZL15flash_attn_tileILi128ELi128ELi8ELi8ELb1EEvPKcS1_S1_S1_S1_PKiPfP15HIP_vector_typeIfLj2EEffffjfiS5_IjLj3EEiiiiiiiiiiiliiliiiiil.has_recursion, 0
	.set _ZL15flash_attn_tileILi128ELi128ELi8ELi8ELb1EEvPKcS1_S1_S1_S1_PKiPfP15HIP_vector_typeIfLj2EEffffjfiS5_IjLj3EEiiiiiiiiiiiliiliiiiil.has_indirect_call, 0
	.section	.AMDGPU.csdata,"",@progbits
; Kernel info:
; codeLenInByte = 34644
; TotalNumSgprs: 45
; NumVgprs: 147
; ScratchSize: 0
; MemoryBound: 0
; FloatMode: 240
; IeeeMode: 1
; LDSByteSize: 33792 bytes/workgroup (compile time only)
; SGPRBlocks: 0
; VGPRBlocks: 9
; NumSGPRsForWavesPerEU: 45
; NumVGPRsForWavesPerEU: 147
; NamedBarCnt: 0
; Occupancy: 6
; WaveLimiterHint : 1
; COMPUTE_PGM_RSRC2:SCRATCH_EN: 0
; COMPUTE_PGM_RSRC2:USER_SGPR: 2
; COMPUTE_PGM_RSRC2:TRAP_HANDLER: 0
; COMPUTE_PGM_RSRC2:TGID_X_EN: 1
; COMPUTE_PGM_RSRC2:TGID_Y_EN: 1
; COMPUTE_PGM_RSRC2:TGID_Z_EN: 1
; COMPUTE_PGM_RSRC2:TIDIG_COMP_CNT: 1
	.section	.text._ZL15flash_attn_tileILi128ELi128ELi4ELi8ELb1EEvPKcS1_S1_S1_S1_PKiPfP15HIP_vector_typeIfLj2EEffffjfiS5_IjLj3EEiiiiiiiiiiiliiliiiiil,"axG",@progbits,_ZL15flash_attn_tileILi128ELi128ELi4ELi8ELb1EEvPKcS1_S1_S1_S1_PKiPfP15HIP_vector_typeIfLj2EEffffjfiS5_IjLj3EEiiiiiiiiiiiliiliiiiil,comdat
	.globl	_ZL15flash_attn_tileILi128ELi128ELi4ELi8ELb1EEvPKcS1_S1_S1_S1_PKiPfP15HIP_vector_typeIfLj2EEffffjfiS5_IjLj3EEiiiiiiiiiiiliiliiiiil ; -- Begin function _ZL15flash_attn_tileILi128ELi128ELi4ELi8ELb1EEvPKcS1_S1_S1_S1_PKiPfP15HIP_vector_typeIfLj2EEffffjfiS5_IjLj3EEiiiiiiiiiiiliiliiiiil
	.p2align	8
	.type	_ZL15flash_attn_tileILi128ELi128ELi4ELi8ELb1EEvPKcS1_S1_S1_S1_PKiPfP15HIP_vector_typeIfLj2EEffffjfiS5_IjLj3EEiiiiiiiiiiiliiliiiiil,@function
_ZL15flash_attn_tileILi128ELi128ELi4ELi8ELb1EEvPKcS1_S1_S1_S1_PKiPfP15HIP_vector_typeIfLj2EEffffjfiS5_IjLj3EEiiiiiiiiiiiliiliiiiil: ; @_ZL15flash_attn_tileILi128ELi128ELi4ELi8ELb1EEvPKcS1_S1_S1_S1_PKiPfP15HIP_vector_typeIfLj2EEffffjfiS5_IjLj3EEiiiiiiiiiiiliiliiiiil
; %bb.0:
	s_clause 0x1
	s_load_b128 s[20:23], s[0:1], 0x5c
	s_load_b64 s[28:29], s[0:1], 0x80
	s_bfe_u32 s5, ttmp6, 0x40014
	s_lshr_b32 s4, ttmp7, 16
	s_add_co_i32 s5, s5, 1
	s_bfe_u32 s6, ttmp6, 0x40008
	s_mul_i32 s5, s4, s5
	s_getreg_b32 s27, hwreg(HW_REG_IB_STS2, 6, 4)
	s_add_co_i32 s6, s6, s5
	s_load_b64 s[36:37], s[0:1], 0xb8
	s_mov_b32 s35, 0
	s_mov_b64 s[30:31], 0
	s_wait_kmcnt 0x0
	s_ashr_i32 s2, s23, 31
	s_delay_alu instid0(SALU_CYCLE_1) | instskip(NEXT) | instid1(SALU_CYCLE_1)
	s_lshr_b32 s2, s2, 29
	s_add_co_i32 s2, s23, s2
	s_delay_alu instid0(SALU_CYCLE_1) | instskip(NEXT) | instid1(SALU_CYCLE_1)
	s_ashr_i32 s2, s2, 3
	s_cvt_f32_u32 s3, s2
	s_sub_co_i32 s7, 0, s2
	s_delay_alu instid0(SALU_CYCLE_2) | instskip(SKIP_1) | instid1(TRANS32_DEP_1)
	v_rcp_iflag_f32_e32 v1, s3
	v_nop
	v_readfirstlane_b32 s3, v1
	s_mul_f32 s3, s3, 0x4f7ffffe
	s_delay_alu instid0(SALU_CYCLE_3) | instskip(NEXT) | instid1(SALU_CYCLE_3)
	s_cvt_u32_f32 s3, s3
	s_mul_i32 s7, s7, s3
	s_delay_alu instid0(SALU_CYCLE_1) | instskip(NEXT) | instid1(SALU_CYCLE_1)
	s_mul_hi_u32 s7, s3, s7
	s_add_co_i32 s3, s3, s7
	s_cmp_eq_u32 s27, 0
	s_cselect_b32 s4, s4, s6
	s_delay_alu instid0(SALU_CYCLE_1) | instskip(NEXT) | instid1(SALU_CYCLE_1)
	s_mul_hi_u32 s3, s4, s3
	s_mul_i32 s5, s3, s2
	s_add_co_i32 s6, s3, 1
	s_sub_co_i32 s5, s4, s5
	s_delay_alu instid0(SALU_CYCLE_1)
	s_sub_co_i32 s7, s5, s2
	s_cmp_ge_u32 s5, s2
	s_cselect_b32 s3, s6, s3
	s_cselect_b32 s5, s7, s5
	s_add_co_i32 s6, s3, 1
	s_cmp_ge_u32 s5, s2
	s_cselect_b32 s2, s6, s3
	s_abs_i32 s3, s29
	s_lshl_b32 s4, s4, 3
	s_cvt_f32_u32 s5, s3
	s_sub_co_i32 s6, 0, s3
	s_mul_i32 s7, s2, s23
	s_abs_i32 s8, s23
	v_rcp_iflag_f32_e32 v1, s5
	s_sub_co_i32 s33, s4, s7
	v_nop
	s_delay_alu instid0(TRANS32_DEP_1) | instskip(SKIP_1) | instid1(SALU_CYCLE_3)
	v_readfirstlane_b32 s5, v1
	s_mul_f32 s5, s5, 0x4f7ffffe
	s_cvt_u32_f32 s5, s5
	s_delay_alu instid0(SALU_CYCLE_3) | instskip(NEXT) | instid1(SALU_CYCLE_1)
	s_mul_i32 s6, s6, s5
	s_mul_hi_u32 s6, s5, s6
	s_delay_alu instid0(SALU_CYCLE_1) | instskip(NEXT) | instid1(SALU_CYCLE_1)
	s_add_co_i32 s5, s5, s6
	s_mul_hi_u32 s4, s8, s5
	s_xor_b32 s5, s23, s29
	s_mul_i32 s6, s4, s3
	s_ashr_i32 s24, s5, 31
	s_sub_co_i32 s5, s8, s6
	s_add_co_i32 s6, s4, 1
	s_sub_co_i32 s7, s5, s3
	s_cmp_ge_u32 s5, s3
	s_cselect_b32 s4, s6, s4
	s_cselect_b32 s5, s7, s5
	s_add_co_i32 s6, s4, 1
	s_cmp_ge_u32 s5, s3
	s_cselect_b32 s3, s6, s4
	s_load_b512 s[4:19], s[0:1], 0x0
	s_xor_b32 s3, s3, s24
	s_delay_alu instid0(SALU_CYCLE_1) | instskip(NEXT) | instid1(SALU_CYCLE_1)
	s_sub_co_i32 s3, s3, s24
	s_abs_i32 s38, s3
	s_delay_alu instid0(SALU_CYCLE_1) | instskip(NEXT) | instid1(SALU_CYCLE_3)
	s_cvt_f32_u32 s24, s38
	v_rcp_iflag_f32_e32 v1, s24
	v_nop
	s_delay_alu instid0(TRANS32_DEP_1)
	v_readfirstlane_b32 s34, v1
	s_wait_kmcnt 0x0
	s_cmp_eq_u64 s[10:11], 0
	s_cbranch_scc1 .LBB72_2
; %bb.1:
	s_abs_i32 s26, s36
	s_abs_i32 s29, s2
	s_cvt_f32_u32 s24, s26
	s_sub_co_i32 s25, 0, s26
	s_delay_alu instid0(SALU_CYCLE_2) | instskip(SKIP_1) | instid1(TRANS32_DEP_1)
	v_rcp_iflag_f32_e32 v1, s24
	v_nop
	v_readfirstlane_b32 s24, v1
	s_mul_f32 s24, s24, 0x4f7ffffe
	s_delay_alu instid0(SALU_CYCLE_3) | instskip(NEXT) | instid1(SALU_CYCLE_3)
	s_cvt_u32_f32 s24, s24
	s_mul_i32 s25, s25, s24
	s_delay_alu instid0(SALU_CYCLE_1) | instskip(NEXT) | instid1(SALU_CYCLE_1)
	s_mul_hi_u32 s25, s24, s25
	s_add_co_i32 s24, s24, s25
	s_delay_alu instid0(SALU_CYCLE_1) | instskip(SKIP_2) | instid1(SALU_CYCLE_1)
	s_mul_hi_u32 s30, s29, s24
	s_load_b64 s[24:25], s[0:1], 0xc8
	s_mul_i32 s30, s30, s26
	s_sub_co_i32 s29, s29, s30
	s_ashr_i32 s30, s2, 31
	s_sub_co_i32 s31, s29, s26
	s_cmp_ge_u32 s29, s26
	s_cselect_b32 s29, s31, s29
	s_delay_alu instid0(SALU_CYCLE_1) | instskip(SKIP_2) | instid1(SALU_CYCLE_1)
	s_sub_co_i32 s31, s29, s26
	s_cmp_ge_u32 s29, s26
	s_cselect_b32 s26, s31, s29
	s_xor_b32 s26, s26, s30
	s_delay_alu instid0(SALU_CYCLE_1) | instskip(NEXT) | instid1(SALU_CYCLE_1)
	s_sub_co_i32 s30, s26, s30
	s_ashr_i32 s31, s30, 31
	s_wait_kmcnt 0x0
	s_mul_u64 s[24:25], s[24:25], s[30:31]
	s_delay_alu instid0(SALU_CYCLE_1)
	s_add_nc_u64 s[30:31], s[10:11], s[24:25]
.LBB72_2:
	s_bfe_u32 s10, ttmp6, 0x4000c
	v_dual_lshrrev_b32 v1, 10, v0 :: v_dual_mov_b32 v3, 0
	s_add_co_i32 s10, s10, 1
	s_and_b32 s11, ttmp6, 15
	s_mul_i32 s10, ttmp9, s10
	s_delay_alu instid0(VALU_DEP_1)
	v_bfe_u32 v1, v1, 1, 9
	s_add_co_i32 s11, s11, s10
	s_cmp_eq_u32 s27, 0
	s_load_b96 s[24:26], s[0:1], 0x70
	s_cselect_b32 s29, ttmp9, s11
	v_dual_mov_b32 v9, v3 :: v_dual_mov_b32 v13, v3
	v_lshl_add_u32 v94, s29, 2, v1
	v_and_b32_e32 v95, 0x3ff, v0
	v_dual_mov_b32 v15, v3 :: v_dual_mov_b32 v17, v3
	v_mov_b32_e32 v69, v3
	s_delay_alu instid0(VALU_DEP_4) | instskip(NEXT) | instid1(VALU_DEP_4)
	v_mul_hi_u32 v1, s20, v94
	v_dual_lshlrev_b32 v16, 4, v95 :: v_dual_lshlrev_b32 v96, 3, v95
	s_delay_alu instid0(VALU_DEP_2)
	v_add_nc_u32_e32 v1, v94, v1
	s_wait_kmcnt 0x0
	s_mul_i32 s10, s33, s25
	s_mov_b32 s20, s25
	s_ashr_i32 s11, s10, 31
	v_lshrrev_b32_e32 v1, s21, v1
	s_ashr_i32 s21, s25, 31
	s_ashr_i32 s25, s24, 31
	s_lshr_b64 s[20:21], s[20:21], 2
	s_lshr_b64 s[24:25], s[24:25], 2
	v_mul_lo_u32 v1, v1, s22
	s_delay_alu instid0(VALU_DEP_1) | instskip(SKIP_1) | instid1(VALU_DEP_1)
	v_sub_nc_u32_e32 v2, v94, v1
	v_bfe_u32 v1, v0, 10, 10
	v_lshlrev_b32_e32 v4, 2, v1
	s_delay_alu instid0(VALU_DEP_3)
	v_mul_u64_e32 v[6:7], s[24:25], v[2:3]
	s_mul_i32 s24, s2, s26
	v_lshlrev_b32_e32 v0, 10, v1
	s_ashr_i32 s25, s24, 31
	v_and_b32_e32 v68, 4, v4
	v_bitop3_b32 v8, v4, 5, 1 bitop3:0xc8
	v_bitop3_b32 v12, v4, 6, 2 bitop3:0xc8
	;; [unrolled: 1-line block ×3, first 2 shown]
	s_add_nc_u64 s[4:5], s[4:5], s[24:25]
	v_mul_u64_e32 v[10:11], s[20:21], v[68:69]
	v_mul_u64_e32 v[8:9], s[20:21], v[8:9]
	;; [unrolled: 1-line block ×4, first 2 shown]
	s_add_nc_u64 s[4:5], s[4:5], s[10:11]
	v_add_nc_u32_e32 v3, 0x6800, v96
	v_or_b32_e32 v5, 1, v4
	s_cmp_eq_u64 s[14:15], 0
	s_delay_alu instid0(VALU_DEP_1) | instskip(SKIP_2) | instid1(VALU_DEP_1)
	v_lshl_add_u32 v5, v5, 8, v3
	v_lshl_add_u64 v[6:7], v[6:7], 2, s[4:5]
	s_load_b32 s4, s[0:1], 0x40
	v_add_nc_u64_e32 v[16:17], v[6:7], v[16:17]
	s_delay_alu instid0(VALU_DEP_1)
	v_lshl_add_u64 v[6:7], v[10:11], 2, v[16:17]
	v_lshl_add_u64 v[10:11], v[8:9], 2, v[16:17]
	;; [unrolled: 1-line block ×4, first 2 shown]
	s_clause 0x3
	global_load_b128 v[6:9], v[6:7], off
	global_load_b128 v[10:13], v[10:11], off
	global_load_b128 v[14:17], v[22:23], off
	global_load_b128 v[18:21], v[24:25], off
	s_wait_loadcnt 0x3
	s_wait_kmcnt 0x0
	v_fma_mixlo_f16 v6, s4, v6, 0
	v_fma_mixlo_f16 v7, s4, v7, 0
	;; [unrolled: 1-line block ×4, first 2 shown]
	s_wait_loadcnt 0x2
	s_wait_xcnt 0x2
	v_fma_mixlo_f16 v10, s4, v10, 0
	v_fma_mixlo_f16 v11, s4, v11, 0
	;; [unrolled: 1-line block ×3, first 2 shown]
	s_wait_loadcnt 0x1
	v_fma_mixlo_f16 v14, s4, v14, 0
	v_fma_mixlo_f16 v15, s4, v15, 0
	v_fma_mixlo_f16 v12, s4, v12, 0
	v_fma_mixlo_f16 v17, s4, v17, 0
	s_wait_loadcnt 0x0
	v_fma_mixlo_f16 v18, s4, v18, 0
	v_fma_mixlo_f16 v19, s4, v19, 0
	v_dual_lshlrev_b32 v7, 16, v7 :: v_dual_bitop2_b32 v22, 2, v4 bitop3:0x54
	v_fma_mixlo_f16 v21, s4, v21, 0
	v_and_b32_e32 v6, 0xffff, v6
	v_dual_lshlrev_b32 v9, 16, v9 :: v_dual_bitop2_b32 v23, 3, v4 bitop3:0x54
	v_dual_add_nc_u32 v24, v3, v0 :: v_dual_lshlrev_b32 v11, 16, v11
	v_and_b32_e32 v8, 0xffff, v8
	v_and_b32_e32 v10, 0xffff, v10
	v_fma_mixlo_f16 v16, s4, v16, 0
	v_dual_lshlrev_b32 v13, 16, v13 :: v_dual_lshlrev_b32 v15, 16, v15
	v_and_b32_e32 v14, 0xffff, v14
	v_fma_mixlo_f16 v20, s4, v20, 0
	v_and_b32_e32 v12, 0xffff, v12
	v_dual_lshlrev_b32 v17, 16, v17 :: v_dual_lshlrev_b32 v19, 16, v19
	v_and_b32_e32 v18, 0xffff, v18
	v_dual_lshlrev_b32 v21, 16, v21 :: v_dual_bitop2_b32 v6, v7, v6 bitop3:0x54
	v_or3_b32 v7, v9, v8, 0
	v_or_b32_e32 v8, v11, v10
	v_and_b32_e32 v16, 0xffff, v16
	v_or_b32_e32 v10, v15, v14
	v_and_b32_e32 v20, 0xffff, v20
	v_or3_b32 v9, v13, v12, 0
	v_or_b32_e32 v12, v19, v18
	v_or3_b32 v6, 0, 0, v6
	v_or3_b32 v8, 0, 0, v8
	v_lshl_add_u32 v22, v22, 8, v3
	v_or3_b32 v11, v17, v16, 0
	v_or3_b32 v10, 0, 0, v10
	v_lshl_add_u32 v3, v23, 8, v3
	v_or3_b32 v13, v21, v20, 0
	v_or3_b32 v12, 0, 0, v12
	ds_store_b64 v24, v[6:7]
	ds_store_b64 v5, v[8:9]
	;; [unrolled: 1-line block ×4, first 2 shown]
	s_wait_dscnt 0x0
	s_barrier_signal -1
	s_barrier_wait -1
	s_cbranch_scc1 .LBB72_4
; %bb.3:
	s_load_b32 s4, s[0:1], 0xd0
	s_wait_kmcnt 0x0
	s_mul_i32 s4, s4, s2
	s_delay_alu instid0(SALU_CYCLE_1)
	s_add_co_i32 s4, s4, s29
	s_load_b32 s28, s[14:15], s4 offset:0x0 scale_offset
.LBB72_4:
	s_wait_xcnt 0x0
	s_bfe_u32 s4, ttmp6, 0x40010
	s_and_b32 s5, ttmp7, 0xffff
	s_add_co_i32 s4, s4, 1
	s_bfe_u32 s10, ttmp6, 0x40004
	s_mul_i32 s4, s5, s4
	v_mbcnt_lo_u32_b32 v97, -1, 0
	s_add_co_i32 s10, s10, s4
	s_cmp_eq_u32 s27, 0
	s_cselect_b32 s29, s5, s10
	s_mov_b32 s5, 0
	s_lshl_b32 s4, s29, 7
	s_wait_kmcnt 0x0
	s_cmp_lt_i32 s4, s28
	s_cbranch_scc1 .LBB72_7
; %bb.5:
	v_mbcnt_lo_u32_b32 v5, -1, 0
	s_delay_alu instid0(VALU_DEP_1)
	v_dual_mov_b32 v98, 32 :: v_dual_bitop2_b32 v115, 16, v5 bitop3:0x14
	v_xor_b32_e32 v114, 8, v5
	v_xor_b32_e32 v113, 4, v5
	;; [unrolled: 1-line block ×3, first 2 shown]
	v_dual_lshlrev_b32 v69, 2, v95 :: v_dual_bitop2_b32 v111, 1, v5 bitop3:0x14
	s_and_not1_b32 vcc_lo, exec_lo, s5
	s_cbranch_vccz .LBB72_8
; %bb.6:
	v_dual_mov_b32 v38, 0 :: v_dual_mov_b32 v71, 0
	v_dual_mov_b32 v3, 0xfeffffff :: v_dual_mov_b32 v2, 0xfeffffff
	;; [unrolled: 1-line block ×3, first 2 shown]
	s_delay_alu instid0(VALU_DEP_3)
	v_dual_mov_b32 v70, v71 :: v_dual_mov_b32 v73, v71
	v_dual_mov_b32 v72, v71 :: v_dual_mov_b32 v39, 0
	v_dual_mov_b32 v36, 0 :: v_dual_mov_b32 v37, 0
	v_dual_mov_b32 v34, 0 :: v_dual_mov_b32 v35, 0
	v_dual_mov_b32 v33, 0 :: v_dual_mov_b32 v32, 0
	s_branch .LBB72_76
.LBB72_7:
                                        ; implicit-def: $vgpr5
                                        ; implicit-def: $vgpr98
                                        ; implicit-def: $vgpr115
                                        ; implicit-def: $vgpr114
                                        ; implicit-def: $vgpr113
                                        ; implicit-def: $vgpr112
                                        ; implicit-def: $vgpr111
	v_lshlrev_b32_e32 v69, 2, v95
.LBB72_8:
	s_clause 0x1
	s_load_b128 s[24:27], s[0:1], 0x98
	s_load_b64 s[14:15], s[0:1], 0x8c
	s_mul_f32 s5, s34, 0x4f7ffffe
	s_sub_co_i32 s10, 0, s38
	s_load_b64 s[20:21], s[0:1], 0xa8
	s_ashr_i32 s39, s3, 31
	s_cvt_u32_f32 s5, s5
	v_lshrrev_b32_e32 v3, 3, v95
	s_abs_i32 s34, s33
	s_mov_b32 s11, s35
	s_mul_i32 s10, s10, s5
	s_ashr_i32 s36, s33, 31
	s_mul_hi_u32 s3, s5, s10
	v_dual_add_nc_u32 v3, v3, v4 :: v_dual_lshrrev_b32 v5, 4, v95
	s_add_co_i32 s10, s5, s3
	s_ashr_i32 s37, s37, 1
	s_mul_u64 s[10:11], s[34:35], s[10:11]
	s_ashr_i32 s3, s2, 31
	s_mul_i32 s5, s11, s38
	s_xor_b32 s35, s36, s39
	s_sub_co_i32 s5, s34, s5
	s_wait_kmcnt 0x0
	s_ashr_i32 s14, s14, 2
	s_ashr_i32 s10, s26, 2
	s_add_co_i32 s26, s11, 1
	s_sub_co_i32 s34, s5, s38
	s_cmp_ge_u32 s5, s38
	v_mul_lo_u32 v74, s14, v3
	s_cselect_b32 s11, s26, s11
	v_and_b32_e32 v4, 28, v69
	s_cselect_b32 s5, s34, s5
	s_add_co_i32 s26, s11, 1
	s_cmp_ge_u32 s5, s38
	s_mul_u64 s[24:25], s[24:25], s[2:3]
	s_cselect_b32 s5, s26, s11
	s_add_nc_u64 s[6:7], s[6:7], s[24:25]
	s_load_b32 s24, s[0:1], 0x54
	s_mul_u64 s[20:21], s[20:21], s[2:3]
	s_lshl_b32 s3, s14, 5
	s_delay_alu instid0(SALU_CYCLE_1) | instskip(SKIP_2) | instid1(VALU_DEP_3)
	v_dual_lshlrev_b32 v6, 2, v4 :: v_dual_add_nc_u32 v76, s3, v74
	v_lshl_add_u32 v1, v1, 1, v5
	v_dual_mov_b32 v79, 0 :: v_dual_ashrrev_i32 v75, 31, v74
	v_mad_u32_u24 v99, 0x90, v3, v6
	s_delay_alu instid0(VALU_DEP_4) | instskip(NEXT) | instid1(VALU_DEP_4)
	v_dual_add_nc_u32 v80, s3, v76 :: v_dual_ashrrev_i32 v77, 31, v76
	v_mul_lo_u32 v6, s10, v1
	v_and_b32_e32 v8, 60, v69
	v_dual_mov_b32 v32, v79 :: v_dual_add_nc_u32 v103, 0x6800, v0
	s_delay_alu instid0(VALU_DEP_4)
	v_add_nc_u32_e32 v82, s3, v80
	s_lshl_b32 s3, s10, 4
	v_ashrrev_i32_e32 v81, 31, v80
	v_dual_mov_b32 v34, v79 :: v_dual_add_nc_u32 v107, 0x4800, v0
	v_mad_u32 v106, v2, s37, v95
	s_xor_b32 s5, s5, s35
	v_dual_add_nc_u32 v10, s3, v6 :: v_dual_lshlrev_b32 v3, 2, v8
	v_ashrrev_i32_e32 v83, 31, v82
	s_sub_co_i32 s5, s5, s35
	v_mov_b32_e32 v42, 0xfeffffff
	s_delay_alu instid0(VALU_DEP_3) | instskip(SKIP_2) | instid1(VALU_DEP_3)
	v_dual_add_nc_u32 v12, s3, v10 :: v_dual_ashrrev_i32 v11, 31, v10
	v_ashrrev_i32_e32 v7, 31, v6
	v_lshl_or_b32 v105, v1, 8, v3
	v_dual_mov_b32 v39, v79 :: v_dual_add_nc_u32 v0, s3, v12
	v_ashrrev_i32_e32 v13, 31, v12
	s_delay_alu instid0(VALU_DEP_4)
	v_lshlrev_b64_e32 v[86:87], 2, v[6:7]
	v_lshlrev_b64_e32 v[88:89], 2, v[10:11]
	s_mul_i32 s34, s5, s15
	v_ashrrev_i32_e32 v1, 31, v0
	v_lshlrev_b64_e32 v[90:91], 2, v[12:13]
	s_mul_i32 s26, s5, s27
	v_dual_mov_b32 v85, v79 :: v_dual_add_nc_u32 v100, 0x1200, v99
	s_delay_alu instid0(VALU_DEP_3)
	v_lshlrev_b64_e32 v[92:93], 2, v[0:1]
	v_dual_mov_b32 v98, 32 :: v_dual_add_nc_u32 v101, 0x2400, v99
	v_dual_mov_b32 v33, v79 :: v_dual_add_nc_u32 v102, 0x3600, v99
	v_mul_u32_u24_e32 v104, 0x90, v95
	v_dual_mov_b32 v35, v79 :: v_dual_add_nc_u32 v108, 0x1000, v105
	v_dual_mov_b32 v36, v79 :: v_dual_add_nc_u32 v109, 0x2000, v105
	;; [unrolled: 1-line block ×3, first 2 shown]
	v_dual_lshlrev_b32 v84, 2, v4 :: v_dual_mov_b32 v38, v79
	v_dual_mov_b32 v43, 0xfeffffff :: v_dual_lshlrev_b32 v78, 2, v8
	v_dual_mov_b32 v41, 0xfeffffff :: v_dual_mov_b32 v40, 0xfeffffff
	v_dual_mov_b32 v72, v79 :: v_dual_mov_b32 v73, v79
	;; [unrolled: 1-line block ×3, first 2 shown]
	s_ashr_i32 s35, s34, 31
	s_add_nc_u64 s[8:9], s[8:9], s[20:21]
	s_ashr_i32 s27, s26, 31
	s_add_nc_u64 s[6:7], s[6:7], s[34:35]
	s_add_nc_u64 s[8:9], s[8:9], s[26:27]
	s_ashr_i32 s15, s14, 31
	s_ashr_i32 s11, s10, 31
	s_add_nc_u64 s[20:21], s[0:1], 0xd0
	s_mov_b32 s3, 0xbbbac73d
.LBB72_9:                               ; =>This Inner Loop Header: Depth=1
	s_ashr_i32 s5, s4, 31
	v_dual_mov_b32 v51, 0 :: v_dual_mov_b32 v47, 0
	s_mul_u64 s[26:27], s[4:5], s[14:15]
	v_dual_mov_b32 v44, 0 :: v_dual_mov_b32 v52, 0
	s_lshl_b64 s[26:27], s[26:27], 2
	v_dual_mov_b32 v57, 0 :: v_dual_mov_b32 v48, 0
	s_add_nc_u64 s[26:27], s[6:7], s[26:27]
	v_dual_mov_b32 v45, 0 :: v_dual_mov_b32 v53, 0
	v_lshl_add_u64 v[0:1], v[74:75], 2, s[26:27]
	v_lshl_add_u64 v[2:3], v[76:77], 2, s[26:27]
	v_lshl_add_u64 v[4:5], v[80:81], 2, s[26:27]
	v_lshl_add_u64 v[6:7], v[82:83], 2, s[26:27]
	v_dual_mov_b32 v58, 0 :: v_dual_mov_b32 v49, 0
	v_add_nc_u64_e32 v[0:1], v[0:1], v[84:85]
	v_add_nc_u64_e32 v[2:3], v[2:3], v[84:85]
	v_add_nc_u64_e32 v[4:5], v[4:5], v[84:85]
	v_add_nc_u64_e32 v[6:7], v[6:7], v[84:85]
	s_clause 0x3
	global_load_b128 v[8:11], v[0:1], off
	global_load_b128 v[12:15], v[2:3], off
	global_load_b128 v[16:19], v[4:5], off
	global_load_b128 v[20:23], v[6:7], off
	v_dual_mov_b32 v46, 0 :: v_dual_mov_b32 v54, 0
	v_dual_mov_b32 v59, 0 :: v_dual_mov_b32 v50, 0
	;; [unrolled: 1-line block ×3, first 2 shown]
	s_wait_loadcnt 0x3
	ds_store_b128 v99, v[8:11]
	s_wait_loadcnt 0x2
	ds_store_b128 v100, v[12:15]
	;; [unrolled: 2-line block ×4, first 2 shown]
	s_wait_dscnt 0x0
	s_barrier_signal -1
	s_barrier_wait -1
	ds_load_b128 v[8:11], v104
	ds_load_b128 v[12:15], v103
	ds_load_b128 v[16:19], v103 offset:256
	ds_load_b128 v[20:23], v103 offset:512
	;; [unrolled: 1-line block ×6, first 2 shown]
	s_wait_dscnt 0x6
	;;#ASMSTART
	v_dot2_f32_f16 v51, v8, v12, v51
	;;#ASMEND
	;;#ASMSTART
	v_dot2_f32_f16 v51, v9, v13, v51
	;;#ASMEND
	;;#ASMSTART
	v_dot2_f32_f16 v51, v10, v14, v51
	;;#ASMEND
	;;#ASMSTART
	v_dot2_f32_f16 v51, v11, v15, v51
	;;#ASMEND
	s_wait_dscnt 0x5
	;;#ASMSTART
	v_dot2_f32_f16 v47, v8, v16, v47
	;;#ASMEND
	;;#ASMSTART
	v_dot2_f32_f16 v47, v9, v17, v47
	;;#ASMEND
	;;#ASMSTART
	v_dot2_f32_f16 v47, v10, v18, v47
	;;#ASMEND
	;;#ASMSTART
	v_dot2_f32_f16 v47, v11, v19, v47
	;;#ASMEND
	;; [unrolled: 13-line block ×5, first 2 shown]
	;;#ASMSTART
	v_dot2_f32_f16 v48, v28, v16, v48
	;;#ASMEND
	;;#ASMSTART
	v_dot2_f32_f16 v48, v29, v17, v48
	;;#ASMEND
	;; [unrolled: 3-line block ×12, first 2 shown]
	s_wait_dscnt 0x1
	;;#ASMSTART
	v_dot2_f32_f16 v58, v60, v12, v58
	;;#ASMEND
	;;#ASMSTART
	v_dot2_f32_f16 v58, v61, v13, v58
	;;#ASMEND
	;;#ASMSTART
	v_dot2_f32_f16 v58, v62, v14, v58
	;;#ASMEND
	;;#ASMSTART
	v_dot2_f32_f16 v58, v63, v15, v58
	;;#ASMEND
	;;#ASMSTART
	v_dot2_f32_f16 v49, v60, v16, v49
	;;#ASMEND
	;;#ASMSTART
	v_dot2_f32_f16 v49, v61, v17, v49
	;;#ASMEND
	;;#ASMSTART
	v_dot2_f32_f16 v49, v62, v18, v49
	;;#ASMEND
	;;#ASMSTART
	v_dot2_f32_f16 v49, v63, v19, v49
	;;#ASMEND
	;;#ASMSTART
	v_dot2_f32_f16 v46, v60, v20, v46
	;;#ASMEND
	;;#ASMSTART
	v_dot2_f32_f16 v46, v61, v21, v46
	;;#ASMEND
	;;#ASMSTART
	v_dot2_f32_f16 v46, v62, v22, v46
	;;#ASMEND
	;;#ASMSTART
	v_dot2_f32_f16 v46, v63, v23, v46
	;;#ASMEND
	;;#ASMSTART
	v_dot2_f32_f16 v54, v60, v24, v54
	;;#ASMEND
	;;#ASMSTART
	v_dot2_f32_f16 v54, v61, v25, v54
	;;#ASMEND
	;;#ASMSTART
	v_dot2_f32_f16 v54, v62, v26, v54
	;;#ASMEND
	;;#ASMSTART
	v_dot2_f32_f16 v54, v63, v27, v54
	;;#ASMEND
	s_wait_dscnt 0x0
	;;#ASMSTART
	v_dot2_f32_f16 v59, v64, v12, v59
	;;#ASMEND
	;;#ASMSTART
	v_dot2_f32_f16 v59, v65, v13, v59
	;;#ASMEND
	;; [unrolled: 3-line block ×16, first 2 shown]
	ds_load_b128 v[8:11], v104 offset:16
	ds_load_b128 v[12:15], v103 offset:16
	ds_load_b128 v[16:19], v103 offset:272
	ds_load_b128 v[20:23], v103 offset:528
	ds_load_b128 v[24:27], v103 offset:784
	ds_load_b128 v[28:31], v104 offset:4624
	ds_load_b128 v[60:63], v104 offset:9232
	ds_load_b128 v[64:67], v104 offset:13840
	s_wait_dscnt 0x6
	;;#ASMSTART
	v_dot2_f32_f16 v51, v8, v12, v51
	;;#ASMEND
	;;#ASMSTART
	v_dot2_f32_f16 v51, v9, v13, v51
	;;#ASMEND
	;;#ASMSTART
	v_dot2_f32_f16 v51, v10, v14, v51
	;;#ASMEND
	;;#ASMSTART
	v_dot2_f32_f16 v51, v11, v15, v51
	;;#ASMEND
	s_wait_dscnt 0x5
	;;#ASMSTART
	v_dot2_f32_f16 v47, v8, v16, v47
	;;#ASMEND
	;;#ASMSTART
	v_dot2_f32_f16 v47, v9, v17, v47
	;;#ASMEND
	;;#ASMSTART
	v_dot2_f32_f16 v47, v10, v18, v47
	;;#ASMEND
	;;#ASMSTART
	v_dot2_f32_f16 v47, v11, v19, v47
	;;#ASMEND
	;; [unrolled: 13-line block ×5, first 2 shown]
	;;#ASMSTART
	v_dot2_f32_f16 v48, v28, v16, v48
	;;#ASMEND
	;;#ASMSTART
	v_dot2_f32_f16 v48, v29, v17, v48
	;;#ASMEND
	;; [unrolled: 3-line block ×12, first 2 shown]
	s_wait_dscnt 0x1
	;;#ASMSTART
	v_dot2_f32_f16 v58, v60, v12, v58
	;;#ASMEND
	;;#ASMSTART
	v_dot2_f32_f16 v58, v61, v13, v58
	;;#ASMEND
	;; [unrolled: 3-line block ×16, first 2 shown]
	s_wait_dscnt 0x0
	;;#ASMSTART
	v_dot2_f32_f16 v59, v64, v12, v59
	;;#ASMEND
	;;#ASMSTART
	v_dot2_f32_f16 v59, v65, v13, v59
	;;#ASMEND
	;; [unrolled: 3-line block ×16, first 2 shown]
	ds_load_b128 v[8:11], v104 offset:32
	ds_load_b128 v[12:15], v103 offset:32
	;; [unrolled: 1-line block ×8, first 2 shown]
	s_wait_dscnt 0x6
	;;#ASMSTART
	v_dot2_f32_f16 v51, v8, v12, v51
	;;#ASMEND
	;;#ASMSTART
	v_dot2_f32_f16 v51, v9, v13, v51
	;;#ASMEND
	;;#ASMSTART
	v_dot2_f32_f16 v51, v10, v14, v51
	;;#ASMEND
	;;#ASMSTART
	v_dot2_f32_f16 v51, v11, v15, v51
	;;#ASMEND
	s_wait_dscnt 0x5
	;;#ASMSTART
	v_dot2_f32_f16 v47, v8, v16, v47
	;;#ASMEND
	;;#ASMSTART
	v_dot2_f32_f16 v47, v9, v17, v47
	;;#ASMEND
	;;#ASMSTART
	v_dot2_f32_f16 v47, v10, v18, v47
	;;#ASMEND
	;;#ASMSTART
	v_dot2_f32_f16 v47, v11, v19, v47
	;;#ASMEND
	;; [unrolled: 13-line block ×5, first 2 shown]
	;;#ASMSTART
	v_dot2_f32_f16 v48, v28, v16, v48
	;;#ASMEND
	;;#ASMSTART
	v_dot2_f32_f16 v48, v29, v17, v48
	;;#ASMEND
	;; [unrolled: 3-line block ×12, first 2 shown]
	s_wait_dscnt 0x1
	;;#ASMSTART
	v_dot2_f32_f16 v58, v60, v12, v58
	;;#ASMEND
	;;#ASMSTART
	v_dot2_f32_f16 v58, v61, v13, v58
	;;#ASMEND
	;; [unrolled: 3-line block ×16, first 2 shown]
	s_wait_dscnt 0x0
	;;#ASMSTART
	v_dot2_f32_f16 v59, v64, v12, v59
	;;#ASMEND
	;;#ASMSTART
	v_dot2_f32_f16 v59, v65, v13, v59
	;;#ASMEND
	;; [unrolled: 3-line block ×16, first 2 shown]
	ds_load_b128 v[8:11], v104 offset:48
	ds_load_b128 v[12:15], v103 offset:48
	;; [unrolled: 1-line block ×8, first 2 shown]
	s_wait_dscnt 0x6
	;;#ASMSTART
	v_dot2_f32_f16 v51, v8, v12, v51
	;;#ASMEND
	;;#ASMSTART
	v_dot2_f32_f16 v51, v9, v13, v51
	;;#ASMEND
	;;#ASMSTART
	v_dot2_f32_f16 v51, v10, v14, v51
	;;#ASMEND
	;;#ASMSTART
	v_dot2_f32_f16 v51, v11, v15, v51
	;;#ASMEND
	s_wait_dscnt 0x5
	;;#ASMSTART
	v_dot2_f32_f16 v47, v8, v16, v47
	;;#ASMEND
	;;#ASMSTART
	v_dot2_f32_f16 v47, v9, v17, v47
	;;#ASMEND
	;;#ASMSTART
	v_dot2_f32_f16 v47, v10, v18, v47
	;;#ASMEND
	;;#ASMSTART
	v_dot2_f32_f16 v47, v11, v19, v47
	;;#ASMEND
	;; [unrolled: 13-line block ×5, first 2 shown]
	;;#ASMSTART
	v_dot2_f32_f16 v48, v28, v16, v48
	;;#ASMEND
	;;#ASMSTART
	v_dot2_f32_f16 v48, v29, v17, v48
	;;#ASMEND
	;; [unrolled: 3-line block ×12, first 2 shown]
	s_wait_dscnt 0x1
	;;#ASMSTART
	v_dot2_f32_f16 v58, v60, v12, v58
	;;#ASMEND
	;;#ASMSTART
	v_dot2_f32_f16 v58, v61, v13, v58
	;;#ASMEND
	;; [unrolled: 3-line block ×16, first 2 shown]
	s_wait_dscnt 0x0
	;;#ASMSTART
	v_dot2_f32_f16 v59, v64, v12, v59
	;;#ASMEND
	;;#ASMSTART
	v_dot2_f32_f16 v59, v65, v13, v59
	;;#ASMEND
	;; [unrolled: 3-line block ×16, first 2 shown]
	ds_load_b128 v[8:11], v104 offset:64
	ds_load_b128 v[12:15], v103 offset:64
	;; [unrolled: 1-line block ×8, first 2 shown]
	s_wait_dscnt 0x6
	;;#ASMSTART
	v_dot2_f32_f16 v51, v8, v12, v51
	;;#ASMEND
	;;#ASMSTART
	v_dot2_f32_f16 v51, v9, v13, v51
	;;#ASMEND
	;;#ASMSTART
	v_dot2_f32_f16 v51, v10, v14, v51
	;;#ASMEND
	;;#ASMSTART
	v_dot2_f32_f16 v51, v11, v15, v51
	;;#ASMEND
	s_wait_dscnt 0x5
	;;#ASMSTART
	v_dot2_f32_f16 v47, v8, v16, v47
	;;#ASMEND
	;;#ASMSTART
	v_dot2_f32_f16 v47, v9, v17, v47
	;;#ASMEND
	;;#ASMSTART
	v_dot2_f32_f16 v47, v10, v18, v47
	;;#ASMEND
	;;#ASMSTART
	v_dot2_f32_f16 v47, v11, v19, v47
	;;#ASMEND
	;; [unrolled: 13-line block ×5, first 2 shown]
	;;#ASMSTART
	v_dot2_f32_f16 v48, v28, v16, v48
	;;#ASMEND
	;;#ASMSTART
	v_dot2_f32_f16 v48, v29, v17, v48
	;;#ASMEND
	;; [unrolled: 3-line block ×12, first 2 shown]
	s_wait_dscnt 0x1
	;;#ASMSTART
	v_dot2_f32_f16 v58, v60, v12, v58
	;;#ASMEND
	;;#ASMSTART
	v_dot2_f32_f16 v58, v61, v13, v58
	;;#ASMEND
	;; [unrolled: 3-line block ×16, first 2 shown]
	s_wait_dscnt 0x0
	;;#ASMSTART
	v_dot2_f32_f16 v59, v64, v12, v59
	;;#ASMEND
	;;#ASMSTART
	v_dot2_f32_f16 v59, v65, v13, v59
	;;#ASMEND
	;; [unrolled: 3-line block ×16, first 2 shown]
	ds_load_b128 v[8:11], v104 offset:80
	ds_load_b128 v[12:15], v103 offset:80
	;; [unrolled: 1-line block ×8, first 2 shown]
	s_wait_dscnt 0x6
	;;#ASMSTART
	v_dot2_f32_f16 v51, v8, v12, v51
	;;#ASMEND
	;;#ASMSTART
	v_dot2_f32_f16 v51, v9, v13, v51
	;;#ASMEND
	;;#ASMSTART
	v_dot2_f32_f16 v51, v10, v14, v51
	;;#ASMEND
	;;#ASMSTART
	v_dot2_f32_f16 v51, v11, v15, v51
	;;#ASMEND
	s_wait_dscnt 0x5
	;;#ASMSTART
	v_dot2_f32_f16 v47, v8, v16, v47
	;;#ASMEND
	;;#ASMSTART
	v_dot2_f32_f16 v47, v9, v17, v47
	;;#ASMEND
	;;#ASMSTART
	v_dot2_f32_f16 v47, v10, v18, v47
	;;#ASMEND
	;;#ASMSTART
	v_dot2_f32_f16 v47, v11, v19, v47
	;;#ASMEND
	;; [unrolled: 13-line block ×5, first 2 shown]
	;;#ASMSTART
	v_dot2_f32_f16 v48, v28, v16, v48
	;;#ASMEND
	;;#ASMSTART
	v_dot2_f32_f16 v48, v29, v17, v48
	;;#ASMEND
	;; [unrolled: 3-line block ×12, first 2 shown]
	s_wait_dscnt 0x1
	;;#ASMSTART
	v_dot2_f32_f16 v58, v60, v12, v58
	;;#ASMEND
	;;#ASMSTART
	v_dot2_f32_f16 v58, v61, v13, v58
	;;#ASMEND
	;; [unrolled: 3-line block ×16, first 2 shown]
	s_wait_dscnt 0x0
	;;#ASMSTART
	v_dot2_f32_f16 v59, v64, v12, v59
	;;#ASMEND
	;;#ASMSTART
	v_dot2_f32_f16 v59, v65, v13, v59
	;;#ASMEND
	;; [unrolled: 3-line block ×16, first 2 shown]
	ds_load_b128 v[8:11], v104 offset:96
	ds_load_b128 v[12:15], v103 offset:96
	ds_load_b128 v[16:19], v103 offset:352
	ds_load_b128 v[20:23], v103 offset:608
	ds_load_b128 v[24:27], v103 offset:864
	ds_load_b128 v[28:31], v104 offset:4704
	ds_load_b128 v[60:63], v104 offset:9312
	ds_load_b128 v[64:67], v104 offset:13920
	s_wait_dscnt 0x6
	;;#ASMSTART
	v_dot2_f32_f16 v51, v8, v12, v51
	;;#ASMEND
	;;#ASMSTART
	v_dot2_f32_f16 v51, v9, v13, v51
	;;#ASMEND
	;;#ASMSTART
	v_dot2_f32_f16 v51, v10, v14, v51
	;;#ASMEND
	;;#ASMSTART
	v_dot2_f32_f16 v51, v11, v15, v51
	;;#ASMEND
	s_wait_dscnt 0x5
	;;#ASMSTART
	v_dot2_f32_f16 v47, v8, v16, v47
	;;#ASMEND
	;;#ASMSTART
	v_dot2_f32_f16 v47, v9, v17, v47
	;;#ASMEND
	;;#ASMSTART
	v_dot2_f32_f16 v47, v10, v18, v47
	;;#ASMEND
	;;#ASMSTART
	v_dot2_f32_f16 v47, v11, v19, v47
	;;#ASMEND
	;; [unrolled: 13-line block ×5, first 2 shown]
	;;#ASMSTART
	v_dot2_f32_f16 v48, v28, v16, v48
	;;#ASMEND
	;;#ASMSTART
	v_dot2_f32_f16 v48, v29, v17, v48
	;;#ASMEND
	;; [unrolled: 3-line block ×12, first 2 shown]
	s_wait_dscnt 0x1
	;;#ASMSTART
	v_dot2_f32_f16 v58, v60, v12, v58
	;;#ASMEND
	;;#ASMSTART
	v_dot2_f32_f16 v58, v61, v13, v58
	;;#ASMEND
	;;#ASMSTART
	v_dot2_f32_f16 v58, v62, v14, v58
	;;#ASMEND
	;;#ASMSTART
	v_dot2_f32_f16 v58, v63, v15, v58
	;;#ASMEND
	;;#ASMSTART
	v_dot2_f32_f16 v49, v60, v16, v49
	;;#ASMEND
	;;#ASMSTART
	v_dot2_f32_f16 v49, v61, v17, v49
	;;#ASMEND
	;;#ASMSTART
	v_dot2_f32_f16 v49, v62, v18, v49
	;;#ASMEND
	;;#ASMSTART
	v_dot2_f32_f16 v49, v63, v19, v49
	;;#ASMEND
	;;#ASMSTART
	v_dot2_f32_f16 v46, v60, v20, v46
	;;#ASMEND
	;;#ASMSTART
	v_dot2_f32_f16 v46, v61, v21, v46
	;;#ASMEND
	;;#ASMSTART
	v_dot2_f32_f16 v46, v62, v22, v46
	;;#ASMEND
	;;#ASMSTART
	v_dot2_f32_f16 v46, v63, v23, v46
	;;#ASMEND
	;;#ASMSTART
	v_dot2_f32_f16 v54, v60, v24, v54
	;;#ASMEND
	;;#ASMSTART
	v_dot2_f32_f16 v54, v61, v25, v54
	;;#ASMEND
	;;#ASMSTART
	v_dot2_f32_f16 v54, v62, v26, v54
	;;#ASMEND
	;;#ASMSTART
	v_dot2_f32_f16 v54, v63, v27, v54
	;;#ASMEND
	s_wait_dscnt 0x0
	;;#ASMSTART
	v_dot2_f32_f16 v59, v64, v12, v59
	;;#ASMEND
	;;#ASMSTART
	v_dot2_f32_f16 v59, v65, v13, v59
	;;#ASMEND
	;; [unrolled: 3-line block ×16, first 2 shown]
	ds_load_b128 v[8:11], v104 offset:112
	ds_load_b128 v[12:15], v103 offset:112
	;; [unrolled: 1-line block ×8, first 2 shown]
	s_wait_dscnt 0x6
	;;#ASMSTART
	v_dot2_f32_f16 v51, v8, v12, v51
	;;#ASMEND
	;;#ASMSTART
	v_dot2_f32_f16 v51, v9, v13, v51
	;;#ASMEND
	;;#ASMSTART
	v_dot2_f32_f16 v51, v10, v14, v51
	;;#ASMEND
	;;#ASMSTART
	v_dot2_f32_f16 v51, v11, v15, v51
	;;#ASMEND
	s_wait_dscnt 0x5
	;;#ASMSTART
	v_dot2_f32_f16 v47, v8, v16, v47
	;;#ASMEND
	;;#ASMSTART
	v_dot2_f32_f16 v47, v9, v17, v47
	;;#ASMEND
	;;#ASMSTART
	v_dot2_f32_f16 v47, v10, v18, v47
	;;#ASMEND
	;;#ASMSTART
	v_dot2_f32_f16 v47, v11, v19, v47
	;;#ASMEND
	;; [unrolled: 13-line block ×5, first 2 shown]
	;;#ASMSTART
	v_dot2_f32_f16 v48, v28, v16, v48
	;;#ASMEND
	;;#ASMSTART
	v_dot2_f32_f16 v48, v29, v17, v48
	;;#ASMEND
	;; [unrolled: 3-line block ×12, first 2 shown]
	s_wait_dscnt 0x1
	;;#ASMSTART
	v_dot2_f32_f16 v58, v60, v12, v58
	;;#ASMEND
	;;#ASMSTART
	v_dot2_f32_f16 v58, v61, v13, v58
	;;#ASMEND
	;; [unrolled: 3-line block ×16, first 2 shown]
	s_wait_dscnt 0x0
	;;#ASMSTART
	v_dot2_f32_f16 v59, v64, v12, v59
	;;#ASMEND
	;;#ASMSTART
	v_dot2_f32_f16 v59, v65, v13, v59
	;;#ASMEND
	;;#ASMSTART
	v_dot2_f32_f16 v59, v66, v14, v59
	;;#ASMEND
	;;#ASMSTART
	v_dot2_f32_f16 v59, v67, v15, v59
	;;#ASMEND
	;;#ASMSTART
	v_dot2_f32_f16 v50, v64, v16, v50
	;;#ASMEND
	;;#ASMSTART
	v_dot2_f32_f16 v50, v65, v17, v50
	;;#ASMEND
	;;#ASMSTART
	v_dot2_f32_f16 v50, v66, v18, v50
	;;#ASMEND
	;;#ASMSTART
	v_dot2_f32_f16 v50, v67, v19, v50
	;;#ASMEND
	;;#ASMSTART
	v_dot2_f32_f16 v56, v64, v20, v56
	;;#ASMEND
	;;#ASMSTART
	v_dot2_f32_f16 v56, v65, v21, v56
	;;#ASMEND
	;;#ASMSTART
	v_dot2_f32_f16 v56, v66, v22, v56
	;;#ASMEND
	;;#ASMSTART
	v_dot2_f32_f16 v56, v67, v23, v56
	;;#ASMEND
	;;#ASMSTART
	v_dot2_f32_f16 v55, v64, v24, v55
	;;#ASMEND
	;;#ASMSTART
	v_dot2_f32_f16 v55, v65, v25, v55
	;;#ASMEND
	;;#ASMSTART
	v_dot2_f32_f16 v55, v66, v26, v55
	;;#ASMEND
	;;#ASMSTART
	v_dot2_f32_f16 v55, v67, v27, v55
	;;#ASMEND
	s_barrier_signal -1
	s_barrier_wait -1
	s_clause 0x3
	global_load_b128 v[8:11], v[0:1], off offset:128
	global_load_b128 v[12:15], v[2:3], off offset:128
	;; [unrolled: 1-line block ×4, first 2 shown]
	s_wait_loadcnt 0x3
	ds_store_b128 v99, v[8:11]
	s_wait_loadcnt 0x2
	ds_store_b128 v100, v[12:15]
	;; [unrolled: 2-line block ×4, first 2 shown]
	s_wait_dscnt 0x0
	s_barrier_signal -1
	s_barrier_wait -1
	ds_load_b128 v[0:3], v104
	ds_load_b128 v[4:7], v103 offset:128
	ds_load_b128 v[8:11], v103 offset:384
	;; [unrolled: 1-line block ×7, first 2 shown]
	s_wait_dscnt 0x6
	;;#ASMSTART
	v_dot2_f32_f16 v51, v0, v4, v51
	;;#ASMEND
	;;#ASMSTART
	v_dot2_f32_f16 v51, v1, v5, v51
	;;#ASMEND
	;;#ASMSTART
	v_dot2_f32_f16 v51, v2, v6, v51
	;;#ASMEND
	;;#ASMSTART
	v_dot2_f32_f16 v51, v3, v7, v51
	;;#ASMEND
	s_wait_dscnt 0x5
	;;#ASMSTART
	v_dot2_f32_f16 v47, v0, v8, v47
	;;#ASMEND
	;;#ASMSTART
	v_dot2_f32_f16 v47, v1, v9, v47
	;;#ASMEND
	;;#ASMSTART
	v_dot2_f32_f16 v47, v2, v10, v47
	;;#ASMEND
	;;#ASMSTART
	v_dot2_f32_f16 v47, v3, v11, v47
	;;#ASMEND
	;; [unrolled: 13-line block ×5, first 2 shown]
	;;#ASMSTART
	v_dot2_f32_f16 v48, v20, v8, v48
	;;#ASMEND
	;;#ASMSTART
	v_dot2_f32_f16 v48, v21, v9, v48
	;;#ASMEND
	;; [unrolled: 3-line block ×12, first 2 shown]
	s_wait_dscnt 0x1
	;;#ASMSTART
	v_dot2_f32_f16 v58, v24, v4, v58
	;;#ASMEND
	;;#ASMSTART
	v_dot2_f32_f16 v58, v25, v5, v58
	;;#ASMEND
	;; [unrolled: 3-line block ×16, first 2 shown]
	s_wait_dscnt 0x0
	;;#ASMSTART
	v_dot2_f32_f16 v59, v28, v4, v59
	;;#ASMEND
	;;#ASMSTART
	v_dot2_f32_f16 v59, v29, v5, v59
	;;#ASMEND
	;; [unrolled: 3-line block ×16, first 2 shown]
	ds_load_b128 v[0:3], v104 offset:16
	ds_load_b128 v[4:7], v103 offset:144
	;; [unrolled: 1-line block ×8, first 2 shown]
	s_wait_dscnt 0x6
	;;#ASMSTART
	v_dot2_f32_f16 v51, v0, v4, v51
	;;#ASMEND
	;;#ASMSTART
	v_dot2_f32_f16 v51, v1, v5, v51
	;;#ASMEND
	;;#ASMSTART
	v_dot2_f32_f16 v51, v2, v6, v51
	;;#ASMEND
	;;#ASMSTART
	v_dot2_f32_f16 v51, v3, v7, v51
	;;#ASMEND
	s_wait_dscnt 0x5
	;;#ASMSTART
	v_dot2_f32_f16 v47, v0, v8, v47
	;;#ASMEND
	;;#ASMSTART
	v_dot2_f32_f16 v47, v1, v9, v47
	;;#ASMEND
	;;#ASMSTART
	v_dot2_f32_f16 v47, v2, v10, v47
	;;#ASMEND
	;;#ASMSTART
	v_dot2_f32_f16 v47, v3, v11, v47
	;;#ASMEND
	s_wait_dscnt 0x4
	;;#ASMSTART
	v_dot2_f32_f16 v44, v0, v12, v44
	;;#ASMEND
	;;#ASMSTART
	v_dot2_f32_f16 v44, v1, v13, v44
	;;#ASMEND
	;;#ASMSTART
	v_dot2_f32_f16 v44, v2, v14, v44
	;;#ASMEND
	;;#ASMSTART
	v_dot2_f32_f16 v44, v3, v15, v44
	;;#ASMEND
	s_wait_dscnt 0x3
	;;#ASMSTART
	v_dot2_f32_f16 v52, v0, v16, v52
	;;#ASMEND
	;;#ASMSTART
	v_dot2_f32_f16 v52, v1, v17, v52
	;;#ASMEND
	;;#ASMSTART
	v_dot2_f32_f16 v52, v2, v18, v52
	;;#ASMEND
	;;#ASMSTART
	v_dot2_f32_f16 v52, v3, v19, v52
	;;#ASMEND
	s_wait_dscnt 0x2
	;;#ASMSTART
	v_dot2_f32_f16 v57, v20, v4, v57
	;;#ASMEND
	;;#ASMSTART
	v_dot2_f32_f16 v57, v21, v5, v57
	;;#ASMEND
	;;#ASMSTART
	v_dot2_f32_f16 v57, v22, v6, v57
	;;#ASMEND
	;;#ASMSTART
	v_dot2_f32_f16 v57, v23, v7, v57
	;;#ASMEND
	;;#ASMSTART
	v_dot2_f32_f16 v48, v20, v8, v48
	;;#ASMEND
	;;#ASMSTART
	v_dot2_f32_f16 v48, v21, v9, v48
	;;#ASMEND
	;; [unrolled: 3-line block ×12, first 2 shown]
	s_wait_dscnt 0x1
	;;#ASMSTART
	v_dot2_f32_f16 v58, v24, v4, v58
	;;#ASMEND
	;;#ASMSTART
	v_dot2_f32_f16 v58, v25, v5, v58
	;;#ASMEND
	;; [unrolled: 3-line block ×16, first 2 shown]
	s_wait_dscnt 0x0
	;;#ASMSTART
	v_dot2_f32_f16 v59, v28, v4, v59
	;;#ASMEND
	;;#ASMSTART
	v_dot2_f32_f16 v59, v29, v5, v59
	;;#ASMEND
	;; [unrolled: 3-line block ×16, first 2 shown]
	ds_load_b128 v[0:3], v104 offset:32
	ds_load_b128 v[4:7], v103 offset:160
	;; [unrolled: 1-line block ×8, first 2 shown]
	s_wait_dscnt 0x6
	;;#ASMSTART
	v_dot2_f32_f16 v51, v0, v4, v51
	;;#ASMEND
	;;#ASMSTART
	v_dot2_f32_f16 v51, v1, v5, v51
	;;#ASMEND
	;;#ASMSTART
	v_dot2_f32_f16 v51, v2, v6, v51
	;;#ASMEND
	;;#ASMSTART
	v_dot2_f32_f16 v51, v3, v7, v51
	;;#ASMEND
	s_wait_dscnt 0x5
	;;#ASMSTART
	v_dot2_f32_f16 v47, v0, v8, v47
	;;#ASMEND
	;;#ASMSTART
	v_dot2_f32_f16 v47, v1, v9, v47
	;;#ASMEND
	;;#ASMSTART
	v_dot2_f32_f16 v47, v2, v10, v47
	;;#ASMEND
	;;#ASMSTART
	v_dot2_f32_f16 v47, v3, v11, v47
	;;#ASMEND
	;; [unrolled: 13-line block ×5, first 2 shown]
	;;#ASMSTART
	v_dot2_f32_f16 v48, v20, v8, v48
	;;#ASMEND
	;;#ASMSTART
	v_dot2_f32_f16 v48, v21, v9, v48
	;;#ASMEND
	;; [unrolled: 3-line block ×12, first 2 shown]
	s_wait_dscnt 0x1
	;;#ASMSTART
	v_dot2_f32_f16 v58, v24, v4, v58
	;;#ASMEND
	;;#ASMSTART
	v_dot2_f32_f16 v58, v25, v5, v58
	;;#ASMEND
	;; [unrolled: 3-line block ×16, first 2 shown]
	s_wait_dscnt 0x0
	;;#ASMSTART
	v_dot2_f32_f16 v59, v28, v4, v59
	;;#ASMEND
	;;#ASMSTART
	v_dot2_f32_f16 v59, v29, v5, v59
	;;#ASMEND
	;; [unrolled: 3-line block ×16, first 2 shown]
	ds_load_b128 v[0:3], v104 offset:48
	ds_load_b128 v[4:7], v103 offset:176
	;; [unrolled: 1-line block ×8, first 2 shown]
	s_wait_dscnt 0x6
	;;#ASMSTART
	v_dot2_f32_f16 v51, v0, v4, v51
	;;#ASMEND
	;;#ASMSTART
	v_dot2_f32_f16 v51, v1, v5, v51
	;;#ASMEND
	;;#ASMSTART
	v_dot2_f32_f16 v51, v2, v6, v51
	;;#ASMEND
	;;#ASMSTART
	v_dot2_f32_f16 v51, v3, v7, v51
	;;#ASMEND
	s_wait_dscnt 0x5
	;;#ASMSTART
	v_dot2_f32_f16 v47, v0, v8, v47
	;;#ASMEND
	;;#ASMSTART
	v_dot2_f32_f16 v47, v1, v9, v47
	;;#ASMEND
	;;#ASMSTART
	v_dot2_f32_f16 v47, v2, v10, v47
	;;#ASMEND
	;;#ASMSTART
	v_dot2_f32_f16 v47, v3, v11, v47
	;;#ASMEND
	s_wait_dscnt 0x4
	;;#ASMSTART
	v_dot2_f32_f16 v44, v0, v12, v44
	;;#ASMEND
	;;#ASMSTART
	v_dot2_f32_f16 v44, v1, v13, v44
	;;#ASMEND
	;;#ASMSTART
	v_dot2_f32_f16 v44, v2, v14, v44
	;;#ASMEND
	;;#ASMSTART
	v_dot2_f32_f16 v44, v3, v15, v44
	;;#ASMEND
	s_wait_dscnt 0x3
	;;#ASMSTART
	v_dot2_f32_f16 v52, v0, v16, v52
	;;#ASMEND
	;;#ASMSTART
	v_dot2_f32_f16 v52, v1, v17, v52
	;;#ASMEND
	;;#ASMSTART
	v_dot2_f32_f16 v52, v2, v18, v52
	;;#ASMEND
	;;#ASMSTART
	v_dot2_f32_f16 v52, v3, v19, v52
	;;#ASMEND
	s_wait_dscnt 0x2
	;;#ASMSTART
	v_dot2_f32_f16 v57, v20, v4, v57
	;;#ASMEND
	;;#ASMSTART
	v_dot2_f32_f16 v57, v21, v5, v57
	;;#ASMEND
	;;#ASMSTART
	v_dot2_f32_f16 v57, v22, v6, v57
	;;#ASMEND
	;;#ASMSTART
	v_dot2_f32_f16 v57, v23, v7, v57
	;;#ASMEND
	;;#ASMSTART
	v_dot2_f32_f16 v48, v20, v8, v48
	;;#ASMEND
	;;#ASMSTART
	v_dot2_f32_f16 v48, v21, v9, v48
	;;#ASMEND
	;; [unrolled: 3-line block ×12, first 2 shown]
	s_wait_dscnt 0x1
	;;#ASMSTART
	v_dot2_f32_f16 v58, v24, v4, v58
	;;#ASMEND
	;;#ASMSTART
	v_dot2_f32_f16 v58, v25, v5, v58
	;;#ASMEND
	;; [unrolled: 3-line block ×16, first 2 shown]
	s_wait_dscnt 0x0
	;;#ASMSTART
	v_dot2_f32_f16 v59, v28, v4, v59
	;;#ASMEND
	;;#ASMSTART
	v_dot2_f32_f16 v59, v29, v5, v59
	;;#ASMEND
	;; [unrolled: 3-line block ×16, first 2 shown]
	ds_load_b128 v[0:3], v104 offset:64
	ds_load_b128 v[4:7], v103 offset:192
	;; [unrolled: 1-line block ×8, first 2 shown]
	s_wait_dscnt 0x6
	;;#ASMSTART
	v_dot2_f32_f16 v51, v0, v4, v51
	;;#ASMEND
	;;#ASMSTART
	v_dot2_f32_f16 v51, v1, v5, v51
	;;#ASMEND
	;;#ASMSTART
	v_dot2_f32_f16 v51, v2, v6, v51
	;;#ASMEND
	;;#ASMSTART
	v_dot2_f32_f16 v51, v3, v7, v51
	;;#ASMEND
	s_wait_dscnt 0x5
	;;#ASMSTART
	v_dot2_f32_f16 v47, v0, v8, v47
	;;#ASMEND
	;;#ASMSTART
	v_dot2_f32_f16 v47, v1, v9, v47
	;;#ASMEND
	;;#ASMSTART
	v_dot2_f32_f16 v47, v2, v10, v47
	;;#ASMEND
	;;#ASMSTART
	v_dot2_f32_f16 v47, v3, v11, v47
	;;#ASMEND
	s_wait_dscnt 0x4
	;;#ASMSTART
	v_dot2_f32_f16 v44, v0, v12, v44
	;;#ASMEND
	;;#ASMSTART
	v_dot2_f32_f16 v44, v1, v13, v44
	;;#ASMEND
	;;#ASMSTART
	v_dot2_f32_f16 v44, v2, v14, v44
	;;#ASMEND
	;;#ASMSTART
	v_dot2_f32_f16 v44, v3, v15, v44
	;;#ASMEND
	s_wait_dscnt 0x3
	;;#ASMSTART
	v_dot2_f32_f16 v52, v0, v16, v52
	;;#ASMEND
	;;#ASMSTART
	v_dot2_f32_f16 v52, v1, v17, v52
	;;#ASMEND
	;;#ASMSTART
	v_dot2_f32_f16 v52, v2, v18, v52
	;;#ASMEND
	;;#ASMSTART
	v_dot2_f32_f16 v52, v3, v19, v52
	;;#ASMEND
	s_wait_dscnt 0x2
	;;#ASMSTART
	v_dot2_f32_f16 v57, v20, v4, v57
	;;#ASMEND
	;;#ASMSTART
	v_dot2_f32_f16 v57, v21, v5, v57
	;;#ASMEND
	;;#ASMSTART
	v_dot2_f32_f16 v57, v22, v6, v57
	;;#ASMEND
	;;#ASMSTART
	v_dot2_f32_f16 v57, v23, v7, v57
	;;#ASMEND
	;;#ASMSTART
	v_dot2_f32_f16 v48, v20, v8, v48
	;;#ASMEND
	;;#ASMSTART
	v_dot2_f32_f16 v48, v21, v9, v48
	;;#ASMEND
	;; [unrolled: 3-line block ×12, first 2 shown]
	s_wait_dscnt 0x1
	;;#ASMSTART
	v_dot2_f32_f16 v58, v24, v4, v58
	;;#ASMEND
	;;#ASMSTART
	v_dot2_f32_f16 v58, v25, v5, v58
	;;#ASMEND
	;; [unrolled: 3-line block ×16, first 2 shown]
	s_wait_dscnt 0x0
	;;#ASMSTART
	v_dot2_f32_f16 v59, v28, v4, v59
	;;#ASMEND
	;;#ASMSTART
	v_dot2_f32_f16 v59, v29, v5, v59
	;;#ASMEND
	;;#ASMSTART
	v_dot2_f32_f16 v59, v30, v6, v59
	;;#ASMEND
	;;#ASMSTART
	v_dot2_f32_f16 v59, v31, v7, v59
	;;#ASMEND
	;;#ASMSTART
	v_dot2_f32_f16 v50, v28, v8, v50
	;;#ASMEND
	;;#ASMSTART
	v_dot2_f32_f16 v50, v29, v9, v50
	;;#ASMEND
	;;#ASMSTART
	v_dot2_f32_f16 v50, v30, v10, v50
	;;#ASMEND
	;;#ASMSTART
	v_dot2_f32_f16 v50, v31, v11, v50
	;;#ASMEND
	;;#ASMSTART
	v_dot2_f32_f16 v56, v28, v12, v56
	;;#ASMEND
	;;#ASMSTART
	v_dot2_f32_f16 v56, v29, v13, v56
	;;#ASMEND
	;;#ASMSTART
	v_dot2_f32_f16 v56, v30, v14, v56
	;;#ASMEND
	;;#ASMSTART
	v_dot2_f32_f16 v56, v31, v15, v56
	;;#ASMEND
	;;#ASMSTART
	v_dot2_f32_f16 v55, v28, v16, v55
	;;#ASMEND
	;;#ASMSTART
	v_dot2_f32_f16 v55, v29, v17, v55
	;;#ASMEND
	;;#ASMSTART
	v_dot2_f32_f16 v55, v30, v18, v55
	;;#ASMEND
	;;#ASMSTART
	v_dot2_f32_f16 v55, v31, v19, v55
	;;#ASMEND
	ds_load_b128 v[0:3], v104 offset:80
	ds_load_b128 v[4:7], v103 offset:208
	;; [unrolled: 1-line block ×8, first 2 shown]
	s_wait_dscnt 0x6
	;;#ASMSTART
	v_dot2_f32_f16 v51, v0, v4, v51
	;;#ASMEND
	;;#ASMSTART
	v_dot2_f32_f16 v51, v1, v5, v51
	;;#ASMEND
	;;#ASMSTART
	v_dot2_f32_f16 v51, v2, v6, v51
	;;#ASMEND
	;;#ASMSTART
	v_dot2_f32_f16 v51, v3, v7, v51
	;;#ASMEND
	s_wait_dscnt 0x5
	;;#ASMSTART
	v_dot2_f32_f16 v47, v0, v8, v47
	;;#ASMEND
	;;#ASMSTART
	v_dot2_f32_f16 v47, v1, v9, v47
	;;#ASMEND
	;;#ASMSTART
	v_dot2_f32_f16 v47, v2, v10, v47
	;;#ASMEND
	;;#ASMSTART
	v_dot2_f32_f16 v47, v3, v11, v47
	;;#ASMEND
	;; [unrolled: 13-line block ×5, first 2 shown]
	;;#ASMSTART
	v_dot2_f32_f16 v48, v20, v8, v48
	;;#ASMEND
	;;#ASMSTART
	v_dot2_f32_f16 v48, v21, v9, v48
	;;#ASMEND
	;; [unrolled: 3-line block ×12, first 2 shown]
	s_wait_dscnt 0x1
	;;#ASMSTART
	v_dot2_f32_f16 v58, v24, v4, v58
	;;#ASMEND
	;;#ASMSTART
	v_dot2_f32_f16 v58, v25, v5, v58
	;;#ASMEND
	;; [unrolled: 3-line block ×16, first 2 shown]
	s_wait_dscnt 0x0
	;;#ASMSTART
	v_dot2_f32_f16 v59, v28, v4, v59
	;;#ASMEND
	;;#ASMSTART
	v_dot2_f32_f16 v59, v29, v5, v59
	;;#ASMEND
	;; [unrolled: 3-line block ×16, first 2 shown]
	ds_load_b128 v[0:3], v104 offset:96
	ds_load_b128 v[4:7], v103 offset:224
	;; [unrolled: 1-line block ×8, first 2 shown]
	s_wait_dscnt 0x6
	;;#ASMSTART
	v_dot2_f32_f16 v51, v0, v4, v51
	;;#ASMEND
	;;#ASMSTART
	v_dot2_f32_f16 v51, v1, v5, v51
	;;#ASMEND
	;;#ASMSTART
	v_dot2_f32_f16 v51, v2, v6, v51
	;;#ASMEND
	;;#ASMSTART
	v_dot2_f32_f16 v51, v3, v7, v51
	;;#ASMEND
	s_wait_dscnt 0x5
	;;#ASMSTART
	v_dot2_f32_f16 v47, v0, v8, v47
	;;#ASMEND
	;;#ASMSTART
	v_dot2_f32_f16 v47, v1, v9, v47
	;;#ASMEND
	;;#ASMSTART
	v_dot2_f32_f16 v47, v2, v10, v47
	;;#ASMEND
	;;#ASMSTART
	v_dot2_f32_f16 v47, v3, v11, v47
	;;#ASMEND
	;; [unrolled: 13-line block ×5, first 2 shown]
	;;#ASMSTART
	v_dot2_f32_f16 v48, v20, v8, v48
	;;#ASMEND
	;;#ASMSTART
	v_dot2_f32_f16 v48, v21, v9, v48
	;;#ASMEND
	;; [unrolled: 3-line block ×12, first 2 shown]
	s_wait_dscnt 0x1
	;;#ASMSTART
	v_dot2_f32_f16 v58, v24, v4, v58
	;;#ASMEND
	;;#ASMSTART
	v_dot2_f32_f16 v58, v25, v5, v58
	;;#ASMEND
	;; [unrolled: 3-line block ×16, first 2 shown]
	s_wait_dscnt 0x0
	;;#ASMSTART
	v_dot2_f32_f16 v59, v28, v4, v59
	;;#ASMEND
	;;#ASMSTART
	v_dot2_f32_f16 v59, v29, v5, v59
	;;#ASMEND
	;; [unrolled: 3-line block ×16, first 2 shown]
	ds_load_b128 v[20:23], v104 offset:112
	ds_load_b128 v[0:3], v103 offset:240
	;; [unrolled: 1-line block ×8, first 2 shown]
	s_wait_dscnt 0x6
	;;#ASMSTART
	v_dot2_f32_f16 v51, v20, v0, v51
	;;#ASMEND
	;;#ASMSTART
	v_dot2_f32_f16 v51, v21, v1, v51
	;;#ASMEND
	;;#ASMSTART
	v_dot2_f32_f16 v51, v22, v2, v51
	;;#ASMEND
	;;#ASMSTART
	v_dot2_f32_f16 v51, v23, v3, v51
	;;#ASMEND
	s_wait_dscnt 0x5
	;;#ASMSTART
	v_dot2_f32_f16 v47, v20, v4, v47
	;;#ASMEND
	;;#ASMSTART
	v_dot2_f32_f16 v47, v21, v5, v47
	;;#ASMEND
	;;#ASMSTART
	v_dot2_f32_f16 v47, v22, v6, v47
	;;#ASMEND
	;;#ASMSTART
	v_dot2_f32_f16 v47, v23, v7, v47
	;;#ASMEND
	s_wait_dscnt 0x4
	;;#ASMSTART
	v_dot2_f32_f16 v44, v20, v8, v44
	;;#ASMEND
	;;#ASMSTART
	v_dot2_f32_f16 v44, v21, v9, v44
	;;#ASMEND
	;;#ASMSTART
	v_dot2_f32_f16 v44, v22, v10, v44
	;;#ASMEND
	;;#ASMSTART
	v_dot2_f32_f16 v44, v23, v11, v44
	;;#ASMEND
	s_wait_dscnt 0x3
	;;#ASMSTART
	v_dot2_f32_f16 v52, v20, v12, v52
	;;#ASMEND
	;;#ASMSTART
	v_dot2_f32_f16 v52, v21, v13, v52
	;;#ASMEND
	;;#ASMSTART
	v_dot2_f32_f16 v52, v22, v14, v52
	;;#ASMEND
	;;#ASMSTART
	v_dot2_f32_f16 v52, v23, v15, v52
	;;#ASMEND
	s_wait_dscnt 0x2
	;;#ASMSTART
	v_dot2_f32_f16 v57, v28, v0, v57
	;;#ASMEND
	;;#ASMSTART
	v_dot2_f32_f16 v57, v29, v1, v57
	;;#ASMEND
	;;#ASMSTART
	v_dot2_f32_f16 v57, v30, v2, v57
	;;#ASMEND
	;;#ASMSTART
	v_dot2_f32_f16 v57, v31, v3, v57
	;;#ASMEND
	;;#ASMSTART
	v_dot2_f32_f16 v48, v28, v4, v48
	;;#ASMEND
	;;#ASMSTART
	v_dot2_f32_f16 v48, v29, v5, v48
	;;#ASMEND
	;; [unrolled: 3-line block ×12, first 2 shown]
	s_wait_dscnt 0x1
	;;#ASMSTART
	v_dot2_f32_f16 v58, v24, v0, v58
	;;#ASMEND
	;;#ASMSTART
	v_dot2_f32_f16 v58, v25, v1, v58
	;;#ASMEND
	;; [unrolled: 3-line block ×16, first 2 shown]
	s_wait_dscnt 0x0
	;;#ASMSTART
	v_dot2_f32_f16 v59, v16, v0, v59
	;;#ASMEND
	;;#ASMSTART
	v_dot2_f32_f16 v59, v17, v1, v59
	;;#ASMEND
	;; [unrolled: 3-line block ×9, first 2 shown]
	v_cmp_ngt_f32_e64 s25, 0x3f200000, |v51|
	;;#ASMSTART
	v_dot2_f32_f16 v56, v17, v9, v56
	;;#ASMEND
	;;#ASMSTART
	v_dot2_f32_f16 v56, v18, v10, v56
	;;#ASMEND
	;; [unrolled: 3-line block ×7, first 2 shown]
                                        ; implicit-def: $vgpr2
	s_and_saveexec_b32 s26, s25
	s_delay_alu instid0(SALU_CYCLE_1)
	s_xor_b32 s25, exec_lo, s26
	s_cbranch_execz .LBB72_11
; %bb.10:                               ;   in Loop: Header=BB72_9 Depth=1
	v_add_f32_e64 v0, |v51|, |v51|
	s_delay_alu instid0(VALU_DEP_1) | instskip(SKIP_1) | instid1(VALU_DEP_2)
	v_mul_f32_e32 v1, 0x3fb8aa3b, v0
	v_cmp_ngt_f32_e32 vcc_lo, 0xc2ce8ed0, v0
	v_rndne_f32_e32 v2, v1
	v_fma_f32 v3, 0x3fb8aa3b, v0, -v1
	s_delay_alu instid0(VALU_DEP_2) | instskip(NEXT) | instid1(VALU_DEP_2)
	v_sub_f32_e32 v1, v1, v2
	v_fmac_f32_e32 v3, 0x32a5705f, v0
	v_cvt_i32_f32_e32 v2, v2
	s_delay_alu instid0(VALU_DEP_2) | instskip(NEXT) | instid1(VALU_DEP_1)
	v_add_f32_e32 v1, v1, v3
	v_exp_f32_e32 v1, v1
	v_nop
	s_delay_alu instid0(TRANS32_DEP_1) | instskip(NEXT) | instid1(VALU_DEP_1)
	v_ldexp_f32 v1, v1, v2
	v_cndmask_b32_e32 v1, 0, v1, vcc_lo
	v_cmp_nlt_f32_e32 vcc_lo, 0x42b17218, v0
	s_delay_alu instid0(VALU_DEP_2) | instskip(NEXT) | instid1(VALU_DEP_1)
	v_cndmask_b32_e32 v0, 0x7f800000, v1, vcc_lo
	v_add_f32_e32 v0, 1.0, v0
	s_delay_alu instid0(VALU_DEP_1) | instskip(SKIP_1) | instid1(TRANS32_DEP_1)
	v_rcp_f32_e32 v0, v0
	v_nop
	v_fma_f32 v2, v0, -2.0, 1.0
.LBB72_11:                              ;   in Loop: Header=BB72_9 Depth=1
	s_and_not1_saveexec_b32 s25, s25
	s_cbranch_execz .LBB72_13
; %bb.12:                               ;   in Loop: Header=BB72_9 Depth=1
	v_mul_f32_e32 v0, v51, v51
	s_delay_alu instid0(VALU_DEP_1) | instskip(NEXT) | instid1(VALU_DEP_1)
	v_fmaak_f32 v1, s3, v0, 0x3ca908c9
	v_fmaak_f32 v1, v0, v1, 0xbd5c1c4e
	s_delay_alu instid0(VALU_DEP_1) | instskip(NEXT) | instid1(VALU_DEP_1)
	v_fmaak_f32 v1, v0, v1, 0x3e088382
	v_fmaak_f32 v1, v0, v1, 0xbeaaaa99
	s_delay_alu instid0(VALU_DEP_1) | instskip(NEXT) | instid1(VALU_DEP_1)
	v_mul_f32_e64 v1, |v51|, v1
	v_fma_f32 v2, v0, v1, |v51|
.LBB72_13:                              ;   in Loop: Header=BB72_9 Depth=1
	s_or_b32 exec_lo, exec_lo, s25
	v_add_nc_u32_e32 v0, s4, v106
	v_cmp_ngt_f32_e64 s25, 0x3f200000, |v57|
                                        ; implicit-def: $vgpr3
	global_load_u16 v4, v0, s[30:31] scale_offset
	s_wait_xcnt 0x0
	s_and_saveexec_b32 s26, s25
	s_delay_alu instid0(SALU_CYCLE_1)
	s_xor_b32 s25, exec_lo, s26
	s_cbranch_execz .LBB72_15
; %bb.14:                               ;   in Loop: Header=BB72_9 Depth=1
	v_add_f32_e64 v1, |v57|, |v57|
	s_delay_alu instid0(VALU_DEP_1) | instskip(SKIP_1) | instid1(VALU_DEP_2)
	v_mul_f32_e32 v3, 0x3fb8aa3b, v1
	v_cmp_ngt_f32_e32 vcc_lo, 0xc2ce8ed0, v1
	v_rndne_f32_e32 v5, v3
	v_fma_f32 v6, 0x3fb8aa3b, v1, -v3
	s_delay_alu instid0(VALU_DEP_2) | instskip(NEXT) | instid1(VALU_DEP_2)
	v_sub_f32_e32 v3, v3, v5
	v_fmac_f32_e32 v6, 0x32a5705f, v1
	v_cvt_i32_f32_e32 v5, v5
	s_delay_alu instid0(VALU_DEP_2) | instskip(NEXT) | instid1(VALU_DEP_1)
	v_add_f32_e32 v3, v3, v6
	v_exp_f32_e32 v3, v3
	v_nop
	s_delay_alu instid0(TRANS32_DEP_1) | instskip(NEXT) | instid1(VALU_DEP_1)
	v_ldexp_f32 v3, v3, v5
	v_cndmask_b32_e32 v3, 0, v3, vcc_lo
	v_cmp_nlt_f32_e32 vcc_lo, 0x42b17218, v1
	s_delay_alu instid0(VALU_DEP_2) | instskip(NEXT) | instid1(VALU_DEP_1)
	v_cndmask_b32_e32 v1, 0x7f800000, v3, vcc_lo
	v_add_f32_e32 v1, 1.0, v1
	s_delay_alu instid0(VALU_DEP_1) | instskip(SKIP_1) | instid1(TRANS32_DEP_1)
	v_rcp_f32_e32 v1, v1
	v_nop
	v_fma_f32 v3, v1, -2.0, 1.0
.LBB72_15:                              ;   in Loop: Header=BB72_9 Depth=1
	s_and_not1_saveexec_b32 s25, s25
	s_cbranch_execz .LBB72_17
; %bb.16:                               ;   in Loop: Header=BB72_9 Depth=1
	v_mul_f32_e32 v1, v57, v57
	s_delay_alu instid0(VALU_DEP_1) | instskip(NEXT) | instid1(VALU_DEP_1)
	v_fmaak_f32 v3, s3, v1, 0x3ca908c9
	v_fmaak_f32 v3, v1, v3, 0xbd5c1c4e
	s_delay_alu instid0(VALU_DEP_1) | instskip(NEXT) | instid1(VALU_DEP_1)
	v_fmaak_f32 v3, v1, v3, 0x3e088382
	v_fmaak_f32 v3, v1, v3, 0xbeaaaa99
	s_delay_alu instid0(VALU_DEP_1) | instskip(NEXT) | instid1(VALU_DEP_1)
	v_mul_f32_e64 v3, |v57|, v3
	v_fma_f32 v3, v1, v3, |v57|
.LBB72_17:                              ;   in Loop: Header=BB72_9 Depth=1
	s_or_b32 exec_lo, exec_lo, s25
	v_ashrrev_i32_e32 v1, 31, v0
	v_cmp_ngt_f32_e64 s25, 0x3f200000, |v58|
                                        ; implicit-def: $vgpr8
	s_delay_alu instid0(VALU_DEP_2) | instskip(SKIP_3) | instid1(SALU_CYCLE_1)
	v_lshl_add_u64 v[0:1], v[0:1], 1, s[30:31]
	global_load_u16 v5, v[0:1], off offset:64
	s_wait_xcnt 0x0
	s_and_saveexec_b32 s26, s25
	s_xor_b32 s25, exec_lo, s26
	s_cbranch_execz .LBB72_19
; %bb.18:                               ;   in Loop: Header=BB72_9 Depth=1
	v_add_f32_e64 v6, |v58|, |v58|
	s_delay_alu instid0(VALU_DEP_1) | instskip(SKIP_1) | instid1(VALU_DEP_2)
	v_mul_f32_e32 v7, 0x3fb8aa3b, v6
	v_cmp_ngt_f32_e32 vcc_lo, 0xc2ce8ed0, v6
	v_rndne_f32_e32 v8, v7
	v_fma_f32 v9, 0x3fb8aa3b, v6, -v7
	s_delay_alu instid0(VALU_DEP_2) | instskip(NEXT) | instid1(VALU_DEP_2)
	v_sub_f32_e32 v7, v7, v8
	v_fmac_f32_e32 v9, 0x32a5705f, v6
	v_cvt_i32_f32_e32 v8, v8
	s_delay_alu instid0(VALU_DEP_2) | instskip(NEXT) | instid1(VALU_DEP_1)
	v_add_f32_e32 v7, v7, v9
	v_exp_f32_e32 v7, v7
	v_nop
	s_delay_alu instid0(TRANS32_DEP_1) | instskip(NEXT) | instid1(VALU_DEP_1)
	v_ldexp_f32 v7, v7, v8
	v_cndmask_b32_e32 v7, 0, v7, vcc_lo
	v_cmp_nlt_f32_e32 vcc_lo, 0x42b17218, v6
	s_delay_alu instid0(VALU_DEP_2) | instskip(NEXT) | instid1(VALU_DEP_1)
	v_cndmask_b32_e32 v6, 0x7f800000, v7, vcc_lo
	v_add_f32_e32 v6, 1.0, v6
	s_delay_alu instid0(VALU_DEP_1) | instskip(SKIP_1) | instid1(TRANS32_DEP_1)
	v_rcp_f32_e32 v6, v6
	v_nop
	v_fma_f32 v8, v6, -2.0, 1.0
.LBB72_19:                              ;   in Loop: Header=BB72_9 Depth=1
	s_and_not1_saveexec_b32 s25, s25
	s_cbranch_execz .LBB72_21
; %bb.20:                               ;   in Loop: Header=BB72_9 Depth=1
	v_mul_f32_e32 v6, v58, v58
	s_delay_alu instid0(VALU_DEP_1) | instskip(NEXT) | instid1(VALU_DEP_1)
	v_fmaak_f32 v7, s3, v6, 0x3ca908c9
	v_fmaak_f32 v7, v6, v7, 0xbd5c1c4e
	s_delay_alu instid0(VALU_DEP_1) | instskip(NEXT) | instid1(VALU_DEP_1)
	v_fmaak_f32 v7, v6, v7, 0x3e088382
	v_fmaak_f32 v7, v6, v7, 0xbeaaaa99
	s_delay_alu instid0(VALU_DEP_1) | instskip(NEXT) | instid1(VALU_DEP_1)
	v_mul_f32_e64 v7, |v58|, v7
	v_fma_f32 v8, v6, v7, |v58|
.LBB72_21:                              ;   in Loop: Header=BB72_9 Depth=1
	s_or_b32 exec_lo, exec_lo, s25
	global_load_u16 v6, v[0:1], off offset:128
	v_cmp_ngt_f32_e64 s25, 0x3f200000, |v59|
                                        ; implicit-def: $vgpr9
	s_wait_xcnt 0x0
	s_and_saveexec_b32 s26, s25
	s_delay_alu instid0(SALU_CYCLE_1)
	s_xor_b32 s25, exec_lo, s26
	s_cbranch_execz .LBB72_23
; %bb.22:                               ;   in Loop: Header=BB72_9 Depth=1
	v_add_f32_e64 v7, |v59|, |v59|
	s_delay_alu instid0(VALU_DEP_1) | instskip(SKIP_1) | instid1(VALU_DEP_2)
	v_mul_f32_e32 v9, 0x3fb8aa3b, v7
	v_cmp_ngt_f32_e32 vcc_lo, 0xc2ce8ed0, v7
	v_rndne_f32_e32 v10, v9
	v_fma_f32 v11, 0x3fb8aa3b, v7, -v9
	s_delay_alu instid0(VALU_DEP_2) | instskip(NEXT) | instid1(VALU_DEP_2)
	v_sub_f32_e32 v9, v9, v10
	v_fmac_f32_e32 v11, 0x32a5705f, v7
	v_cvt_i32_f32_e32 v10, v10
	s_delay_alu instid0(VALU_DEP_2) | instskip(NEXT) | instid1(VALU_DEP_1)
	v_add_f32_e32 v9, v9, v11
	v_exp_f32_e32 v9, v9
	v_nop
	s_delay_alu instid0(TRANS32_DEP_1) | instskip(NEXT) | instid1(VALU_DEP_1)
	v_ldexp_f32 v9, v9, v10
	v_cndmask_b32_e32 v9, 0, v9, vcc_lo
	v_cmp_nlt_f32_e32 vcc_lo, 0x42b17218, v7
	s_delay_alu instid0(VALU_DEP_2) | instskip(NEXT) | instid1(VALU_DEP_1)
	v_cndmask_b32_e32 v7, 0x7f800000, v9, vcc_lo
	v_add_f32_e32 v7, 1.0, v7
	s_delay_alu instid0(VALU_DEP_1) | instskip(SKIP_1) | instid1(TRANS32_DEP_1)
	v_rcp_f32_e32 v7, v7
	v_nop
	v_fma_f32 v9, v7, -2.0, 1.0
.LBB72_23:                              ;   in Loop: Header=BB72_9 Depth=1
	s_and_not1_saveexec_b32 s25, s25
	s_cbranch_execz .LBB72_25
; %bb.24:                               ;   in Loop: Header=BB72_9 Depth=1
	v_mul_f32_e32 v7, v59, v59
	s_delay_alu instid0(VALU_DEP_1) | instskip(NEXT) | instid1(VALU_DEP_1)
	v_fmaak_f32 v9, s3, v7, 0x3ca908c9
	v_fmaak_f32 v9, v7, v9, 0xbd5c1c4e
	s_delay_alu instid0(VALU_DEP_1) | instskip(NEXT) | instid1(VALU_DEP_1)
	v_fmaak_f32 v9, v7, v9, 0x3e088382
	v_fmaak_f32 v9, v7, v9, 0xbeaaaa99
	s_delay_alu instid0(VALU_DEP_1) | instskip(NEXT) | instid1(VALU_DEP_1)
	v_mul_f32_e64 v9, |v59|, v9
	v_fma_f32 v9, v7, v9, |v59|
.LBB72_25:                              ;   in Loop: Header=BB72_9 Depth=1
	s_or_b32 exec_lo, exec_lo, s25
	global_load_u16 v7, v[0:1], off offset:192
	s_wait_xcnt 0x0
	v_bfi_b32 v0, 0x7fffffff, v2, v51
	v_bfi_b32 v1, 0x7fffffff, v3, v57
	v_xor_b32_e32 v114, 8, v97
	v_xor_b32_e32 v115, 16, v97
	v_bfi_b32 v2, 0x7fffffff, v9, v59
	s_wait_loadcnt 0x3
	s_wait_kmcnt 0x0
	v_fma_mix_f32 v26, s24, v0, v4 op_sel_hi:[0,0,1]
	s_wait_loadcnt 0x2
	v_fma_mix_f32 v27, s24, v1, v5 op_sel_hi:[0,0,1]
	v_bfi_b32 v0, 0x7fffffff, v8, v58
	v_cmp_gt_i32_e32 vcc_lo, 32, v115
	v_xor_b32_e32 v112, 2, v97
	v_cmp_ngt_f32_e64 s25, 0x3f200000, |v47|
                                        ; implicit-def: $vgpr8
	v_xor_b32_e32 v111, 1, v97
	s_wait_loadcnt 0x1
	v_fma_mix_f32 v28, s24, v0, v6 op_sel_hi:[0,0,1]
	v_add_f32_e32 v1, 0x40051340, v26
	s_wait_loadcnt 0x0
	v_fma_mix_f32 v29, s24, v2, v7 op_sel_hi:[0,0,1]
	v_cndmask_b32_e32 v0, v97, v115, vcc_lo
	v_dual_add_f32 v3, 0x40051340, v27 :: v_dual_add_f32 v2, 0x40051340, v28
	s_delay_alu instid0(VALU_DEP_2) | instskip(NEXT) | instid1(VALU_DEP_2)
	v_lshlrev_b32_e32 v0, 2, v0
	v_max3_num_f32 v1, v42, v1, v3
	v_add_f32_e32 v3, 0x40051340, v29
	s_delay_alu instid0(VALU_DEP_1) | instskip(SKIP_4) | instid1(VALU_DEP_2)
	v_max3_num_f32 v1, v1, v2, v3
	ds_bpermute_b32 v2, v0, v1
	s_wait_dscnt 0x0
	v_max_num_f32_e32 v2, v2, v2
	v_cmp_gt_i32_e32 vcc_lo, 32, v114
	v_max_num_f32_e32 v1, v1, v2
	v_cndmask_b32_e32 v3, v97, v114, vcc_lo
	s_delay_alu instid0(VALU_DEP_1) | instskip(SKIP_3) | instid1(VALU_DEP_1)
	v_lshlrev_b32_e32 v30, 2, v3
	ds_bpermute_b32 v2, v30, v1
	s_wait_dscnt 0x0
	v_dual_max_num_f32 v2, v2, v2 :: v_dual_bitop2_b32 v113, 4, v97 bitop3:0x14
	v_cmp_gt_i32_e32 vcc_lo, 32, v113
	s_delay_alu instid0(VALU_DEP_2) | instskip(SKIP_2) | instid1(VALU_DEP_2)
	v_max_num_f32_e32 v1, v1, v2
	v_cndmask_b32_e32 v3, v97, v113, vcc_lo
	v_cmp_gt_i32_e32 vcc_lo, 32, v112
	v_dual_lshlrev_b32 v21, 2, v3 :: v_dual_cndmask_b32 v3, v97, v112, vcc_lo
	v_cmp_gt_i32_e32 vcc_lo, 32, v111
	ds_bpermute_b32 v2, v21, v1
	v_lshlrev_b32_e32 v20, 2, v3
	s_wait_dscnt 0x0
	v_dual_cndmask_b32 v3, v97, v111 :: v_dual_max_num_f32 v2, v2, v2
	s_delay_alu instid0(VALU_DEP_1) | instskip(SKIP_3) | instid1(VALU_DEP_1)
	v_max_num_f32_e32 v1, v1, v2
	ds_bpermute_b32 v2, v20, v1
	s_wait_dscnt 0x0
	v_dual_max_num_f32 v2, v2, v2 :: v_dual_lshlrev_b32 v3, 2, v3
	v_max_num_f32_e32 v1, v1, v2
	ds_bpermute_b32 v2, v3, v1
	s_and_saveexec_b32 s26, s25
	s_delay_alu instid0(SALU_CYCLE_1)
	s_xor_b32 s25, exec_lo, s26
	s_cbranch_execz .LBB72_27
; %bb.26:                               ;   in Loop: Header=BB72_9 Depth=1
	v_add_f32_e64 v8, |v47|, |v47|
	s_delay_alu instid0(VALU_DEP_1) | instskip(SKIP_1) | instid1(VALU_DEP_2)
	v_mul_f32_e32 v9, 0x3fb8aa3b, v8
	v_cmp_ngt_f32_e32 vcc_lo, 0xc2ce8ed0, v8
	v_rndne_f32_e32 v10, v9
	v_fma_f32 v11, 0x3fb8aa3b, v8, -v9
	s_delay_alu instid0(VALU_DEP_2) | instskip(NEXT) | instid1(VALU_DEP_2)
	v_sub_f32_e32 v9, v9, v10
	v_fmac_f32_e32 v11, 0x32a5705f, v8
	v_cvt_i32_f32_e32 v10, v10
	s_delay_alu instid0(VALU_DEP_2) | instskip(NEXT) | instid1(VALU_DEP_1)
	v_add_f32_e32 v9, v9, v11
	v_exp_f32_e32 v9, v9
	v_nop
	s_delay_alu instid0(TRANS32_DEP_1) | instskip(NEXT) | instid1(VALU_DEP_1)
	v_ldexp_f32 v9, v9, v10
	v_cndmask_b32_e32 v9, 0, v9, vcc_lo
	v_cmp_nlt_f32_e32 vcc_lo, 0x42b17218, v8
	s_delay_alu instid0(VALU_DEP_2) | instskip(NEXT) | instid1(VALU_DEP_1)
	v_cndmask_b32_e32 v8, 0x7f800000, v9, vcc_lo
	v_add_f32_e32 v8, 1.0, v8
	s_delay_alu instid0(VALU_DEP_1) | instskip(SKIP_1) | instid1(TRANS32_DEP_1)
	v_rcp_f32_e32 v8, v8
	v_nop
	v_fma_f32 v8, v8, -2.0, 1.0
.LBB72_27:                              ;   in Loop: Header=BB72_9 Depth=1
	s_and_not1_saveexec_b32 s25, s25
	s_cbranch_execz .LBB72_29
; %bb.28:                               ;   in Loop: Header=BB72_9 Depth=1
	v_mul_f32_e32 v8, v47, v47
	s_delay_alu instid0(VALU_DEP_1) | instskip(NEXT) | instid1(VALU_DEP_1)
	v_fmaak_f32 v9, s3, v8, 0x3ca908c9
	v_fmaak_f32 v9, v8, v9, 0xbd5c1c4e
	s_delay_alu instid0(VALU_DEP_1) | instskip(NEXT) | instid1(VALU_DEP_1)
	v_fmaak_f32 v9, v8, v9, 0x3e088382
	v_fmaak_f32 v9, v8, v9, 0xbeaaaa99
	s_delay_alu instid0(VALU_DEP_1) | instskip(NEXT) | instid1(VALU_DEP_1)
	v_mul_f32_e64 v9, |v47|, v9
	v_fma_f32 v8, v8, v9, |v47|
.LBB72_29:                              ;   in Loop: Header=BB72_9 Depth=1
	s_or_b32 exec_lo, exec_lo, s25
	v_cmp_ngt_f32_e64 s25, 0x3f200000, |v48|
                                        ; implicit-def: $vgpr9
	s_and_saveexec_b32 s26, s25
	s_delay_alu instid0(SALU_CYCLE_1)
	s_xor_b32 s25, exec_lo, s26
	s_cbranch_execz .LBB72_31
; %bb.30:                               ;   in Loop: Header=BB72_9 Depth=1
	v_add_f32_e64 v9, |v48|, |v48|
	s_delay_alu instid0(VALU_DEP_1) | instskip(SKIP_1) | instid1(VALU_DEP_2)
	v_mul_f32_e32 v10, 0x3fb8aa3b, v9
	v_cmp_ngt_f32_e32 vcc_lo, 0xc2ce8ed0, v9
	v_rndne_f32_e32 v11, v10
	v_fma_f32 v12, 0x3fb8aa3b, v9, -v10
	s_delay_alu instid0(VALU_DEP_2) | instskip(NEXT) | instid1(VALU_DEP_2)
	v_sub_f32_e32 v10, v10, v11
	v_fmac_f32_e32 v12, 0x32a5705f, v9
	v_cvt_i32_f32_e32 v11, v11
	s_delay_alu instid0(VALU_DEP_2) | instskip(NEXT) | instid1(VALU_DEP_1)
	v_add_f32_e32 v10, v10, v12
	v_exp_f32_e32 v10, v10
	v_nop
	s_delay_alu instid0(TRANS32_DEP_1) | instskip(NEXT) | instid1(VALU_DEP_1)
	v_ldexp_f32 v10, v10, v11
	v_cndmask_b32_e32 v10, 0, v10, vcc_lo
	v_cmp_nlt_f32_e32 vcc_lo, 0x42b17218, v9
	s_delay_alu instid0(VALU_DEP_2) | instskip(NEXT) | instid1(VALU_DEP_1)
	v_cndmask_b32_e32 v9, 0x7f800000, v10, vcc_lo
	v_add_f32_e32 v9, 1.0, v9
	s_delay_alu instid0(VALU_DEP_1) | instskip(SKIP_1) | instid1(TRANS32_DEP_1)
	v_rcp_f32_e32 v9, v9
	v_nop
	v_fma_f32 v9, v9, -2.0, 1.0
.LBB72_31:                              ;   in Loop: Header=BB72_9 Depth=1
	s_and_not1_saveexec_b32 s25, s25
	s_cbranch_execz .LBB72_33
; %bb.32:                               ;   in Loop: Header=BB72_9 Depth=1
	v_mul_f32_e32 v9, v48, v48
	s_delay_alu instid0(VALU_DEP_1) | instskip(NEXT) | instid1(VALU_DEP_1)
	v_fmaak_f32 v10, s3, v9, 0x3ca908c9
	v_fmaak_f32 v10, v9, v10, 0xbd5c1c4e
	s_delay_alu instid0(VALU_DEP_1) | instskip(NEXT) | instid1(VALU_DEP_1)
	v_fmaak_f32 v10, v9, v10, 0x3e088382
	v_fmaak_f32 v10, v9, v10, 0xbeaaaa99
	s_delay_alu instid0(VALU_DEP_1) | instskip(NEXT) | instid1(VALU_DEP_1)
	v_mul_f32_e64 v10, |v48|, v10
	v_fma_f32 v9, v9, v10, |v48|
.LBB72_33:                              ;   in Loop: Header=BB72_9 Depth=1
	s_or_b32 exec_lo, exec_lo, s25
	v_cmp_ngt_f32_e64 s25, 0x3f200000, |v49|
                                        ; implicit-def: $vgpr10
	s_and_saveexec_b32 s26, s25
	s_delay_alu instid0(SALU_CYCLE_1)
	s_xor_b32 s25, exec_lo, s26
	s_cbranch_execz .LBB72_35
; %bb.34:                               ;   in Loop: Header=BB72_9 Depth=1
	v_add_f32_e64 v10, |v49|, |v49|
	s_delay_alu instid0(VALU_DEP_1) | instskip(SKIP_1) | instid1(VALU_DEP_2)
	v_mul_f32_e32 v11, 0x3fb8aa3b, v10
	v_cmp_ngt_f32_e32 vcc_lo, 0xc2ce8ed0, v10
	v_rndne_f32_e32 v12, v11
	v_fma_f32 v13, 0x3fb8aa3b, v10, -v11
	s_delay_alu instid0(VALU_DEP_2) | instskip(NEXT) | instid1(VALU_DEP_2)
	v_sub_f32_e32 v11, v11, v12
	v_fmac_f32_e32 v13, 0x32a5705f, v10
	v_cvt_i32_f32_e32 v12, v12
	s_delay_alu instid0(VALU_DEP_2) | instskip(NEXT) | instid1(VALU_DEP_1)
	v_add_f32_e32 v11, v11, v13
	v_exp_f32_e32 v11, v11
	v_nop
	s_delay_alu instid0(TRANS32_DEP_1) | instskip(NEXT) | instid1(VALU_DEP_1)
	v_ldexp_f32 v11, v11, v12
	v_cndmask_b32_e32 v11, 0, v11, vcc_lo
	v_cmp_nlt_f32_e32 vcc_lo, 0x42b17218, v10
	s_delay_alu instid0(VALU_DEP_2) | instskip(NEXT) | instid1(VALU_DEP_1)
	v_cndmask_b32_e32 v10, 0x7f800000, v11, vcc_lo
	v_add_f32_e32 v10, 1.0, v10
	s_delay_alu instid0(VALU_DEP_1) | instskip(SKIP_1) | instid1(TRANS32_DEP_1)
	v_rcp_f32_e32 v10, v10
	v_nop
	v_fma_f32 v10, v10, -2.0, 1.0
.LBB72_35:                              ;   in Loop: Header=BB72_9 Depth=1
	s_and_not1_saveexec_b32 s25, s25
	s_cbranch_execz .LBB72_37
; %bb.36:                               ;   in Loop: Header=BB72_9 Depth=1
	v_mul_f32_e32 v10, v49, v49
	s_delay_alu instid0(VALU_DEP_1) | instskip(NEXT) | instid1(VALU_DEP_1)
	v_fmaak_f32 v11, s3, v10, 0x3ca908c9
	v_fmaak_f32 v11, v10, v11, 0xbd5c1c4e
	s_delay_alu instid0(VALU_DEP_1) | instskip(NEXT) | instid1(VALU_DEP_1)
	v_fmaak_f32 v11, v10, v11, 0x3e088382
	v_fmaak_f32 v11, v10, v11, 0xbeaaaa99
	s_delay_alu instid0(VALU_DEP_1) | instskip(NEXT) | instid1(VALU_DEP_1)
	v_mul_f32_e64 v11, |v49|, v11
	v_fma_f32 v10, v10, v11, |v49|
.LBB72_37:                              ;   in Loop: Header=BB72_9 Depth=1
	s_or_b32 exec_lo, exec_lo, s25
	v_cmp_ngt_f32_e64 s25, 0x3f200000, |v50|
                                        ; implicit-def: $vgpr11
	s_and_saveexec_b32 s26, s25
	s_delay_alu instid0(SALU_CYCLE_1)
	s_xor_b32 s25, exec_lo, s26
	s_cbranch_execz .LBB72_39
; %bb.38:                               ;   in Loop: Header=BB72_9 Depth=1
	v_add_f32_e64 v11, |v50|, |v50|
	s_delay_alu instid0(VALU_DEP_1) | instskip(SKIP_1) | instid1(VALU_DEP_2)
	v_mul_f32_e32 v12, 0x3fb8aa3b, v11
	v_cmp_ngt_f32_e32 vcc_lo, 0xc2ce8ed0, v11
	v_rndne_f32_e32 v13, v12
	v_fma_f32 v14, 0x3fb8aa3b, v11, -v12
	s_delay_alu instid0(VALU_DEP_2) | instskip(NEXT) | instid1(VALU_DEP_2)
	v_sub_f32_e32 v12, v12, v13
	v_fmac_f32_e32 v14, 0x32a5705f, v11
	v_cvt_i32_f32_e32 v13, v13
	s_delay_alu instid0(VALU_DEP_2) | instskip(NEXT) | instid1(VALU_DEP_1)
	v_add_f32_e32 v12, v12, v14
	v_exp_f32_e32 v12, v12
	v_nop
	s_delay_alu instid0(TRANS32_DEP_1) | instskip(NEXT) | instid1(VALU_DEP_1)
	v_ldexp_f32 v12, v12, v13
	v_cndmask_b32_e32 v12, 0, v12, vcc_lo
	v_cmp_nlt_f32_e32 vcc_lo, 0x42b17218, v11
	s_delay_alu instid0(VALU_DEP_2) | instskip(NEXT) | instid1(VALU_DEP_1)
	v_cndmask_b32_e32 v11, 0x7f800000, v12, vcc_lo
	v_add_f32_e32 v11, 1.0, v11
	s_delay_alu instid0(VALU_DEP_1) | instskip(SKIP_1) | instid1(TRANS32_DEP_1)
	v_rcp_f32_e32 v11, v11
	v_nop
	v_fma_f32 v11, v11, -2.0, 1.0
.LBB72_39:                              ;   in Loop: Header=BB72_9 Depth=1
	s_and_not1_saveexec_b32 s25, s25
	s_cbranch_execz .LBB72_41
; %bb.40:                               ;   in Loop: Header=BB72_9 Depth=1
	v_mul_f32_e32 v11, v50, v50
	s_delay_alu instid0(VALU_DEP_1) | instskip(NEXT) | instid1(VALU_DEP_1)
	v_fmaak_f32 v12, s3, v11, 0x3ca908c9
	v_fmaak_f32 v12, v11, v12, 0xbd5c1c4e
	s_delay_alu instid0(VALU_DEP_1) | instskip(NEXT) | instid1(VALU_DEP_1)
	v_fmaak_f32 v12, v11, v12, 0x3e088382
	v_fmaak_f32 v12, v11, v12, 0xbeaaaa99
	s_delay_alu instid0(VALU_DEP_1) | instskip(NEXT) | instid1(VALU_DEP_1)
	v_mul_f32_e64 v12, |v50|, v12
	v_fma_f32 v11, v11, v12, |v50|
.LBB72_41:                              ;   in Loop: Header=BB72_9 Depth=1
	s_or_b32 exec_lo, exec_lo, s25
	v_cvt_f32_f16_e32 v25, v4
	v_bfi_b32 v4, 0x7fffffff, v8, v47
	v_cvt_f32_f16_e32 v24, v5
	v_bfi_b32 v5, 0x7fffffff, v9, v48
	v_cvt_f32_f16_e32 v23, v6
	v_cvt_f32_f16_e32 v22, v7
	v_fma_f32 v47, s24, v4, v25
	v_bfi_b32 v4, 0x7fffffff, v10, v49
	v_fma_f32 v48, s24, v5, v24
	v_bfi_b32 v5, 0x7fffffff, v11, v50
	v_cmp_ngt_f32_e64 s25, 0x3f200000, |v44|
	s_delay_alu instid0(VALU_DEP_4) | instskip(NEXT) | instid1(VALU_DEP_4)
	v_fma_f32 v50, s24, v4, v23
	v_add_f32_e32 v4, 0x40051340, v48
	s_delay_alu instid0(VALU_DEP_4) | instskip(NEXT) | instid1(VALU_DEP_3)
	v_fma_f32 v49, s24, v5, v22
	v_dual_add_f32 v6, 0x40051340, v47 :: v_dual_add_f32 v5, 0x40051340, v50
	s_delay_alu instid0(VALU_DEP_1) | instskip(NEXT) | instid1(VALU_DEP_3)
	v_max3_num_f32 v4, v43, v6, v4
	v_add_f32_e32 v6, 0x40051340, v49
	s_delay_alu instid0(VALU_DEP_1) | instskip(SKIP_3) | instid1(VALU_DEP_1)
	v_max3_num_f32 v4, v4, v5, v6
	ds_bpermute_b32 v5, v0, v4
	s_wait_dscnt 0x0
	v_max_num_f32_e32 v5, v5, v5
	v_max_num_f32_e32 v4, v4, v5
	ds_bpermute_b32 v5, v30, v4
	s_wait_dscnt 0x0
	v_max_num_f32_e32 v5, v5, v5
	s_delay_alu instid0(VALU_DEP_1) | instskip(SKIP_3) | instid1(VALU_DEP_1)
	v_max_num_f32_e32 v4, v4, v5
	ds_bpermute_b32 v5, v21, v4
	s_wait_dscnt 0x0
	v_max_num_f32_e32 v5, v5, v5
	v_max_num_f32_e32 v4, v4, v5
	ds_bpermute_b32 v5, v20, v4
	s_wait_dscnt 0x0
	v_max_num_f32_e32 v5, v5, v5
	s_delay_alu instid0(VALU_DEP_1) | instskip(SKIP_2) | instid1(SALU_CYCLE_1)
	v_max_num_f32_e32 v51, v4, v5
                                        ; implicit-def: $vgpr5
	ds_bpermute_b32 v4, v3, v51
	s_and_saveexec_b32 s26, s25
	s_xor_b32 s25, exec_lo, s26
	s_cbranch_execz .LBB72_43
; %bb.42:                               ;   in Loop: Header=BB72_9 Depth=1
	v_add_f32_e64 v5, |v44|, |v44|
	s_delay_alu instid0(VALU_DEP_1) | instskip(SKIP_1) | instid1(VALU_DEP_2)
	v_mul_f32_e32 v6, 0x3fb8aa3b, v5
	v_cmp_ngt_f32_e32 vcc_lo, 0xc2ce8ed0, v5
	v_rndne_f32_e32 v7, v6
	v_fma_f32 v8, 0x3fb8aa3b, v5, -v6
	s_delay_alu instid0(VALU_DEP_2) | instskip(NEXT) | instid1(VALU_DEP_2)
	v_sub_f32_e32 v6, v6, v7
	v_fmac_f32_e32 v8, 0x32a5705f, v5
	v_cvt_i32_f32_e32 v7, v7
	s_delay_alu instid0(VALU_DEP_2) | instskip(NEXT) | instid1(VALU_DEP_1)
	v_add_f32_e32 v6, v6, v8
	v_exp_f32_e32 v6, v6
	v_nop
	s_delay_alu instid0(TRANS32_DEP_1) | instskip(NEXT) | instid1(VALU_DEP_1)
	v_ldexp_f32 v6, v6, v7
	v_cndmask_b32_e32 v6, 0, v6, vcc_lo
	v_cmp_nlt_f32_e32 vcc_lo, 0x42b17218, v5
	s_delay_alu instid0(VALU_DEP_2) | instskip(NEXT) | instid1(VALU_DEP_1)
	v_cndmask_b32_e32 v5, 0x7f800000, v6, vcc_lo
	v_add_f32_e32 v5, 1.0, v5
	s_delay_alu instid0(VALU_DEP_1) | instskip(SKIP_1) | instid1(TRANS32_DEP_1)
	v_rcp_f32_e32 v5, v5
	v_nop
	v_fma_f32 v5, v5, -2.0, 1.0
.LBB72_43:                              ;   in Loop: Header=BB72_9 Depth=1
	s_and_not1_saveexec_b32 s25, s25
	s_cbranch_execz .LBB72_45
; %bb.44:                               ;   in Loop: Header=BB72_9 Depth=1
	v_mul_f32_e32 v5, v44, v44
	s_delay_alu instid0(VALU_DEP_1) | instskip(NEXT) | instid1(VALU_DEP_1)
	v_fmaak_f32 v6, s3, v5, 0x3ca908c9
	v_fmaak_f32 v6, v5, v6, 0xbd5c1c4e
	s_delay_alu instid0(VALU_DEP_1) | instskip(NEXT) | instid1(VALU_DEP_1)
	v_fmaak_f32 v6, v5, v6, 0x3e088382
	v_fmaak_f32 v6, v5, v6, 0xbeaaaa99
	s_delay_alu instid0(VALU_DEP_1) | instskip(NEXT) | instid1(VALU_DEP_1)
	v_mul_f32_e64 v6, |v44|, v6
	v_fma_f32 v5, v5, v6, |v44|
.LBB72_45:                              ;   in Loop: Header=BB72_9 Depth=1
	s_or_b32 exec_lo, exec_lo, s25
	v_cmp_ngt_f32_e64 s25, 0x3f200000, |v45|
                                        ; implicit-def: $vgpr6
	s_and_saveexec_b32 s26, s25
	s_delay_alu instid0(SALU_CYCLE_1)
	s_xor_b32 s25, exec_lo, s26
	s_cbranch_execz .LBB72_47
; %bb.46:                               ;   in Loop: Header=BB72_9 Depth=1
	v_add_f32_e64 v6, |v45|, |v45|
	s_delay_alu instid0(VALU_DEP_1) | instskip(SKIP_1) | instid1(VALU_DEP_2)
	v_mul_f32_e32 v7, 0x3fb8aa3b, v6
	v_cmp_ngt_f32_e32 vcc_lo, 0xc2ce8ed0, v6
	v_rndne_f32_e32 v8, v7
	v_fma_f32 v9, 0x3fb8aa3b, v6, -v7
	s_delay_alu instid0(VALU_DEP_2) | instskip(NEXT) | instid1(VALU_DEP_2)
	v_sub_f32_e32 v7, v7, v8
	v_fmac_f32_e32 v9, 0x32a5705f, v6
	v_cvt_i32_f32_e32 v8, v8
	s_delay_alu instid0(VALU_DEP_2) | instskip(NEXT) | instid1(VALU_DEP_1)
	v_add_f32_e32 v7, v7, v9
	v_exp_f32_e32 v7, v7
	v_nop
	s_delay_alu instid0(TRANS32_DEP_1) | instskip(NEXT) | instid1(VALU_DEP_1)
	v_ldexp_f32 v7, v7, v8
	v_cndmask_b32_e32 v7, 0, v7, vcc_lo
	v_cmp_nlt_f32_e32 vcc_lo, 0x42b17218, v6
	s_delay_alu instid0(VALU_DEP_2) | instskip(NEXT) | instid1(VALU_DEP_1)
	v_cndmask_b32_e32 v6, 0x7f800000, v7, vcc_lo
	v_add_f32_e32 v6, 1.0, v6
	s_delay_alu instid0(VALU_DEP_1) | instskip(SKIP_1) | instid1(TRANS32_DEP_1)
	v_rcp_f32_e32 v6, v6
	v_nop
	v_fma_f32 v6, v6, -2.0, 1.0
.LBB72_47:                              ;   in Loop: Header=BB72_9 Depth=1
	s_and_not1_saveexec_b32 s25, s25
	s_cbranch_execz .LBB72_49
; %bb.48:                               ;   in Loop: Header=BB72_9 Depth=1
	v_mul_f32_e32 v6, v45, v45
	s_delay_alu instid0(VALU_DEP_1) | instskip(NEXT) | instid1(VALU_DEP_1)
	v_fmaak_f32 v7, s3, v6, 0x3ca908c9
	v_fmaak_f32 v7, v6, v7, 0xbd5c1c4e
	s_delay_alu instid0(VALU_DEP_1) | instskip(NEXT) | instid1(VALU_DEP_1)
	v_fmaak_f32 v7, v6, v7, 0x3e088382
	v_fmaak_f32 v7, v6, v7, 0xbeaaaa99
	s_delay_alu instid0(VALU_DEP_1) | instskip(NEXT) | instid1(VALU_DEP_1)
	v_mul_f32_e64 v7, |v45|, v7
	v_fma_f32 v6, v6, v7, |v45|
.LBB72_49:                              ;   in Loop: Header=BB72_9 Depth=1
	s_or_b32 exec_lo, exec_lo, s25
	v_cmp_ngt_f32_e64 s25, 0x3f200000, |v46|
                                        ; implicit-def: $vgpr7
	s_and_saveexec_b32 s26, s25
	s_delay_alu instid0(SALU_CYCLE_1)
	s_xor_b32 s25, exec_lo, s26
	s_cbranch_execz .LBB72_51
; %bb.50:                               ;   in Loop: Header=BB72_9 Depth=1
	v_add_f32_e64 v7, |v46|, |v46|
	s_delay_alu instid0(VALU_DEP_1) | instskip(SKIP_1) | instid1(VALU_DEP_2)
	v_mul_f32_e32 v8, 0x3fb8aa3b, v7
	v_cmp_ngt_f32_e32 vcc_lo, 0xc2ce8ed0, v7
	v_rndne_f32_e32 v9, v8
	v_fma_f32 v10, 0x3fb8aa3b, v7, -v8
	s_delay_alu instid0(VALU_DEP_2) | instskip(NEXT) | instid1(VALU_DEP_2)
	v_sub_f32_e32 v8, v8, v9
	v_fmac_f32_e32 v10, 0x32a5705f, v7
	v_cvt_i32_f32_e32 v9, v9
	s_delay_alu instid0(VALU_DEP_2) | instskip(NEXT) | instid1(VALU_DEP_1)
	v_add_f32_e32 v8, v8, v10
	v_exp_f32_e32 v8, v8
	v_nop
	s_delay_alu instid0(TRANS32_DEP_1) | instskip(NEXT) | instid1(VALU_DEP_1)
	v_ldexp_f32 v8, v8, v9
	v_cndmask_b32_e32 v8, 0, v8, vcc_lo
	v_cmp_nlt_f32_e32 vcc_lo, 0x42b17218, v7
	s_delay_alu instid0(VALU_DEP_2) | instskip(NEXT) | instid1(VALU_DEP_1)
	v_cndmask_b32_e32 v7, 0x7f800000, v8, vcc_lo
	v_add_f32_e32 v7, 1.0, v7
	s_delay_alu instid0(VALU_DEP_1) | instskip(SKIP_1) | instid1(TRANS32_DEP_1)
	v_rcp_f32_e32 v7, v7
	v_nop
	v_fma_f32 v7, v7, -2.0, 1.0
.LBB72_51:                              ;   in Loop: Header=BB72_9 Depth=1
	s_and_not1_saveexec_b32 s25, s25
	s_cbranch_execz .LBB72_53
; %bb.52:                               ;   in Loop: Header=BB72_9 Depth=1
	v_mul_f32_e32 v7, v46, v46
	s_delay_alu instid0(VALU_DEP_1) | instskip(NEXT) | instid1(VALU_DEP_1)
	v_fmaak_f32 v8, s3, v7, 0x3ca908c9
	v_fmaak_f32 v8, v7, v8, 0xbd5c1c4e
	s_delay_alu instid0(VALU_DEP_1) | instskip(NEXT) | instid1(VALU_DEP_1)
	v_fmaak_f32 v8, v7, v8, 0x3e088382
	v_fmaak_f32 v8, v7, v8, 0xbeaaaa99
	s_delay_alu instid0(VALU_DEP_1) | instskip(NEXT) | instid1(VALU_DEP_1)
	v_mul_f32_e64 v8, |v46|, v8
	v_fma_f32 v7, v7, v8, |v46|
.LBB72_53:                              ;   in Loop: Header=BB72_9 Depth=1
	s_or_b32 exec_lo, exec_lo, s25
	v_cmp_ngt_f32_e64 s25, 0x3f200000, |v56|
                                        ; implicit-def: $vgpr8
	s_and_saveexec_b32 s26, s25
	s_delay_alu instid0(SALU_CYCLE_1)
	s_xor_b32 s25, exec_lo, s26
	s_cbranch_execz .LBB72_55
; %bb.54:                               ;   in Loop: Header=BB72_9 Depth=1
	v_add_f32_e64 v8, |v56|, |v56|
	s_delay_alu instid0(VALU_DEP_1) | instskip(SKIP_1) | instid1(VALU_DEP_2)
	v_mul_f32_e32 v9, 0x3fb8aa3b, v8
	v_cmp_ngt_f32_e32 vcc_lo, 0xc2ce8ed0, v8
	v_rndne_f32_e32 v10, v9
	v_fma_f32 v11, 0x3fb8aa3b, v8, -v9
	s_delay_alu instid0(VALU_DEP_2) | instskip(NEXT) | instid1(VALU_DEP_2)
	v_sub_f32_e32 v9, v9, v10
	v_fmac_f32_e32 v11, 0x32a5705f, v8
	v_cvt_i32_f32_e32 v10, v10
	s_delay_alu instid0(VALU_DEP_2) | instskip(NEXT) | instid1(VALU_DEP_1)
	v_add_f32_e32 v9, v9, v11
	v_exp_f32_e32 v9, v9
	v_nop
	s_delay_alu instid0(TRANS32_DEP_1) | instskip(NEXT) | instid1(VALU_DEP_1)
	v_ldexp_f32 v9, v9, v10
	v_cndmask_b32_e32 v9, 0, v9, vcc_lo
	v_cmp_nlt_f32_e32 vcc_lo, 0x42b17218, v8
	s_delay_alu instid0(VALU_DEP_2) | instskip(NEXT) | instid1(VALU_DEP_1)
	v_cndmask_b32_e32 v8, 0x7f800000, v9, vcc_lo
	v_add_f32_e32 v8, 1.0, v8
	s_delay_alu instid0(VALU_DEP_1) | instskip(SKIP_1) | instid1(TRANS32_DEP_1)
	v_rcp_f32_e32 v8, v8
	v_nop
	v_fma_f32 v8, v8, -2.0, 1.0
.LBB72_55:                              ;   in Loop: Header=BB72_9 Depth=1
	s_and_not1_saveexec_b32 s25, s25
	s_cbranch_execz .LBB72_57
; %bb.56:                               ;   in Loop: Header=BB72_9 Depth=1
	v_mul_f32_e32 v8, v56, v56
	s_delay_alu instid0(VALU_DEP_1) | instskip(NEXT) | instid1(VALU_DEP_1)
	v_fmaak_f32 v9, s3, v8, 0x3ca908c9
	v_fmaak_f32 v9, v8, v9, 0xbd5c1c4e
	s_delay_alu instid0(VALU_DEP_1) | instskip(NEXT) | instid1(VALU_DEP_1)
	v_fmaak_f32 v9, v8, v9, 0x3e088382
	v_fmaak_f32 v9, v8, v9, 0xbeaaaa99
	s_delay_alu instid0(VALU_DEP_1) | instskip(NEXT) | instid1(VALU_DEP_1)
	v_mul_f32_e64 v9, |v56|, v9
	v_fma_f32 v8, v8, v9, |v56|
.LBB72_57:                              ;   in Loop: Header=BB72_9 Depth=1
	s_or_b32 exec_lo, exec_lo, s25
	v_bfi_b32 v5, 0x7fffffff, v5, v44
	v_bfi_b32 v6, 0x7fffffff, v6, v45
	;; [unrolled: 1-line block ×3, first 2 shown]
	v_cmp_ngt_f32_e64 s25, 0x3f200000, |v52|
	s_delay_alu instid0(VALU_DEP_3) | instskip(SKIP_1) | instid1(VALU_DEP_4)
	v_dual_fma_f32 v46, s24, v5, v25 :: v_dual_fma_f32 v45, s24, v6, v24
	v_bfi_b32 v5, 0x7fffffff, v8, v56
	v_fma_f32 v44, s24, v7, v23
	s_delay_alu instid0(VALU_DEP_3) | instskip(NEXT) | instid1(VALU_DEP_3)
	v_dual_add_f32 v6, 0x40051340, v46 :: v_dual_add_f32 v7, 0x40051340, v45
	v_fma_f32 v31, s24, v5, v22
	s_delay_alu instid0(VALU_DEP_3) | instskip(NEXT) | instid1(VALU_DEP_3)
	v_add_f32_e32 v5, 0x40051340, v44
	v_max3_num_f32 v6, v41, v6, v7
	s_delay_alu instid0(VALU_DEP_3) | instskip(NEXT) | instid1(VALU_DEP_1)
	v_add_f32_e32 v7, 0x40051340, v31
	v_max3_num_f32 v5, v6, v5, v7
                                        ; implicit-def: $vgpr7
	ds_bpermute_b32 v6, v0, v5
	s_wait_dscnt 0x0
	v_max_num_f32_e32 v6, v6, v6
	s_delay_alu instid0(VALU_DEP_1) | instskip(SKIP_3) | instid1(VALU_DEP_1)
	v_max_num_f32_e32 v5, v5, v6
	ds_bpermute_b32 v6, v30, v5
	s_wait_dscnt 0x0
	v_max_num_f32_e32 v6, v6, v6
	v_max_num_f32_e32 v5, v5, v6
	ds_bpermute_b32 v6, v21, v5
	s_wait_dscnt 0x0
	v_max_num_f32_e32 v6, v6, v6
	s_delay_alu instid0(VALU_DEP_1) | instskip(SKIP_3) | instid1(VALU_DEP_1)
	v_max_num_f32_e32 v5, v5, v6
	ds_bpermute_b32 v6, v20, v5
	s_wait_dscnt 0x0
	v_max_num_f32_e32 v6, v6, v6
	v_max_num_f32_e32 v5, v5, v6
	ds_bpermute_b32 v6, v3, v5
	s_and_saveexec_b32 s26, s25
	s_delay_alu instid0(SALU_CYCLE_1)
	s_xor_b32 s25, exec_lo, s26
	s_cbranch_execz .LBB72_59
; %bb.58:                               ;   in Loop: Header=BB72_9 Depth=1
	v_add_f32_e64 v7, |v52|, |v52|
	s_delay_alu instid0(VALU_DEP_1) | instskip(SKIP_1) | instid1(VALU_DEP_2)
	v_mul_f32_e32 v8, 0x3fb8aa3b, v7
	v_cmp_ngt_f32_e32 vcc_lo, 0xc2ce8ed0, v7
	v_rndne_f32_e32 v9, v8
	v_fma_f32 v10, 0x3fb8aa3b, v7, -v8
	s_delay_alu instid0(VALU_DEP_2) | instskip(NEXT) | instid1(VALU_DEP_2)
	v_sub_f32_e32 v8, v8, v9
	v_fmac_f32_e32 v10, 0x32a5705f, v7
	v_cvt_i32_f32_e32 v9, v9
	s_delay_alu instid0(VALU_DEP_2) | instskip(NEXT) | instid1(VALU_DEP_1)
	v_add_f32_e32 v8, v8, v10
	v_exp_f32_e32 v8, v8
	v_nop
	s_delay_alu instid0(TRANS32_DEP_1) | instskip(NEXT) | instid1(VALU_DEP_1)
	v_ldexp_f32 v8, v8, v9
	v_cndmask_b32_e32 v8, 0, v8, vcc_lo
	v_cmp_nlt_f32_e32 vcc_lo, 0x42b17218, v7
	s_delay_alu instid0(VALU_DEP_2) | instskip(NEXT) | instid1(VALU_DEP_1)
	v_cndmask_b32_e32 v7, 0x7f800000, v8, vcc_lo
	v_add_f32_e32 v7, 1.0, v7
	s_delay_alu instid0(VALU_DEP_1) | instskip(SKIP_1) | instid1(TRANS32_DEP_1)
	v_rcp_f32_e32 v7, v7
	v_nop
	v_fma_f32 v7, v7, -2.0, 1.0
.LBB72_59:                              ;   in Loop: Header=BB72_9 Depth=1
	s_and_not1_saveexec_b32 s25, s25
	s_cbranch_execz .LBB72_61
; %bb.60:                               ;   in Loop: Header=BB72_9 Depth=1
	v_mul_f32_e32 v7, v52, v52
	s_delay_alu instid0(VALU_DEP_1) | instskip(NEXT) | instid1(VALU_DEP_1)
	v_fmaak_f32 v8, s3, v7, 0x3ca908c9
	v_fmaak_f32 v8, v7, v8, 0xbd5c1c4e
	s_delay_alu instid0(VALU_DEP_1) | instskip(NEXT) | instid1(VALU_DEP_1)
	v_fmaak_f32 v8, v7, v8, 0x3e088382
	v_fmaak_f32 v8, v7, v8, 0xbeaaaa99
	s_delay_alu instid0(VALU_DEP_1) | instskip(NEXT) | instid1(VALU_DEP_1)
	v_mul_f32_e64 v8, |v52|, v8
	v_fma_f32 v7, v7, v8, |v52|
.LBB72_61:                              ;   in Loop: Header=BB72_9 Depth=1
	s_or_b32 exec_lo, exec_lo, s25
	v_cmp_ngt_f32_e64 s25, 0x3f200000, |v53|
                                        ; implicit-def: $vgpr8
	s_and_saveexec_b32 s26, s25
	s_delay_alu instid0(SALU_CYCLE_1)
	s_xor_b32 s25, exec_lo, s26
	s_cbranch_execz .LBB72_63
; %bb.62:                               ;   in Loop: Header=BB72_9 Depth=1
	v_add_f32_e64 v8, |v53|, |v53|
	s_delay_alu instid0(VALU_DEP_1) | instskip(SKIP_1) | instid1(VALU_DEP_2)
	v_mul_f32_e32 v9, 0x3fb8aa3b, v8
	v_cmp_ngt_f32_e32 vcc_lo, 0xc2ce8ed0, v8
	v_rndne_f32_e32 v10, v9
	v_fma_f32 v11, 0x3fb8aa3b, v8, -v9
	s_delay_alu instid0(VALU_DEP_2) | instskip(NEXT) | instid1(VALU_DEP_2)
	v_sub_f32_e32 v9, v9, v10
	v_fmac_f32_e32 v11, 0x32a5705f, v8
	v_cvt_i32_f32_e32 v10, v10
	s_delay_alu instid0(VALU_DEP_2) | instskip(NEXT) | instid1(VALU_DEP_1)
	v_add_f32_e32 v9, v9, v11
	v_exp_f32_e32 v9, v9
	v_nop
	s_delay_alu instid0(TRANS32_DEP_1) | instskip(NEXT) | instid1(VALU_DEP_1)
	v_ldexp_f32 v9, v9, v10
	v_cndmask_b32_e32 v9, 0, v9, vcc_lo
	v_cmp_nlt_f32_e32 vcc_lo, 0x42b17218, v8
	s_delay_alu instid0(VALU_DEP_2) | instskip(NEXT) | instid1(VALU_DEP_1)
	v_cndmask_b32_e32 v8, 0x7f800000, v9, vcc_lo
	v_add_f32_e32 v8, 1.0, v8
	s_delay_alu instid0(VALU_DEP_1) | instskip(SKIP_1) | instid1(TRANS32_DEP_1)
	v_rcp_f32_e32 v8, v8
	v_nop
	v_fma_f32 v8, v8, -2.0, 1.0
.LBB72_63:                              ;   in Loop: Header=BB72_9 Depth=1
	s_and_not1_saveexec_b32 s25, s25
	s_cbranch_execz .LBB72_65
; %bb.64:                               ;   in Loop: Header=BB72_9 Depth=1
	v_mul_f32_e32 v8, v53, v53
	s_delay_alu instid0(VALU_DEP_1) | instskip(NEXT) | instid1(VALU_DEP_1)
	v_fmaak_f32 v9, s3, v8, 0x3ca908c9
	v_fmaak_f32 v9, v8, v9, 0xbd5c1c4e
	s_delay_alu instid0(VALU_DEP_1) | instskip(NEXT) | instid1(VALU_DEP_1)
	v_fmaak_f32 v9, v8, v9, 0x3e088382
	v_fmaak_f32 v9, v8, v9, 0xbeaaaa99
	s_delay_alu instid0(VALU_DEP_1) | instskip(NEXT) | instid1(VALU_DEP_1)
	v_mul_f32_e64 v9, |v53|, v9
	v_fma_f32 v8, v8, v9, |v53|
.LBB72_65:                              ;   in Loop: Header=BB72_9 Depth=1
	s_or_b32 exec_lo, exec_lo, s25
	v_cmp_ngt_f32_e64 s25, 0x3f200000, |v54|
                                        ; implicit-def: $vgpr9
	s_and_saveexec_b32 s26, s25
	s_delay_alu instid0(SALU_CYCLE_1)
	s_xor_b32 s25, exec_lo, s26
	s_cbranch_execz .LBB72_67
; %bb.66:                               ;   in Loop: Header=BB72_9 Depth=1
	v_add_f32_e64 v9, |v54|, |v54|
	s_delay_alu instid0(VALU_DEP_1) | instskip(SKIP_1) | instid1(VALU_DEP_2)
	v_mul_f32_e32 v10, 0x3fb8aa3b, v9
	v_cmp_ngt_f32_e32 vcc_lo, 0xc2ce8ed0, v9
	v_rndne_f32_e32 v11, v10
	v_fma_f32 v12, 0x3fb8aa3b, v9, -v10
	s_delay_alu instid0(VALU_DEP_2) | instskip(NEXT) | instid1(VALU_DEP_2)
	v_sub_f32_e32 v10, v10, v11
	v_fmac_f32_e32 v12, 0x32a5705f, v9
	v_cvt_i32_f32_e32 v11, v11
	s_delay_alu instid0(VALU_DEP_2) | instskip(NEXT) | instid1(VALU_DEP_1)
	v_add_f32_e32 v10, v10, v12
	v_exp_f32_e32 v10, v10
	v_nop
	s_delay_alu instid0(TRANS32_DEP_1) | instskip(NEXT) | instid1(VALU_DEP_1)
	v_ldexp_f32 v10, v10, v11
	v_cndmask_b32_e32 v10, 0, v10, vcc_lo
	v_cmp_nlt_f32_e32 vcc_lo, 0x42b17218, v9
	s_delay_alu instid0(VALU_DEP_2) | instskip(NEXT) | instid1(VALU_DEP_1)
	v_cndmask_b32_e32 v9, 0x7f800000, v10, vcc_lo
	v_add_f32_e32 v9, 1.0, v9
	s_delay_alu instid0(VALU_DEP_1) | instskip(SKIP_1) | instid1(TRANS32_DEP_1)
	v_rcp_f32_e32 v9, v9
	v_nop
	v_fma_f32 v9, v9, -2.0, 1.0
.LBB72_67:                              ;   in Loop: Header=BB72_9 Depth=1
	s_and_not1_saveexec_b32 s25, s25
	s_cbranch_execz .LBB72_69
; %bb.68:                               ;   in Loop: Header=BB72_9 Depth=1
	v_mul_f32_e32 v9, v54, v54
	s_delay_alu instid0(VALU_DEP_1) | instskip(NEXT) | instid1(VALU_DEP_1)
	v_fmaak_f32 v10, s3, v9, 0x3ca908c9
	v_fmaak_f32 v10, v9, v10, 0xbd5c1c4e
	s_delay_alu instid0(VALU_DEP_1) | instskip(NEXT) | instid1(VALU_DEP_1)
	v_fmaak_f32 v10, v9, v10, 0x3e088382
	v_fmaak_f32 v10, v9, v10, 0xbeaaaa99
	s_delay_alu instid0(VALU_DEP_1) | instskip(NEXT) | instid1(VALU_DEP_1)
	v_mul_f32_e64 v10, |v54|, v10
	v_fma_f32 v9, v9, v10, |v54|
.LBB72_69:                              ;   in Loop: Header=BB72_9 Depth=1
	s_or_b32 exec_lo, exec_lo, s25
	v_cmp_ngt_f32_e64 s25, 0x3f200000, |v55|
                                        ; implicit-def: $vgpr10
	s_and_saveexec_b32 s26, s25
	s_delay_alu instid0(SALU_CYCLE_1)
	s_xor_b32 s25, exec_lo, s26
	s_cbranch_execz .LBB72_71
; %bb.70:                               ;   in Loop: Header=BB72_9 Depth=1
	v_add_f32_e64 v10, |v55|, |v55|
	s_delay_alu instid0(VALU_DEP_1) | instskip(SKIP_1) | instid1(VALU_DEP_2)
	v_mul_f32_e32 v11, 0x3fb8aa3b, v10
	v_cmp_ngt_f32_e32 vcc_lo, 0xc2ce8ed0, v10
	v_rndne_f32_e32 v12, v11
	v_fma_f32 v13, 0x3fb8aa3b, v10, -v11
	s_delay_alu instid0(VALU_DEP_2) | instskip(NEXT) | instid1(VALU_DEP_2)
	v_sub_f32_e32 v11, v11, v12
	v_fmac_f32_e32 v13, 0x32a5705f, v10
	v_cvt_i32_f32_e32 v12, v12
	s_delay_alu instid0(VALU_DEP_2) | instskip(NEXT) | instid1(VALU_DEP_1)
	v_add_f32_e32 v11, v11, v13
	v_exp_f32_e32 v11, v11
	v_nop
	s_delay_alu instid0(TRANS32_DEP_1) | instskip(NEXT) | instid1(VALU_DEP_1)
	v_ldexp_f32 v11, v11, v12
	v_cndmask_b32_e32 v11, 0, v11, vcc_lo
	v_cmp_nlt_f32_e32 vcc_lo, 0x42b17218, v10
	s_delay_alu instid0(VALU_DEP_2) | instskip(NEXT) | instid1(VALU_DEP_1)
	v_cndmask_b32_e32 v10, 0x7f800000, v11, vcc_lo
	v_add_f32_e32 v10, 1.0, v10
	s_delay_alu instid0(VALU_DEP_1) | instskip(SKIP_1) | instid1(TRANS32_DEP_1)
	v_rcp_f32_e32 v10, v10
	v_nop
	v_fma_f32 v10, v10, -2.0, 1.0
.LBB72_71:                              ;   in Loop: Header=BB72_9 Depth=1
	s_and_not1_saveexec_b32 s25, s25
	s_cbranch_execz .LBB72_73
; %bb.72:                               ;   in Loop: Header=BB72_9 Depth=1
	v_mul_f32_e32 v10, v55, v55
	s_delay_alu instid0(VALU_DEP_1) | instskip(NEXT) | instid1(VALU_DEP_1)
	v_fmaak_f32 v11, s3, v10, 0x3ca908c9
	v_fmaak_f32 v11, v10, v11, 0xbd5c1c4e
	s_delay_alu instid0(VALU_DEP_1) | instskip(NEXT) | instid1(VALU_DEP_1)
	v_fmaak_f32 v11, v10, v11, 0x3e088382
	v_fmaak_f32 v11, v10, v11, 0xbeaaaa99
	s_delay_alu instid0(VALU_DEP_1) | instskip(NEXT) | instid1(VALU_DEP_1)
	v_mul_f32_e64 v11, |v55|, v11
	v_fma_f32 v10, v10, v11, |v55|
.LBB72_73:                              ;   in Loop: Header=BB72_9 Depth=1
	s_or_b32 exec_lo, exec_lo, s25
	v_bfi_b32 v7, 0x7fffffff, v7, v52
	v_bfi_b32 v8, 0x7fffffff, v8, v53
	;; [unrolled: 1-line block ×4, first 2 shown]
	s_wait_dscnt 0x0
	v_dual_max_num_f32 v58, v6, v6 :: v_dual_fmac_f32 v25, s24, v7
	s_delay_alu instid0(VALU_DEP_3) | instskip(NEXT) | instid1(VALU_DEP_3)
	v_dual_fmac_f32 v24, s24, v8 :: v_dual_fmac_f32 v23, s24, v9
	v_fmac_f32_e32 v22, s24, v10
	s_mul_u64 s[26:27], s[4:5], s[10:11]
	s_delay_alu instid0(VALU_DEP_2) | instskip(NEXT) | instid1(VALU_DEP_2)
	v_dual_add_f32 v6, 0x40051340, v25 :: v_dual_add_f32 v7, 0x40051340, v24
	v_dual_max_num_f32 v59, v5, v5 :: v_dual_add_f32 v8, 0x40051340, v22
	v_add_f32_e32 v5, 0x40051340, v23
	s_lshl_b64 s[26:27], s[26:27], 2
	s_delay_alu instid0(VALU_DEP_3) | instskip(SKIP_3) | instid1(VALU_DEP_3)
	v_max3_num_f32 v6, v40, v6, v7
	s_add_nc_u64 s[26:27], s[8:9], s[26:27]
	v_dual_max_num_f32 v60, v4, v4 :: v_dual_max_num_f32 v2, v2, v2
	v_add_nc_u64_e32 v[10:11], s[26:27], v[92:93]
	v_max3_num_f32 v61, v6, v5, v8
	v_add_nc_u64_e32 v[4:5], s[26:27], v[86:87]
	v_add_nc_u64_e32 v[6:7], s[26:27], v[88:89]
	;; [unrolled: 1-line block ×3, first 2 shown]
	v_max_num_f32_e32 v63, v1, v1
	ds_bpermute_b32 v62, v0, v61
	v_add_nc_u64_e32 v[56:57], v[10:11], v[78:79]
	s_wait_dscnt 0x0
	v_add_nc_u64_e32 v[0:1], v[4:5], v[78:79]
	v_add_nc_u64_e32 v[52:53], v[6:7], v[78:79]
	;; [unrolled: 1-line block ×3, first 2 shown]
	s_barrier_signal -1
	s_barrier_wait -1
	s_clause 0x3
	global_load_b128 v[4:7], v[0:1], off
	global_load_b128 v[8:11], v[52:53], off
	;; [unrolled: 1-line block ×4, first 2 shown]
	s_wait_xcnt 0x3
	v_max_num_f32_e32 v1, v51, v51
	v_max_num_f32_e32 v0, v63, v2
	s_or_b32 s26, s4, 64
	s_delay_alu instid0(SALU_CYCLE_1) | instskip(NEXT) | instid1(VALU_DEP_2)
	s_ashr_i32 s27, s26, 31
	v_max_num_f32_e32 v1, v1, v60
	s_wait_xcnt 0x2
	v_dual_sub_f32 v26, v26, v0 :: v_dual_sub_f32 v52, v28, v0
	v_dual_sub_f32 v27, v27, v0 :: v_dual_max_num_f32 v51, v62, v62
	v_sub_f32_e32 v29, v29, v0
	v_dual_sub_f32 v49, v49, v1 :: v_dual_max_num_f32 v2, v59, v58
	s_delay_alu instid0(VALU_DEP_3)
	v_dual_sub_f32 v42, v42, v0 :: v_dual_max_num_f32 v28, v61, v51
	v_sub_f32_e32 v51, v43, v1
	v_sub_f32_e32 v43, v47, v1
	s_wait_xcnt 0x1
	v_dual_mul_f32 v53, 0x3fb8aa3b, v27 :: v_dual_mul_f32 v54, 0x3fb8aa3b, v52
	ds_bpermute_b32 v30, v30, v28
	v_mul_f32_e32 v61, 0x3fb8aa3b, v51
	v_dual_sub_f32 v47, v48, v1 :: v_dual_sub_f32 v50, v50, v1
	v_rndne_f32_e32 v65, v53
	v_fma_f32 v64, 0x3fb8aa3b, v27, -v53
	v_mul_f32_e32 v48, 0x3fb8aa3b, v26
	v_fma_f32 v66, 0x3fb8aa3b, v52, -v54
	s_wait_xcnt 0x0
	v_dual_mul_f32 v55, 0x3fb8aa3b, v29 :: v_dual_mul_f32 v56, 0x3fb8aa3b, v42
	v_dual_mul_f32 v57, 0x3fb8aa3b, v43 :: v_dual_mul_f32 v60, 0x3fb8aa3b, v49
	v_rndne_f32_e32 v63, v48
	v_fma_f32 v62, 0x3fb8aa3b, v26, -v48
	v_dual_mul_f32 v58, 0x3fb8aa3b, v47 :: v_dual_mul_f32 v59, 0x3fb8aa3b, v50
	v_rndne_f32_e32 v67, v54
	v_fma_f32 v118, 0x3fb8aa3b, v42, -v56
	v_rndne_f32_e32 v119, v56
	v_rndne_f32_e32 v121, v57
	s_wait_dscnt 0x0
	v_max_num_f32_e32 v30, v30, v30
	v_fma_f32 v120, 0x3fb8aa3b, v43, -v57
	v_rndne_f32_e32 v122, v58
	v_fma_f32 v123, 0x3fb8aa3b, v50, -v59
	s_delay_alu instid0(VALU_DEP_4) | instskip(SKIP_1) | instid1(VALU_DEP_3)
	v_dual_sub_f32 v53, v53, v65 :: v_dual_max_num_f32 v28, v28, v30
	v_dual_fmac_f32 v64, 0x32a5705f, v27 :: v_dual_sub_f32 v57, v57, v121
	v_dual_sub_f32 v54, v54, v67 :: v_dual_fmac_f32 v123, 0x32a5705f, v50
	ds_bpermute_b32 v21, v21, v28
	v_sub_f32_e32 v48, v48, v63
	v_dual_fmac_f32 v118, 0x32a5705f, v42 :: v_dual_add_f32 v53, v53, v64
	v_sub_f32_e32 v56, v56, v119
	v_fma_f32 v116, 0x3fb8aa3b, v29, -v55
	v_rndne_f32_e32 v117, v55
	v_fma_f32 v30, 0x3fb8aa3b, v47, -v58
	v_rndne_f32_e32 v124, v59
	v_fmac_f32_e32 v62, 0x32a5705f, v26
	v_fmac_f32_e32 v116, 0x32a5705f, v29
	v_sub_f32_e32 v55, v55, v117
	v_cvt_i32_f32_e32 v119, v119
	v_dual_sub_f32 v59, v59, v124 :: v_dual_fmac_f32 v120, 0x32a5705f, v43
	v_cmp_ngt_f32_e32 vcc_lo, 0xc2ce8ed0, v42
	s_delay_alu instid0(VALU_DEP_4) | instskip(SKIP_1) | instid1(VALU_DEP_4)
	v_dual_add_f32 v55, v55, v116 :: v_dual_fmac_f32 v30, 0x32a5705f, v47
	v_cvt_i32_f32_e32 v63, v63
	v_add_f32_e32 v57, v57, v120
	s_wait_dscnt 0x0
	v_dual_max_num_f32 v21, v21, v21 :: v_dual_fmac_f32 v66, 0x32a5705f, v52
	v_add_f32_e32 v48, v48, v62
	v_exp_f32_e32 v53, v53
	v_cvt_i32_f32_e32 v65, v65
	s_delay_alu instid0(VALU_DEP_3)
	v_dual_max_num_f32 v21, v28, v21 :: v_dual_sub_f32 v28, v58, v122
	v_cvt_i32_f32_e32 v58, v122
	v_cvt_i32_f32_e32 v67, v67
	v_exp_f32_e32 v55, v55
	ds_bpermute_b32 v20, v20, v21
	v_add_f32_e32 v54, v54, v66
	v_ldexp_f32 v53, v53, v65
	v_cvt_i32_f32_e32 v117, v117
	v_exp_f32_e32 v57, v57
	v_cvt_i32_f32_e32 v121, v121
	v_rndne_f32_e32 v126, v60
	v_fma_f32 v125, 0x3fb8aa3b, v49, -v60
	v_ldexp_f32 v55, v55, v117
	v_fma_f32 v127, 0x3fb8aa3b, v51, -v61
	v_rndne_f32_e32 v128, v61
	v_ldexp_f32 v57, v57, v121
	v_dual_sub_f32 v31, v31, v2 :: v_dual_sub_f32 v41, v41, v2
	s_delay_alu instid0(VALU_DEP_4)
	v_fmac_f32_e32 v127, 0x32a5705f, v51
	v_add_nc_u32_e32 v116, 0x800, v96
	v_add_nc_u32_e32 v117, 0x1000, v96
	;; [unrolled: 1-line block ×3, first 2 shown]
	s_mul_u64 s[26:27], s[26:27], s[10:11]
	v_add_nc_u32_e32 v121, 0x3000, v96
	s_wait_dscnt 0x0
	v_max_num_f32_e32 v20, v20, v20
	v_add_f32_e32 v56, v56, v118
	v_exp_f32_e32 v54, v54
	v_add_nc_u32_e32 v118, 0x1800, v96
	s_lshl_b64 s[26:27], s[26:27], 2
	v_max_num_f32_e32 v21, v21, v20
	v_exp_f32_e32 v56, v56
	s_add_nc_u64 s[26:27], s[8:9], s[26:27]
	v_sub_f32_e32 v46, v46, v2
	v_ldexp_f32 v54, v54, v67
	ds_bpermute_b32 v3, v3, v21
	v_add_nc_u64_e32 v[142:143], s[26:27], v[86:87]
	v_add_nc_u64_e32 v[144:145], s[26:27], v[88:89]
	v_ldexp_f32 v56, v56, v119
	v_dual_add_f32 v28, v28, v30 :: v_dual_add_f32 v30, v59, v123
	v_exp_f32_e32 v48, v48
	v_add_nc_u32_e32 v119, 0x2000, v96
	s_delay_alu instid0(VALU_DEP_3) | instskip(NEXT) | instid1(VALU_DEP_3)
	v_cndmask_b32_e32 v20, 0, v56, vcc_lo
	v_exp_f32_e32 v28, v28
	v_cmp_ngt_f32_e32 vcc_lo, 0xc2ce8ed0, v26
	v_exp_f32_e32 v30, v30
	v_add_nc_u64_e32 v[146:147], s[26:27], v[90:91]
	v_ldexp_f32 v48, v48, v63
	v_add_nc_u64_e32 v[148:149], s[26:27], v[92:93]
	v_add_nc_u64_e32 v[142:143], v[142:143], v[78:79]
	v_ldexp_f32 v58, v28, v58
	s_delay_alu instid0(VALU_DEP_4)
	v_dual_fmac_f32 v125, 0x32a5705f, v49 :: v_dual_cndmask_b32 v28, 0, v48
	v_cmp_ngt_f32_e32 vcc_lo, 0xc2ce8ed0, v27
	s_wait_dscnt 0x0
	v_max_num_f32_e32 v3, v3, v3
	v_add_nc_u64_e32 v[150:151], v[144:145], v[78:79]
	v_add_nc_u64_e32 v[152:153], v[146:147], v[78:79]
	;; [unrolled: 1-line block ×3, first 2 shown]
	v_cndmask_b32_e32 v48, 0, v53, vcc_lo
	v_cmp_nlt_f32_e32 vcc_lo, 0x42b17218, v42
	v_max_num_f32_e32 v3, v21, v3
	v_cvt_i32_f32_e32 v21, v124
	v_cndmask_b32_e32 v20, 0x7f800000, v20, vcc_lo
	v_cmp_ngt_f32_e32 vcc_lo, 0xc2ce8ed0, v52
	s_delay_alu instid0(VALU_DEP_3)
	v_ldexp_f32 v21, v30, v21
	v_dual_sub_f32 v22, v22, v3 :: v_dual_sub_f32 v23, v23, v3
	v_cndmask_b32_e32 v42, 0, v54, vcc_lo
	v_cmp_ngt_f32_e32 vcc_lo, 0xc2ce8ed0, v29
	v_cvt_f16_f32_e32 v54, v20
	v_cndmask_b32_e32 v53, 0, v55, vcc_lo
	v_cmp_ngt_f32_e32 vcc_lo, 0xc2ce8ed0, v43
	s_delay_alu instid0(VALU_DEP_3) | instskip(SKIP_2) | instid1(VALU_DEP_3)
	v_and_b32_e32 v54, 0xffff, v54
	v_cndmask_b32_e32 v55, 0, v57, vcc_lo
	v_cmp_nlt_f32_e32 vcc_lo, 0x42b17218, v26
	v_mul_u32_u24_e32 v56, 0x10001, v54
	v_cndmask_b32_e32 v26, 0x7f800000, v28, vcc_lo
	v_cmp_nlt_f32_e32 vcc_lo, 0x42b17218, v27
	s_delay_alu instid0(VALU_DEP_3)
	v_pk_mul_f16 v39, v39, v56
	v_cndmask_b32_e32 v28, 0x7f800000, v48, vcc_lo
	v_cmp_nlt_f32_e32 vcc_lo, 0x42b17218, v52
	v_cndmask_b32_e32 v42, 0x7f800000, v42, vcc_lo
	v_cmp_nlt_f32_e32 vcc_lo, 0x42b17218, v29
	v_dual_sub_f32 v29, v60, v126 :: v_dual_cndmask_b32 v48, 0x7f800000, v53
	v_cmp_nlt_f32_e32 vcc_lo, 0x42b17218, v43
	v_sub_f32_e32 v43, v61, v128
	v_cvt_i32_f32_e32 v53, v126
	v_cndmask_b32_e32 v27, 0x7f800000, v55, vcc_lo
	v_cmp_ngt_f32_e32 vcc_lo, 0xc2ce8ed0, v47
	s_delay_alu instid0(VALU_DEP_4) | instskip(SKIP_2) | instid1(VALU_DEP_3)
	v_dual_add_f32 v43, v43, v127 :: v_dual_cndmask_b32 v52, 0, v58
	v_add_f32_e32 v29, v29, v125
	v_cmp_nlt_f32_e32 vcc_lo, 0x42b17218, v47
	v_exp_f32_e32 v43, v43
	v_cvt_i32_f32_e32 v47, v128
	s_delay_alu instid0(VALU_DEP_3)
	v_exp_f32_e32 v30, v29
	v_nop
	v_cndmask_b32_e32 v29, 0x7f800000, v52, vcc_lo
	v_cmp_ngt_f32_e32 vcc_lo, 0xc2ce8ed0, v50
	v_mul_f32_e32 v52, 0x3fb8aa3b, v46
	v_ldexp_f32 v43, v43, v47
	v_cndmask_b32_e32 v21, 0, v21, vcc_lo
	v_cmp_ngt_f32_e32 vcc_lo, 0xc2ce8ed0, v51
	v_sub_f32_e32 v45, v45, v2
	v_ldexp_f32 v30, v30, v53
	v_fma_f32 v47, 0x3fb8aa3b, v46, -v52
	v_rndne_f32_e32 v53, v52
	v_cndmask_b32_e32 v54, 0, v43, vcc_lo
	v_cmp_nlt_f32_e32 vcc_lo, 0x42b17218, v50
	s_delay_alu instid0(VALU_DEP_3) | instskip(SKIP_3) | instid1(VALU_DEP_1)
	v_sub_f32_e32 v52, v52, v53
	v_cndmask_b32_e32 v43, 0x7f800000, v21, vcc_lo
	v_cmp_ngt_f32_e32 vcc_lo, 0xc2ce8ed0, v49
	v_dual_mul_f32 v55, 0x3fb8aa3b, v45 :: v_dual_cndmask_b32 v30, 0, v30
	v_fma_f32 v50, 0x3fb8aa3b, v45, -v55
	v_fmac_f32_e32 v47, 0x32a5705f, v46
	v_cmp_nlt_f32_e32 vcc_lo, 0x42b17218, v51
	v_rndne_f32_e32 v51, v55
	s_delay_alu instid0(VALU_DEP_3) | instskip(SKIP_3) | instid1(VALU_DEP_3)
	v_dual_fmac_f32 v50, 0x32a5705f, v45 :: v_dual_add_f32 v47, v52, v47
	v_sub_f32_e32 v52, v44, v2
	v_cndmask_b32_e32 v21, 0x7f800000, v54, vcc_lo
	v_cmp_nlt_f32_e32 vcc_lo, 0x42b17218, v49
	v_mul_f32_e32 v54, 0x3fb8aa3b, v52
	v_exp_f32_e32 v44, v47
	v_nop
	v_cvt_i32_f32_e32 v47, v53
	v_cndmask_b32_e32 v49, 0x7f800000, v30, vcc_lo
	v_cmp_ngt_f32_e32 vcc_lo, 0xc2ce8ed0, v46
	s_delay_alu instid0(TRANS32_DEP_1) | instid1(VALU_DEP_3)
	v_ldexp_f32 v30, v44, v47
	v_sub_f32_e32 v53, v55, v51
	v_fma_f32 v47, 0x3fb8aa3b, v52, -v54
	v_cvt_i32_f32_e32 v51, v51
	s_delay_alu instid0(VALU_DEP_4) | instskip(NEXT) | instid1(VALU_DEP_4)
	v_cndmask_b32_e32 v30, 0, v30, vcc_lo
	v_add_f32_e32 v44, v53, v50
	v_rndne_f32_e32 v50, v54
	v_cmp_nlt_f32_e32 vcc_lo, 0x42b17218, v46
	s_delay_alu instid0(VALU_DEP_3) | instskip(NEXT) | instid1(VALU_DEP_2)
	v_exp_f32_e32 v44, v44
	v_dual_sub_f32 v53, v54, v50 :: v_dual_mul_f32 v54, 0x3fb8aa3b, v41
	v_cndmask_b32_e32 v30, 0x7f800000, v30, vcc_lo
	v_cmp_ngt_f32_e32 vcc_lo, 0xc2ce8ed0, v45
	v_cvt_i32_f32_e32 v50, v50
	s_delay_alu instid0(TRANS32_DEP_1) | instskip(SKIP_2) | instid1(VALU_DEP_2)
	v_ldexp_f32 v44, v44, v51
	v_fma_f32 v51, 0x3fb8aa3b, v41, -v54
	v_rndne_f32_e32 v55, v54
	v_dual_cndmask_b32 v44, 0, v44 :: v_dual_fmac_f32 v51, 0x32a5705f, v41
	v_cmp_ngt_f32_e32 vcc_lo, 0xc2ce8ed0, v52
	s_delay_alu instid0(VALU_DEP_3) | instskip(SKIP_1) | instid1(VALU_DEP_2)
	v_dual_fmac_f32 v47, 0x32a5705f, v52 :: v_dual_sub_f32 v54, v54, v55
	v_cvt_f16_f32_e32 v57, v21
	v_add_f32_e32 v47, v53, v47
	s_delay_alu instid0(VALU_DEP_2) | instskip(NEXT) | instid1(VALU_DEP_2)
	v_and_b32_e32 v57, 0xffff, v57
	v_exp_f32_e32 v46, v47
	v_nop
	s_delay_alu instid0(TRANS32_DEP_1) | instskip(SKIP_2) | instid1(VALU_DEP_3)
	v_ldexp_f32 v46, v46, v50
	v_add_f32_e32 v50, v54, v51
	v_cvt_i32_f32_e32 v51, v55
	v_cndmask_b32_e32 v46, 0, v46, vcc_lo
	v_cmp_nlt_f32_e32 vcc_lo, 0x42b17218, v45
	s_delay_alu instid0(VALU_DEP_4) | instskip(SKIP_2) | instid1(TRANS32_DEP_1)
	v_exp_f32_e32 v50, v50
	v_dual_sub_f32 v25, v25, v3 :: v_dual_cndmask_b32 v44, 0x7f800000, v44
	v_cmp_nlt_f32_e32 vcc_lo, 0x42b17218, v52
	v_ldexp_f32 v50, v50, v51
	v_dual_sub_f32 v51, v24, v3 :: v_dual_cndmask_b32 v46, 0x7f800000, v46
	v_cmp_ngt_f32_e32 vcc_lo, 0xc2ce8ed0, v41
	s_delay_alu instid0(VALU_DEP_3) | instskip(NEXT) | instid1(VALU_DEP_1)
	v_dual_mul_f32 v53, 0x3fb8aa3b, v31 :: v_dual_cndmask_b32 v50, 0, v50
	v_fma_f32 v47, 0x3fb8aa3b, v31, -v53
	v_rndne_f32_e32 v58, v53
	v_cmp_ngt_f32_e32 vcc_lo, 0xc2ce8ed0, v31
	s_delay_alu instid0(VALU_DEP_3) | instskip(NEXT) | instid1(VALU_DEP_3)
	v_fmac_f32_e32 v47, 0x32a5705f, v31
	v_sub_f32_e32 v53, v53, v58
	v_cvt_i32_f32_e32 v54, v58
	s_delay_alu instid0(VALU_DEP_2) | instskip(SKIP_1) | instid1(VALU_DEP_2)
	v_add_f32_e32 v47, v53, v47
	v_mul_f32_e32 v53, 0x3fb8aa3b, v25
	v_exp_f32_e32 v47, v47
	s_delay_alu instid0(VALU_DEP_1) | instskip(SKIP_1) | instid1(VALU_DEP_2)
	v_rndne_f32_e32 v52, v53
	v_fma_f32 v45, 0x3fb8aa3b, v25, -v53
	v_dual_sub_f32 v24, v53, v52 :: v_dual_mul_f32 v53, 0x3fb8aa3b, v51
	s_delay_alu instid0(TRANS32_DEP_1) | instskip(NEXT) | instid1(VALU_DEP_2)
	v_ldexp_f32 v47, v47, v54
	v_rndne_f32_e32 v54, v53
	s_delay_alu instid0(VALU_DEP_4) | instskip(NEXT) | instid1(VALU_DEP_3)
	v_fmac_f32_e32 v45, 0x32a5705f, v25
	v_cndmask_b32_e32 v47, 0, v47, vcc_lo
	v_cmp_nlt_f32_e32 vcc_lo, 0x42b17218, v41
	s_delay_alu instid0(VALU_DEP_3) | instskip(SKIP_2) | instid1(VALU_DEP_3)
	v_dual_add_f32 v45, v24, v45 :: v_dual_cndmask_b32 v24, 0x7f800000, v50
	v_cmp_nlt_f32_e32 vcc_lo, 0x42b17218, v31
	v_cvt_i32_f32_e32 v31, v52
	v_exp_f32_e32 v45, v45
	s_delay_alu instid0(VALU_DEP_3) | instskip(SKIP_3) | instid1(TRANS32_DEP_1)
	v_cvt_f16_f32_e32 v60, v24
	v_cndmask_b32_e32 v50, 0x7f800000, v47, vcc_lo
	v_mul_f32_e32 v47, 0x3fb8aa3b, v23
	v_cmp_ngt_f32_e32 vcc_lo, 0xc2ce8ed0, v25
	v_ldexp_f32 v31, v45, v31
	s_delay_alu instid0(VALU_DEP_3) | instskip(SKIP_2) | instid1(VALU_DEP_3)
	v_rndne_f32_e32 v45, v47
	v_sub_f32_e32 v58, v40, v3
	v_fma_f32 v40, 0x3fb8aa3b, v23, -v47
	v_sub_f32_e32 v47, v47, v45
	v_cvt_i32_f32_e32 v45, v45
	s_delay_alu instid0(VALU_DEP_3) | instskip(NEXT) | instid1(VALU_DEP_1)
	v_fmac_f32_e32 v40, 0x32a5705f, v23
	v_add_f32_e32 v40, v47, v40
	v_fma_f32 v41, 0x3fb8aa3b, v51, -v53
	v_sub_f32_e32 v52, v53, v54
	v_mul_f32_e32 v53, 0x3fb8aa3b, v22
	v_cvt_i32_f32_e32 v47, v54
	v_exp_f32_e32 v40, v40
	v_fmac_f32_e32 v41, 0x32a5705f, v51
	s_delay_alu instid0(VALU_DEP_3) | instskip(SKIP_1) | instid1(VALU_DEP_3)
	v_rndne_f32_e32 v59, v53
	v_fma_f32 v55, 0x3fb8aa3b, v22, -v53
	v_add_f32_e32 v41, v52, v41
	s_delay_alu instid0(TRANS32_DEP_1) | instskip(NEXT) | instid1(VALU_DEP_4)
	v_ldexp_f32 v40, v40, v45
	v_dual_sub_f32 v52, v53, v59 :: v_dual_mul_f32 v53, 0x3fb8aa3b, v58
	s_delay_alu instid0(VALU_DEP_4) | instskip(NEXT) | instid1(VALU_DEP_4)
	v_fmac_f32_e32 v55, 0x32a5705f, v22
	v_exp_f32_e32 v41, v41
	v_cvt_i32_f32_e32 v59, v59
	s_delay_alu instid0(VALU_DEP_3) | instskip(NEXT) | instid1(VALU_DEP_3)
	v_fma_f32 v54, 0x3fb8aa3b, v58, -v53
	v_add_f32_e32 v52, v52, v55
	v_rndne_f32_e32 v55, v53
	s_delay_alu instid0(TRANS32_DEP_1) | instskip(NEXT) | instid1(VALU_DEP_4)
	v_ldexp_f32 v41, v41, v47
	v_dual_fmac_f32 v54, 0x32a5705f, v58 :: v_dual_cndmask_b32 v31, 0, v31
	v_cmp_ngt_f32_e32 vcc_lo, 0xc2ce8ed0, v51
	v_exp_f32_e32 v52, v52
	s_delay_alu instid0(VALU_DEP_3) | instskip(SKIP_1) | instid1(VALU_DEP_2)
	v_dual_sub_f32 v53, v53, v55 :: v_dual_cndmask_b32 v41, 0, v41, vcc_lo
	v_cmp_ngt_f32_e32 vcc_lo, 0xc2ce8ed0, v23
	v_add_f32_e32 v45, v53, v54
	s_delay_alu instid0(TRANS32_DEP_1)
	v_ldexp_f32 v47, v52, v59
	v_cvt_i32_f32_e32 v54, v55
	v_add_nc_u32_e32 v59, v107, v96
	v_cndmask_b32_e32 v40, 0, v40, vcc_lo
	v_cmp_ngt_f32_e32 vcc_lo, 0xc2ce8ed0, v22
	v_exp_f32_e32 v52, v45
	v_cndmask_b32_e32 v53, 0, v47, vcc_lo
	v_cmp_nlt_f32_e32 vcc_lo, 0x42b17218, v25
	s_delay_alu instid0(TRANS32_DEP_1)
	v_ldexp_f32 v25, v52, v54
	v_cvt_pk_f16_f32 v52, v42, v43
	v_cvt_pk_f16_f32 v54, v48, v49
	v_cndmask_b32_e32 v31, 0x7f800000, v31, vcc_lo
	v_cmp_nlt_f32_e32 vcc_lo, 0x42b17218, v51
	v_cndmask_b32_e32 v45, 0x7f800000, v41, vcc_lo
	v_cmp_nlt_f32_e32 vcc_lo, 0x42b17218, v23
	s_delay_alu instid0(VALU_DEP_4) | instskip(NEXT) | instid1(VALU_DEP_3)
	v_cvt_pk_f16_f32 v23, v30, v31
	v_cvt_pk_f16_f32 v41, v44, v45
	v_cndmask_b32_e32 v47, 0x7f800000, v40, vcc_lo
	v_cmp_nlt_f32_e32 vcc_lo, 0x42b17218, v22
	v_cvt_pk_f16_f32 v22, v26, v27
	v_cvt_pk_f16_f32 v40, v28, v29
	v_cndmask_b32_e32 v51, 0x7f800000, v53, vcc_lo
	v_cvt_pk_f16_f32 v53, v46, v47
	v_cmp_ngt_f32_e32 vcc_lo, 0xc2ce8ed0, v58
	s_delay_alu instid0(VALU_DEP_3)
	v_cvt_pk_f16_f32 v55, v50, v51
	ds_store_2addr_b64 v59, v[22:23], v[40:41] offset1:32
	ds_store_2addr_b64 v59, v[52:53], v[54:55] offset0:64 offset1:96
	s_wait_loadcnt 0x3
	ds_store_b128 v105, v[4:7]
	s_wait_loadcnt 0x2
	ds_store_b128 v108, v[8:11]
	;; [unrolled: 2-line block ×4, first 2 shown]
	s_wait_dscnt 0x0
	s_barrier_signal -1
	s_barrier_wait -1
	ds_load_b128 v[4:7], v107
	v_cndmask_b32_e32 v25, 0, v25, vcc_lo
	v_pk_add_f32 v[8:9], v[30:31], v[44:45]
	v_pk_add_f32 v[10:11], v[26:27], v[28:29]
	v_cmp_nlt_f32_e32 vcc_lo, 0x42b17218, v58
	v_and_b32_e32 v16, 0xffff, v60
	v_mul_u32_u24_e32 v26, 0x10001, v57
	v_pk_add_f32 v[12:13], v[46:47], v[8:9]
	v_pk_add_f32 v[14:15], v[42:43], v[10:11]
	v_cndmask_b32_e32 v25, 0x7f800000, v25, vcc_lo
	ds_load_2addr_b64 v[8:11], v96 offset1:32
	v_mul_u32_u24_e32 v27, 0x10001, v16
	v_pk_add_f32 v[12:13], v[50:51], v[12:13]
	v_pk_add_f32 v[14:15], v[48:49], v[14:15]
	v_cvt_f16_f32_e32 v17, v25
	v_pk_mul_f16 v28, v37, v26
	v_pk_mul_f16 v29, v35, v27
	v_pk_fma_f32 v[70:71], v[70:71], v[24:25], v[12:13]
	v_pk_fma_f32 v[72:73], v[72:73], v[20:21], v[14:15]
	v_and_b32_e32 v16, 0xffff, v17
	ds_load_b128 v[12:15], v107 offset:16
	s_wait_dscnt 0x2
	v_and_b32_e32 v17, 0xffff, v4
	v_lshrrev_b32_e32 v4, 16, v4
	v_and_b32_e32 v18, 0xffff, v5
	v_mul_u32_u24_e32 v16, 0x10001, v16
	v_lshrrev_b32_e32 v5, 16, v5
	v_mul_u32_u24_e32 v25, 0x10001, v17
	v_mul_u32_u24_e32 v4, 0x10001, v4
	;; [unrolled: 1-line block ×3, first 2 shown]
	v_pk_mul_f16 v24, v33, v16
	v_pk_mul_f16 v31, v32, v16
	v_mul_u32_u24_e32 v32, 0x10001, v5
	s_wait_dscnt 0x1
	v_pk_mul_f16 v5, v8, v25
	v_pk_mul_f16 v33, v8, v4
	;; [unrolled: 1-line block ×3, first 2 shown]
	ds_load_b128 v[16:19], v107 offset:32
	ds_load_b128 v[20:23], v107 offset:48
	v_pk_fma_f16 v8, v8, v32, v24
	v_pk_fma_f16 v37, v38, v56, v5
	;; [unrolled: 1-line block ×4, first 2 shown]
	v_and_b32_e32 v4, 0xffff, v6
	v_lshrrev_b32_e32 v5, 16, v6
	v_pk_fma_f16 v26, v36, v26, v33
	v_pk_fma_f16 v27, v34, v27, v35
	;; [unrolled: 1-line block ×3, first 2 shown]
	v_and_b32_e32 v29, 0xffff, v7
	v_lshrrev_b32_e32 v30, 16, v7
	v_mul_u32_u24_e32 v33, 0x10001, v4
	v_mul_u32_u24_e32 v34, 0x10001, v5
	ds_load_2addr_b64 v[4:7], v96 offset0:64 offset1:96
	v_mul_u32_u24_e32 v29, 0x10001, v29
	v_mul_u32_u24_e32 v30, 0x10001, v30
	v_pk_fma_f16 v9, v9, v32, v31
	v_pk_fma_f16 v31, v10, v33, v37
	;; [unrolled: 1-line block ×7, first 2 shown]
	s_wait_dscnt 0x3
	v_and_b32_e32 v25, 0xffff, v12
	v_lshrrev_b32_e32 v12, 16, v12
	v_and_b32_e32 v32, 0xffff, v13
	v_lshrrev_b32_e32 v13, 16, v13
	v_pk_fma_f16 v28, v11, v29, v28
	v_mul_u32_u24_e32 v25, 0x10001, v25
	v_mul_u32_u24_e32 v12, 0x10001, v12
	v_mul_u32_u24_e32 v29, 0x10001, v32
	v_pk_fma_f16 v30, v11, v30, v9
	v_lshrrev_b32_e32 v9, 16, v14
	s_wait_dscnt 0x0
	v_pk_fma_f16 v31, v4, v25, v31
	v_pk_fma_f16 v26, v4, v12, v26
	;; [unrolled: 1-line block ×3, first 2 shown]
	v_and_b32_e32 v24, 0xffff, v15
	v_lshrrev_b32_e32 v15, 16, v15
	v_mul_u32_u24_e32 v13, 0x10001, v13
	v_pk_fma_f16 v27, v4, v29, v27
	v_pk_fma_f16 v25, v5, v25, v10
	v_mul_u32_u24_e32 v24, 0x10001, v24
	v_mul_u32_u24_e32 v15, 0x10001, v15
	v_pk_fma_f16 v4, v4, v13, v8
	v_and_b32_e32 v8, 0xffff, v14
	v_pk_fma_f16 v14, v5, v29, v28
	v_mul_u32_u24_e32 v29, 0x10001, v9
	v_pk_fma_f16 v5, v5, v13, v30
	v_pk_fma_f16 v27, v6, v24, v27
	v_mul_u32_u24_e32 v28, 0x10001, v8
	ds_load_2addr_b64 v[8:11], v96 offset0:128 offset1:160
	v_pk_fma_f16 v26, v6, v29, v26
	v_pk_fma_f16 v4, v6, v15, v4
	;; [unrolled: 1-line block ×5, first 2 shown]
	v_and_b32_e32 v25, 0xffff, v16
	v_lshrrev_b32_e32 v16, 16, v16
	v_and_b32_e32 v28, 0xffff, v17
	v_lshrrev_b32_e32 v17, 16, v17
	v_pk_fma_f16 v15, v7, v15, v5
	v_mul_u32_u24_e32 v24, 0x10001, v25
	v_mul_u32_u24_e32 v16, 0x10001, v16
	;; [unrolled: 1-line block ×3, first 2 shown]
	v_lshrrev_b32_e32 v5, 16, v18
	v_mul_u32_u24_e32 v17, 0x10001, v17
	v_pk_fma_f16 v12, v7, v29, v12
	s_wait_dscnt 0x0
	v_pk_fma_f16 v13, v8, v24, v13
	v_pk_fma_f16 v26, v8, v16, v26
	;; [unrolled: 1-line block ×4, first 2 shown]
	v_and_b32_e32 v4, 0xffff, v18
	v_pk_fma_f16 v24, v9, v24, v6
	v_pk_fma_f16 v12, v9, v16, v12
	;; [unrolled: 1-line block ×3, first 2 shown]
	v_and_b32_e32 v16, 0xffff, v19
	v_lshrrev_b32_e32 v18, 16, v19
	v_mul_u32_u24_e32 v19, 0x10001, v4
	v_mul_u32_u24_e32 v25, 0x10001, v5
	ds_load_2addr_b64 v[4:7], v96 offset0:192 offset1:224
	v_mul_u32_u24_e32 v16, 0x10001, v16
	v_mul_u32_u24_e32 v18, 0x10001, v18
	v_pk_fma_f16 v9, v9, v17, v15
	v_pk_fma_f16 v13, v10, v19, v13
	;; [unrolled: 1-line block ×6, first 2 shown]
	v_and_b32_e32 v19, 0xffff, v20
	v_lshrrev_b32_e32 v20, 16, v20
	v_and_b32_e32 v24, 0xffff, v21
	v_lshrrev_b32_e32 v21, 16, v21
	v_pk_fma_f16 v14, v11, v16, v14
	v_mul_u32_u24_e32 v16, 0x10001, v19
	v_mul_u32_u24_e32 v19, 0x10001, v20
	;; [unrolled: 1-line block ×4, first 2 shown]
	v_pk_fma_f16 v12, v11, v25, v12
	v_pk_fma_f16 v18, v11, v18, v9
	s_wait_dscnt 0x0
	v_pk_fma_f16 v24, v4, v16, v13
	v_pk_fma_f16 v25, v4, v19, v15
	;; [unrolled: 1-line block ×5, first 2 shown]
	ds_load_b128 v[8:11], v107 offset:64
	v_pk_fma_f16 v19, v5, v19, v12
	v_pk_fma_f16 v20, v5, v20, v14
	v_and_b32_e32 v12, 0xffff, v22
	v_dual_lshrrev_b32 v13, 16, v22 :: v_dual_lshrrev_b32 v22, 16, v23
	v_and_b32_e32 v14, 0xffff, v23
	v_pk_fma_f16 v5, v5, v21, v18
	s_delay_alu instid0(VALU_DEP_4) | instskip(NEXT) | instid1(VALU_DEP_4)
	v_mul_u32_u24_e32 v23, 0x10001, v12
	v_mul_u32_u24_e32 v26, 0x10001, v13
	;; [unrolled: 1-line block ×4, first 2 shown]
	ds_load_2addr_b64 v[12:15], v116 offset1:32
	v_pk_fma_f16 v21, v6, v23, v24
	v_pk_fma_f16 v24, v6, v26, v25
	;; [unrolled: 1-line block ×6, first 2 shown]
	ds_load_b128 v[16:19], v107 offset:80
	s_wait_dscnt 0x2
	v_and_b32_e32 v26, 0xffff, v8
	v_lshrrev_b32_e32 v8, 16, v8
	v_and_b32_e32 v28, 0xffff, v9
	v_lshrrev_b32_e32 v9, 16, v9
	v_pk_fma_f16 v20, v7, v27, v20
	v_mul_u32_u24_e32 v26, 0x10001, v26
	v_mul_u32_u24_e32 v8, 0x10001, v8
	;; [unrolled: 1-line block ×4, first 2 shown]
	v_pk_fma_f16 v22, v7, v22, v5
	v_lshrrev_b32_e32 v5, 16, v10
	s_wait_dscnt 0x1
	v_pk_fma_f16 v21, v12, v26, v21
	v_pk_fma_f16 v24, v12, v8, v24
	;; [unrolled: 1-line block ×4, first 2 shown]
	v_and_b32_e32 v4, 0xffff, v10
	v_pk_fma_f16 v26, v13, v26, v6
	v_pk_fma_f16 v8, v13, v8, v23
	;; [unrolled: 1-line block ×3, first 2 shown]
	v_and_b32_e32 v20, 0xffff, v11
	v_lshrrev_b32_e32 v11, 16, v11
	v_mul_u32_u24_e32 v23, 0x10001, v4
	v_mul_u32_u24_e32 v27, 0x10001, v5
	ds_load_2addr_b64 v[4:7], v116 offset0:64 offset1:96
	v_mul_u32_u24_e32 v20, 0x10001, v20
	v_mul_u32_u24_e32 v11, 0x10001, v11
	v_pk_fma_f16 v9, v13, v9, v22
	v_pk_fma_f16 v13, v14, v23, v21
	;; [unrolled: 1-line block ×7, first 2 shown]
	s_wait_dscnt 0x1
	v_and_b32_e32 v8, 0xffff, v16
	v_lshrrev_b32_e32 v16, 16, v16
	v_and_b32_e32 v24, 0xffff, v17
	v_lshrrev_b32_e32 v17, 16, v17
	v_pk_fma_f16 v20, v15, v20, v10
	v_mul_u32_u24_e32 v8, 0x10001, v8
	v_mul_u32_u24_e32 v16, 0x10001, v16
	;; [unrolled: 1-line block ×4, first 2 shown]
	v_pk_fma_f16 v25, v15, v11, v9
	s_wait_dscnt 0x0
	v_pk_fma_f16 v26, v4, v8, v13
	v_pk_fma_f16 v27, v5, v8, v14
	ds_load_b128 v[8:11], v107 offset:96
	v_pk_fma_f16 v21, v4, v16, v21
	v_pk_fma_f16 v22, v4, v24, v22
	v_pk_fma_f16 v4, v4, v17, v12
	v_and_b32_e32 v12, 0xffff, v18
	v_dual_lshrrev_b32 v13, 16, v18 :: v_dual_lshrrev_b32 v18, 16, v19
	v_and_b32_e32 v14, 0xffff, v19
	v_pk_fma_f16 v16, v5, v16, v23
	v_pk_fma_f16 v20, v5, v24, v20
	v_mul_u32_u24_e32 v19, 0x10001, v12
	v_mul_u32_u24_e32 v23, 0x10001, v13
	;; [unrolled: 1-line block ×3, first 2 shown]
	ds_load_2addr_b64 v[12:15], v116 offset0:128 offset1:160
	v_mul_u32_u24_e32 v28, 0x10001, v18
	v_pk_fma_f16 v5, v5, v17, v25
	v_pk_fma_f16 v25, v6, v19, v26
	;; [unrolled: 1-line block ×7, first 2 shown]
	ds_load_b128 v[16:19], v107 offset:112
	s_wait_dscnt 0x2
	v_and_b32_e32 v26, 0xffff, v8
	v_lshrrev_b32_e32 v8, 16, v8
	v_and_b32_e32 v27, 0xffff, v9
	v_lshrrev_b32_e32 v9, 16, v9
	v_pk_fma_f16 v20, v7, v24, v20
	v_mul_u32_u24_e32 v24, 0x10001, v26
	v_mul_u32_u24_e32 v8, 0x10001, v8
	;; [unrolled: 1-line block ×4, first 2 shown]
	v_pk_fma_f16 v27, v7, v28, v5
	s_wait_dscnt 0x1
	v_pk_fma_f16 v25, v12, v24, v25
	v_pk_fma_f16 v21, v12, v8, v21
	v_pk_fma_f16 v22, v12, v26, v22
	v_pk_fma_f16 v12, v12, v9, v4
	v_and_b32_e32 v4, 0xffff, v10
	v_lshrrev_b32_e32 v5, 16, v10
	v_pk_fma_f16 v24, v13, v24, v6
	v_pk_fma_f16 v8, v13, v8, v23
	;; [unrolled: 1-line block ×3, first 2 shown]
	v_and_b32_e32 v20, 0xffff, v11
	v_lshrrev_b32_e32 v11, 16, v11
	v_mul_u32_u24_e32 v23, 0x10001, v4
	v_mul_u32_u24_e32 v26, 0x10001, v5
	ds_load_2addr_b64 v[4:7], v116 offset0:192 offset1:224
	v_mul_u32_u24_e32 v20, 0x10001, v20
	v_mul_u32_u24_e32 v11, 0x10001, v11
	v_pk_fma_f16 v9, v13, v9, v27
	v_pk_fma_f16 v13, v14, v23, v25
	;; [unrolled: 1-line block ×6, first 2 shown]
	s_wait_dscnt 0x1
	v_and_b32_e32 v23, 0xffff, v16
	v_lshrrev_b32_e32 v16, 16, v16
	v_pk_fma_f16 v8, v15, v26, v8
	v_and_b32_e32 v24, 0xffff, v17
	v_lshrrev_b32_e32 v17, 16, v17
	v_pk_fma_f16 v20, v15, v20, v10
	v_mul_u32_u24_e32 v10, 0x10001, v23
	v_mul_u32_u24_e32 v16, 0x10001, v16
	;; [unrolled: 1-line block ×4, first 2 shown]
	v_pk_fma_f16 v24, v15, v11, v9
	s_wait_dscnt 0x0
	v_pk_fma_f16 v25, v4, v10, v13
	v_pk_fma_f16 v21, v4, v16, v21
	;; [unrolled: 1-line block ×4, first 2 shown]
	ds_load_b128 v[8:11], v107 offset:128
	v_pk_fma_f16 v22, v4, v23, v22
	v_pk_fma_f16 v4, v4, v17, v12
	v_and_b32_e32 v12, 0xffff, v18
	v_dual_lshrrev_b32 v13, 16, v18 :: v_dual_lshrrev_b32 v18, 16, v19
	v_and_b32_e32 v14, 0xffff, v19
	v_pk_fma_f16 v20, v5, v23, v20
	s_delay_alu instid0(VALU_DEP_4) | instskip(NEXT) | instid1(VALU_DEP_4)
	v_mul_u32_u24_e32 v19, 0x10001, v12
	v_mul_u32_u24_e32 v23, 0x10001, v13
	;; [unrolled: 1-line block ×4, first 2 shown]
	ds_load_2addr_b64 v[12:15], v117 offset1:32
	v_pk_fma_f16 v5, v5, v17, v24
	v_pk_fma_f16 v24, v6, v19, v25
	;; [unrolled: 1-line block ×7, first 2 shown]
	ds_load_b128 v[16:19], v107 offset:144
	s_wait_dscnt 0x2
	v_and_b32_e32 v25, 0xffff, v8
	v_lshrrev_b32_e32 v8, 16, v8
	v_and_b32_e32 v26, 0xffff, v9
	v_lshrrev_b32_e32 v9, 16, v9
	v_pk_fma_f16 v20, v7, v27, v20
	v_mul_u32_u24_e32 v25, 0x10001, v25
	v_mul_u32_u24_e32 v8, 0x10001, v8
	;; [unrolled: 1-line block ×4, first 2 shown]
	v_pk_fma_f16 v27, v7, v28, v5
	v_lshrrev_b32_e32 v5, 16, v10
	s_wait_dscnt 0x1
	v_pk_fma_f16 v24, v12, v25, v24
	v_pk_fma_f16 v21, v12, v8, v21
	;; [unrolled: 1-line block ×4, first 2 shown]
	v_and_b32_e32 v4, 0xffff, v10
	v_pk_fma_f16 v25, v13, v25, v6
	v_pk_fma_f16 v8, v13, v8, v23
	;; [unrolled: 1-line block ×3, first 2 shown]
	v_and_b32_e32 v20, 0xffff, v11
	v_lshrrev_b32_e32 v11, 16, v11
	v_mul_u32_u24_e32 v23, 0x10001, v4
	v_mul_u32_u24_e32 v26, 0x10001, v5
	ds_load_2addr_b64 v[4:7], v117 offset0:64 offset1:96
	v_mul_u32_u24_e32 v20, 0x10001, v20
	v_mul_u32_u24_e32 v11, 0x10001, v11
	v_pk_fma_f16 v9, v13, v9, v27
	v_pk_fma_f16 v13, v14, v23, v24
	;; [unrolled: 1-line block ×7, first 2 shown]
	s_wait_dscnt 0x1
	v_and_b32_e32 v8, 0xffff, v16
	v_lshrrev_b32_e32 v16, 16, v16
	v_and_b32_e32 v24, 0xffff, v17
	v_lshrrev_b32_e32 v17, 16, v17
	v_pk_fma_f16 v20, v15, v20, v10
	v_mul_u32_u24_e32 v8, 0x10001, v8
	v_mul_u32_u24_e32 v16, 0x10001, v16
	;; [unrolled: 1-line block ×4, first 2 shown]
	v_pk_fma_f16 v25, v15, v11, v9
	s_wait_dscnt 0x0
	v_pk_fma_f16 v26, v4, v8, v13
	v_pk_fma_f16 v27, v5, v8, v14
	ds_load_b128 v[8:11], v107 offset:160
	v_pk_fma_f16 v21, v4, v16, v21
	v_pk_fma_f16 v22, v4, v24, v22
	;; [unrolled: 1-line block ×3, first 2 shown]
	v_and_b32_e32 v12, 0xffff, v18
	v_dual_lshrrev_b32 v13, 16, v18 :: v_dual_lshrrev_b32 v18, 16, v19
	v_and_b32_e32 v14, 0xffff, v19
	v_pk_fma_f16 v16, v5, v16, v23
	v_pk_fma_f16 v20, v5, v24, v20
	v_mul_u32_u24_e32 v19, 0x10001, v12
	v_mul_u32_u24_e32 v23, 0x10001, v13
	;; [unrolled: 1-line block ×3, first 2 shown]
	ds_load_2addr_b64 v[12:15], v117 offset0:128 offset1:160
	v_mul_u32_u24_e32 v28, 0x10001, v18
	v_pk_fma_f16 v5, v5, v17, v25
	v_pk_fma_f16 v25, v6, v19, v26
	v_pk_fma_f16 v21, v6, v23, v21
	v_pk_fma_f16 v22, v6, v24, v22
	v_pk_fma_f16 v4, v6, v28, v4
	v_pk_fma_f16 v6, v7, v19, v27
	v_pk_fma_f16 v23, v7, v23, v16
	ds_load_b128 v[16:19], v107 offset:176
	s_wait_dscnt 0x2
	v_and_b32_e32 v26, 0xffff, v8
	v_lshrrev_b32_e32 v8, 16, v8
	v_and_b32_e32 v27, 0xffff, v9
	v_lshrrev_b32_e32 v9, 16, v9
	v_pk_fma_f16 v20, v7, v24, v20
	v_mul_u32_u24_e32 v24, 0x10001, v26
	v_mul_u32_u24_e32 v8, 0x10001, v8
	;; [unrolled: 1-line block ×4, first 2 shown]
	v_pk_fma_f16 v27, v7, v28, v5
	s_wait_dscnt 0x1
	v_pk_fma_f16 v25, v12, v24, v25
	v_pk_fma_f16 v21, v12, v8, v21
	;; [unrolled: 1-line block ×4, first 2 shown]
	v_and_b32_e32 v4, 0xffff, v10
	v_lshrrev_b32_e32 v5, 16, v10
	v_pk_fma_f16 v24, v13, v24, v6
	v_pk_fma_f16 v8, v13, v8, v23
	;; [unrolled: 1-line block ×3, first 2 shown]
	v_and_b32_e32 v20, 0xffff, v11
	v_lshrrev_b32_e32 v11, 16, v11
	v_mul_u32_u24_e32 v23, 0x10001, v4
	v_mul_u32_u24_e32 v26, 0x10001, v5
	ds_load_2addr_b64 v[4:7], v117 offset0:192 offset1:224
	v_mul_u32_u24_e32 v20, 0x10001, v20
	v_mul_u32_u24_e32 v11, 0x10001, v11
	v_pk_fma_f16 v9, v13, v9, v27
	v_pk_fma_f16 v13, v14, v23, v25
	;; [unrolled: 1-line block ×6, first 2 shown]
	s_wait_dscnt 0x1
	v_and_b32_e32 v23, 0xffff, v16
	v_lshrrev_b32_e32 v16, 16, v16
	v_pk_fma_f16 v8, v15, v26, v8
	v_and_b32_e32 v24, 0xffff, v17
	v_lshrrev_b32_e32 v17, 16, v17
	v_pk_fma_f16 v20, v15, v20, v10
	v_mul_u32_u24_e32 v10, 0x10001, v23
	v_mul_u32_u24_e32 v16, 0x10001, v16
	;; [unrolled: 1-line block ×4, first 2 shown]
	v_pk_fma_f16 v24, v15, v11, v9
	s_wait_dscnt 0x0
	v_pk_fma_f16 v25, v4, v10, v13
	v_pk_fma_f16 v21, v4, v16, v21
	;; [unrolled: 1-line block ×4, first 2 shown]
	ds_load_b128 v[8:11], v107 offset:192
	v_pk_fma_f16 v22, v4, v23, v22
	v_pk_fma_f16 v4, v4, v17, v12
	v_and_b32_e32 v12, 0xffff, v18
	v_dual_lshrrev_b32 v13, 16, v18 :: v_dual_lshrrev_b32 v18, 16, v19
	v_and_b32_e32 v14, 0xffff, v19
	v_pk_fma_f16 v20, v5, v23, v20
	s_delay_alu instid0(VALU_DEP_4) | instskip(NEXT) | instid1(VALU_DEP_4)
	v_mul_u32_u24_e32 v19, 0x10001, v12
	v_mul_u32_u24_e32 v23, 0x10001, v13
	;; [unrolled: 1-line block ×4, first 2 shown]
	ds_load_2addr_b64 v[12:15], v118 offset1:32
	v_pk_fma_f16 v5, v5, v17, v24
	v_pk_fma_f16 v24, v6, v19, v25
	;; [unrolled: 1-line block ×7, first 2 shown]
	ds_load_b128 v[16:19], v107 offset:208
	s_wait_dscnt 0x2
	v_and_b32_e32 v25, 0xffff, v8
	v_lshrrev_b32_e32 v8, 16, v8
	v_and_b32_e32 v26, 0xffff, v9
	v_lshrrev_b32_e32 v9, 16, v9
	v_pk_fma_f16 v20, v7, v27, v20
	v_mul_u32_u24_e32 v25, 0x10001, v25
	v_mul_u32_u24_e32 v8, 0x10001, v8
	;; [unrolled: 1-line block ×4, first 2 shown]
	v_pk_fma_f16 v27, v7, v28, v5
	v_lshrrev_b32_e32 v5, 16, v10
	s_wait_dscnt 0x1
	v_pk_fma_f16 v24, v12, v25, v24
	v_pk_fma_f16 v21, v12, v8, v21
	;; [unrolled: 1-line block ×4, first 2 shown]
	v_and_b32_e32 v4, 0xffff, v10
	v_pk_fma_f16 v25, v13, v25, v6
	v_pk_fma_f16 v8, v13, v8, v23
	;; [unrolled: 1-line block ×3, first 2 shown]
	v_and_b32_e32 v20, 0xffff, v11
	v_lshrrev_b32_e32 v11, 16, v11
	v_mul_u32_u24_e32 v23, 0x10001, v4
	v_mul_u32_u24_e32 v26, 0x10001, v5
	ds_load_2addr_b64 v[4:7], v118 offset0:64 offset1:96
	v_mul_u32_u24_e32 v20, 0x10001, v20
	v_mul_u32_u24_e32 v11, 0x10001, v11
	v_pk_fma_f16 v9, v13, v9, v27
	v_pk_fma_f16 v13, v14, v23, v24
	;; [unrolled: 1-line block ×7, first 2 shown]
	s_wait_dscnt 0x1
	v_and_b32_e32 v8, 0xffff, v16
	v_lshrrev_b32_e32 v16, 16, v16
	v_and_b32_e32 v24, 0xffff, v17
	v_lshrrev_b32_e32 v17, 16, v17
	v_pk_fma_f16 v20, v15, v20, v10
	v_mul_u32_u24_e32 v8, 0x10001, v8
	v_mul_u32_u24_e32 v16, 0x10001, v16
	;; [unrolled: 1-line block ×4, first 2 shown]
	v_pk_fma_f16 v25, v15, v11, v9
	s_wait_dscnt 0x0
	v_pk_fma_f16 v26, v4, v8, v13
	v_pk_fma_f16 v27, v5, v8, v14
	ds_load_b128 v[8:11], v107 offset:224
	v_pk_fma_f16 v21, v4, v16, v21
	v_pk_fma_f16 v22, v4, v24, v22
	;; [unrolled: 1-line block ×3, first 2 shown]
	v_and_b32_e32 v12, 0xffff, v18
	v_dual_lshrrev_b32 v13, 16, v18 :: v_dual_lshrrev_b32 v18, 16, v19
	v_and_b32_e32 v14, 0xffff, v19
	v_pk_fma_f16 v16, v5, v16, v23
	v_pk_fma_f16 v20, v5, v24, v20
	v_mul_u32_u24_e32 v19, 0x10001, v12
	v_mul_u32_u24_e32 v23, 0x10001, v13
	;; [unrolled: 1-line block ×3, first 2 shown]
	ds_load_2addr_b64 v[12:15], v118 offset0:128 offset1:160
	v_mul_u32_u24_e32 v28, 0x10001, v18
	v_pk_fma_f16 v5, v5, v17, v25
	v_pk_fma_f16 v25, v6, v19, v26
	;; [unrolled: 1-line block ×7, first 2 shown]
	ds_load_b128 v[16:19], v107 offset:240
	s_wait_dscnt 0x2
	v_and_b32_e32 v26, 0xffff, v8
	v_lshrrev_b32_e32 v8, 16, v8
	v_and_b32_e32 v27, 0xffff, v9
	v_lshrrev_b32_e32 v9, 16, v9
	v_pk_fma_f16 v20, v7, v24, v20
	v_mul_u32_u24_e32 v24, 0x10001, v26
	v_mul_u32_u24_e32 v8, 0x10001, v8
	;; [unrolled: 1-line block ×4, first 2 shown]
	v_pk_fma_f16 v27, v7, v28, v5
	s_wait_dscnt 0x1
	v_pk_fma_f16 v25, v12, v24, v25
	v_pk_fma_f16 v21, v12, v8, v21
	;; [unrolled: 1-line block ×4, first 2 shown]
	v_and_b32_e32 v4, 0xffff, v10
	v_lshrrev_b32_e32 v5, 16, v10
	v_pk_fma_f16 v24, v13, v24, v6
	v_pk_fma_f16 v8, v13, v8, v23
	;; [unrolled: 1-line block ×3, first 2 shown]
	v_and_b32_e32 v20, 0xffff, v11
	v_lshrrev_b32_e32 v11, 16, v11
	v_mul_u32_u24_e32 v23, 0x10001, v4
	v_mul_u32_u24_e32 v26, 0x10001, v5
	ds_load_2addr_b64 v[4:7], v118 offset0:192 offset1:224
	v_mul_u32_u24_e32 v20, 0x10001, v20
	v_mul_u32_u24_e32 v11, 0x10001, v11
	v_pk_fma_f16 v9, v13, v9, v27
	v_pk_fma_f16 v13, v14, v23, v25
	;; [unrolled: 1-line block ×6, first 2 shown]
	s_wait_dscnt 0x1
	v_and_b32_e32 v23, 0xffff, v16
	v_lshrrev_b32_e32 v16, 16, v16
	v_pk_fma_f16 v8, v15, v26, v8
	v_and_b32_e32 v24, 0xffff, v17
	v_lshrrev_b32_e32 v17, 16, v17
	v_pk_fma_f16 v20, v15, v20, v10
	v_mul_u32_u24_e32 v10, 0x10001, v23
	v_mul_u32_u24_e32 v16, 0x10001, v16
	v_mul_u32_u24_e32 v23, 0x10001, v24
	v_mul_u32_u24_e32 v17, 0x10001, v17
	v_pk_fma_f16 v24, v15, v11, v9
	s_wait_dscnt 0x0
	v_pk_fma_f16 v25, v4, v10, v13
	v_pk_fma_f16 v21, v4, v16, v21
	;; [unrolled: 1-line block ×4, first 2 shown]
	ds_load_b128 v[8:11], v107 offset:256
	v_pk_fma_f16 v22, v4, v23, v22
	v_pk_fma_f16 v4, v4, v17, v12
	v_and_b32_e32 v12, 0xffff, v18
	v_dual_lshrrev_b32 v13, 16, v18 :: v_dual_lshrrev_b32 v18, 16, v19
	v_and_b32_e32 v14, 0xffff, v19
	v_pk_fma_f16 v20, v5, v23, v20
	s_delay_alu instid0(VALU_DEP_4) | instskip(NEXT) | instid1(VALU_DEP_4)
	v_mul_u32_u24_e32 v19, 0x10001, v12
	v_mul_u32_u24_e32 v23, 0x10001, v13
	;; [unrolled: 1-line block ×4, first 2 shown]
	ds_load_2addr_b64 v[12:15], v119 offset1:32
	v_pk_fma_f16 v5, v5, v17, v24
	v_pk_fma_f16 v24, v6, v19, v25
	v_pk_fma_f16 v21, v6, v23, v21
	v_pk_fma_f16 v22, v6, v27, v22
	v_pk_fma_f16 v4, v6, v28, v4
	v_pk_fma_f16 v6, v7, v19, v26
	v_pk_fma_f16 v23, v7, v23, v16
	ds_load_b128 v[16:19], v107 offset:272
	s_wait_dscnt 0x2
	v_and_b32_e32 v25, 0xffff, v8
	v_lshrrev_b32_e32 v8, 16, v8
	v_and_b32_e32 v26, 0xffff, v9
	v_lshrrev_b32_e32 v9, 16, v9
	v_pk_fma_f16 v20, v7, v27, v20
	v_mul_u32_u24_e32 v25, 0x10001, v25
	v_mul_u32_u24_e32 v8, 0x10001, v8
	;; [unrolled: 1-line block ×4, first 2 shown]
	v_pk_fma_f16 v27, v7, v28, v5
	v_lshrrev_b32_e32 v5, 16, v10
	s_wait_dscnt 0x1
	v_pk_fma_f16 v24, v12, v25, v24
	v_pk_fma_f16 v21, v12, v8, v21
	v_pk_fma_f16 v22, v12, v26, v22
	v_pk_fma_f16 v12, v12, v9, v4
	v_and_b32_e32 v4, 0xffff, v10
	v_pk_fma_f16 v25, v13, v25, v6
	v_pk_fma_f16 v8, v13, v8, v23
	;; [unrolled: 1-line block ×3, first 2 shown]
	v_and_b32_e32 v20, 0xffff, v11
	v_lshrrev_b32_e32 v11, 16, v11
	v_mul_u32_u24_e32 v23, 0x10001, v4
	v_mul_u32_u24_e32 v26, 0x10001, v5
	ds_load_2addr_b64 v[4:7], v119 offset0:64 offset1:96
	v_mul_u32_u24_e32 v20, 0x10001, v20
	v_mul_u32_u24_e32 v11, 0x10001, v11
	v_pk_fma_f16 v9, v13, v9, v27
	v_pk_fma_f16 v13, v14, v23, v24
	;; [unrolled: 1-line block ×7, first 2 shown]
	s_wait_dscnt 0x1
	v_and_b32_e32 v8, 0xffff, v16
	v_lshrrev_b32_e32 v16, 16, v16
	v_and_b32_e32 v24, 0xffff, v17
	v_lshrrev_b32_e32 v17, 16, v17
	v_pk_fma_f16 v20, v15, v20, v10
	v_mul_u32_u24_e32 v8, 0x10001, v8
	v_mul_u32_u24_e32 v16, 0x10001, v16
	;; [unrolled: 1-line block ×4, first 2 shown]
	v_pk_fma_f16 v25, v15, v11, v9
	s_wait_dscnt 0x0
	v_pk_fma_f16 v26, v4, v8, v13
	v_pk_fma_f16 v27, v5, v8, v14
	ds_load_b128 v[8:11], v107 offset:288
	v_pk_fma_f16 v21, v4, v16, v21
	v_pk_fma_f16 v22, v4, v24, v22
	;; [unrolled: 1-line block ×3, first 2 shown]
	v_and_b32_e32 v12, 0xffff, v18
	v_dual_lshrrev_b32 v13, 16, v18 :: v_dual_lshrrev_b32 v18, 16, v19
	v_and_b32_e32 v14, 0xffff, v19
	v_pk_fma_f16 v16, v5, v16, v23
	v_pk_fma_f16 v20, v5, v24, v20
	v_mul_u32_u24_e32 v19, 0x10001, v12
	v_mul_u32_u24_e32 v23, 0x10001, v13
	;; [unrolled: 1-line block ×3, first 2 shown]
	ds_load_2addr_b64 v[12:15], v119 offset0:128 offset1:160
	v_mul_u32_u24_e32 v28, 0x10001, v18
	v_pk_fma_f16 v5, v5, v17, v25
	v_pk_fma_f16 v25, v6, v19, v26
	;; [unrolled: 1-line block ×7, first 2 shown]
	ds_load_b128 v[16:19], v107 offset:304
	s_wait_dscnt 0x2
	v_and_b32_e32 v26, 0xffff, v8
	v_lshrrev_b32_e32 v8, 16, v8
	v_and_b32_e32 v27, 0xffff, v9
	v_lshrrev_b32_e32 v9, 16, v9
	v_pk_fma_f16 v20, v7, v24, v20
	v_mul_u32_u24_e32 v24, 0x10001, v26
	v_mul_u32_u24_e32 v8, 0x10001, v8
	;; [unrolled: 1-line block ×4, first 2 shown]
	v_pk_fma_f16 v27, v7, v28, v5
	s_wait_dscnt 0x1
	v_pk_fma_f16 v25, v12, v24, v25
	v_pk_fma_f16 v21, v12, v8, v21
	;; [unrolled: 1-line block ×4, first 2 shown]
	v_and_b32_e32 v4, 0xffff, v10
	v_lshrrev_b32_e32 v5, 16, v10
	v_pk_fma_f16 v24, v13, v24, v6
	v_pk_fma_f16 v8, v13, v8, v23
	;; [unrolled: 1-line block ×3, first 2 shown]
	v_and_b32_e32 v20, 0xffff, v11
	v_lshrrev_b32_e32 v11, 16, v11
	v_mul_u32_u24_e32 v23, 0x10001, v4
	v_mul_u32_u24_e32 v26, 0x10001, v5
	ds_load_2addr_b64 v[4:7], v119 offset0:192 offset1:224
	v_mul_u32_u24_e32 v20, 0x10001, v20
	v_mul_u32_u24_e32 v11, 0x10001, v11
	v_pk_fma_f16 v9, v13, v9, v27
	v_pk_fma_f16 v13, v14, v23, v25
	;; [unrolled: 1-line block ×6, first 2 shown]
	s_wait_dscnt 0x1
	v_and_b32_e32 v23, 0xffff, v16
	v_lshrrev_b32_e32 v16, 16, v16
	v_pk_fma_f16 v8, v15, v26, v8
	v_and_b32_e32 v24, 0xffff, v17
	v_lshrrev_b32_e32 v17, 16, v17
	v_pk_fma_f16 v20, v15, v20, v10
	v_mul_u32_u24_e32 v10, 0x10001, v23
	v_mul_u32_u24_e32 v16, 0x10001, v16
	;; [unrolled: 1-line block ×4, first 2 shown]
	v_pk_fma_f16 v24, v15, v11, v9
	s_wait_dscnt 0x0
	v_pk_fma_f16 v25, v4, v10, v13
	v_pk_fma_f16 v21, v4, v16, v21
	;; [unrolled: 1-line block ×4, first 2 shown]
	ds_load_b128 v[8:11], v107 offset:320
	v_pk_fma_f16 v22, v4, v23, v22
	v_pk_fma_f16 v4, v4, v17, v12
	v_and_b32_e32 v12, 0xffff, v18
	v_dual_lshrrev_b32 v13, 16, v18 :: v_dual_lshrrev_b32 v18, 16, v19
	v_and_b32_e32 v14, 0xffff, v19
	v_pk_fma_f16 v20, v5, v23, v20
	s_delay_alu instid0(VALU_DEP_4) | instskip(NEXT) | instid1(VALU_DEP_4)
	v_mul_u32_u24_e32 v19, 0x10001, v12
	v_mul_u32_u24_e32 v23, 0x10001, v13
	;; [unrolled: 1-line block ×4, first 2 shown]
	ds_load_2addr_b64 v[12:15], v120 offset1:32
	v_pk_fma_f16 v5, v5, v17, v24
	v_pk_fma_f16 v24, v6, v19, v25
	;; [unrolled: 1-line block ×7, first 2 shown]
	ds_load_b128 v[16:19], v107 offset:336
	s_wait_dscnt 0x2
	v_and_b32_e32 v25, 0xffff, v8
	v_lshrrev_b32_e32 v8, 16, v8
	v_and_b32_e32 v26, 0xffff, v9
	v_lshrrev_b32_e32 v9, 16, v9
	v_pk_fma_f16 v20, v7, v27, v20
	v_mul_u32_u24_e32 v25, 0x10001, v25
	v_mul_u32_u24_e32 v8, 0x10001, v8
	;; [unrolled: 1-line block ×4, first 2 shown]
	v_pk_fma_f16 v27, v7, v28, v5
	v_lshrrev_b32_e32 v5, 16, v10
	s_wait_dscnt 0x1
	v_pk_fma_f16 v24, v12, v25, v24
	v_pk_fma_f16 v21, v12, v8, v21
	;; [unrolled: 1-line block ×4, first 2 shown]
	v_and_b32_e32 v4, 0xffff, v10
	v_pk_fma_f16 v25, v13, v25, v6
	v_pk_fma_f16 v8, v13, v8, v23
	;; [unrolled: 1-line block ×3, first 2 shown]
	v_and_b32_e32 v20, 0xffff, v11
	v_lshrrev_b32_e32 v11, 16, v11
	v_mul_u32_u24_e32 v23, 0x10001, v4
	v_mul_u32_u24_e32 v26, 0x10001, v5
	ds_load_2addr_b64 v[4:7], v120 offset0:64 offset1:96
	v_mul_u32_u24_e32 v20, 0x10001, v20
	v_mul_u32_u24_e32 v11, 0x10001, v11
	v_pk_fma_f16 v9, v13, v9, v27
	v_pk_fma_f16 v13, v14, v23, v24
	;; [unrolled: 1-line block ×6, first 2 shown]
	s_wait_dscnt 0x1
	v_and_b32_e32 v23, 0xffff, v16
	v_lshrrev_b32_e32 v16, 16, v16
	v_and_b32_e32 v24, 0xffff, v17
	v_lshrrev_b32_e32 v17, 16, v17
	v_pk_fma_f16 v158, v15, v20, v10
	v_mul_u32_u24_e32 v10, 0x10001, v23
	v_mul_u32_u24_e32 v16, 0x10001, v16
	;; [unrolled: 1-line block ×4, first 2 shown]
	v_pk_fma_f16 v8, v15, v26, v8
	v_pk_fma_f16 v161, v15, v11, v9
	s_wait_dscnt 0x0
	v_pk_fma_f16 v162, v4, v10, v13
	v_pk_fma_f16 v163, v4, v16, v21
	;; [unrolled: 1-line block ×4, first 2 shown]
	v_add_nc_u32_e32 v4, 0x3800, v96
	v_pk_fma_f16 v166, v5, v10, v14
	v_pk_fma_f16 v167, v5, v16, v8
	v_and_b32_e32 v168, 0xffff, v18
	v_dual_lshrrev_b32 v169, 16, v18 :: v_dual_lshrrev_b32 v171, 16, v19
	v_and_b32_e32 v170, 0xffff, v19
	ds_load_2addr_b64 v[32:35], v120 offset0:128 offset1:160
	ds_load_b128 v[40:43], v107 offset:352
	ds_load_b128 v[28:31], v107 offset:368
	ds_load_2addr_b64 v[16:19], v120 offset0:192 offset1:224
	ds_load_2addr_b64 v[8:11], v121 offset1:32
	ds_load_b128 v[12:15], v107 offset:384
	ds_load_b128 v[20:23], v107 offset:400
	ds_load_2addr_b64 v[24:27], v121 offset0:64 offset1:96
	ds_load_2addr_b64 v[36:39], v121 offset0:128 offset1:160
	ds_load_2addr_b64 v[44:47], v121 offset0:192 offset1:224
	ds_load_b128 v[56:59], v107 offset:416
	ds_load_b128 v[52:55], v107 offset:432
	ds_load_2addr_b64 v[122:125], v4 offset1:32
	ds_load_2addr_b64 v[126:129], v4 offset0:64 offset1:96
	ds_load_b128 v[130:133], v107 offset:448
	ds_load_b128 v[134:137], v107 offset:464
	ds_load_2addr_b64 v[64:67], v4 offset0:128 offset1:160
	ds_load_2addr_b64 v[48:51], v4 offset0:192 offset1:224
	ds_load_b128 v[138:141], v107 offset:480
	ds_load_b128 v[60:63], v107 offset:496
	s_wait_dscnt 0x0
	s_barrier_signal -1
	s_barrier_wait -1
	s_clause 0x3
	global_load_b128 v[142:145], v[142:143], off
	global_load_b128 v[146:149], v[150:151], off
	;; [unrolled: 1-line block ×4, first 2 shown]
	v_pk_fma_f16 v158, v5, v159, v158
	v_mul_u32_u24_e32 v159, 0x10001, v168
	v_mul_u32_u24_e32 v168, 0x10001, v169
	;; [unrolled: 1-line block ×4, first 2 shown]
	v_pk_fma_f16 v5, v5, v160, v161
	v_pk_fma_f16 v160, v6, v159, v162
	;; [unrolled: 1-line block ×5, first 2 shown]
	v_and_b32_e32 v164, 0xffff, v40
	v_lshrrev_b32_e32 v40, 16, v40
	v_and_b32_e32 v165, 0xffff, v41
	v_lshrrev_b32_e32 v41, 16, v41
	v_pk_fma_f16 v159, v7, v159, v166
	v_mul_u32_u24_e32 v164, 0x10001, v164
	v_mul_u32_u24_e32 v40, 0x10001, v40
	;; [unrolled: 1-line block ×4, first 2 shown]
	v_pk_fma_f16 v163, v7, v168, v167
	v_pk_fma_f16 v158, v7, v169, v158
	v_pk_fma_f16 v5, v7, v170, v5
	v_pk_fma_f16 v7, v32, v164, v160
	v_pk_fma_f16 v160, v32, v40, v161
	v_pk_fma_f16 v161, v32, v165, v162
	v_pk_fma_f16 v6, v32, v41, v6
	v_pk_fma_f16 v32, v33, v164, v159
	v_and_b32_e32 v159, 0xffff, v42
	v_lshrrev_b32_e32 v42, 16, v42
	v_and_b32_e32 v162, 0xffff, v43
	v_lshrrev_b32_e32 v43, 16, v43
	v_pk_fma_f16 v40, v33, v40, v163
	v_mul_u32_u24_e32 v159, 0x10001, v159
	v_mul_u32_u24_e32 v42, 0x10001, v42
	;; [unrolled: 1-line block ×4, first 2 shown]
	v_pk_fma_f16 v158, v33, v165, v158
	v_pk_fma_f16 v5, v33, v41, v5
	;; [unrolled: 1-line block ×7, first 2 shown]
	v_and_b32_e32 v40, 0xffff, v28
	v_lshrrev_b32_e32 v28, 16, v28
	v_and_b32_e32 v42, 0xffff, v29
	v_lshrrev_b32_e32 v29, 16, v29
	v_pk_fma_f16 v32, v35, v159, v32
	v_mul_u32_u24_e32 v40, 0x10001, v40
	v_mul_u32_u24_e32 v28, 0x10001, v28
	;; [unrolled: 1-line block ×4, first 2 shown]
	v_pk_fma_f16 v158, v35, v162, v158
	v_pk_fma_f16 v5, v35, v43, v5
	v_pk_fma_f16 v7, v16, v40, v7
	v_pk_fma_f16 v33, v16, v28, v33
	v_pk_fma_f16 v35, v16, v42, v41
	v_pk_fma_f16 v6, v16, v29, v6
	v_pk_fma_f16 v16, v17, v40, v32
	v_pk_fma_f16 v28, v17, v28, v34
	v_and_b32_e32 v32, 0xffff, v30
	v_lshrrev_b32_e32 v30, 16, v30
	v_and_b32_e32 v34, 0xffff, v31
	v_lshrrev_b32_e32 v31, 16, v31
	v_pk_fma_f16 v40, v17, v42, v158
	v_mul_u32_u24_e32 v32, 0x10001, v32
	v_mul_u32_u24_e32 v30, 0x10001, v30
	;; [unrolled: 1-line block ×4, first 2 shown]
	v_pk_fma_f16 v5, v17, v29, v5
	v_pk_fma_f16 v7, v18, v32, v7
	;; [unrolled: 1-line block ×6, first 2 shown]
	v_and_b32_e32 v28, 0xffff, v12
	v_lshrrev_b32_e32 v12, 16, v12
	v_and_b32_e32 v30, 0xffff, v13
	v_lshrrev_b32_e32 v13, 16, v13
	v_pk_fma_f16 v16, v19, v32, v16
	v_mul_u32_u24_e32 v28, 0x10001, v28
	v_mul_u32_u24_e32 v12, 0x10001, v12
	;; [unrolled: 1-line block ×4, first 2 shown]
	v_pk_fma_f16 v32, v19, v34, v40
	v_pk_fma_f16 v5, v19, v31, v5
	;; [unrolled: 1-line block ×6, first 2 shown]
	v_and_b32_e32 v8, 0xffff, v14
	v_pk_fma_f16 v16, v9, v28, v16
	v_lshrrev_b32_e32 v14, 16, v14
	v_and_b32_e32 v28, 0xffff, v15
	v_lshrrev_b32_e32 v15, 16, v15
	v_pk_fma_f16 v12, v9, v12, v18
	v_pk_fma_f16 v18, v9, v30, v32
	v_mul_u32_u24_e32 v8, 0x10001, v8
	v_mul_u32_u24_e32 v14, 0x10001, v14
	v_pk_fma_f16 v5, v9, v13, v5
	v_mul_u32_u24_e32 v9, 0x10001, v28
	v_mul_u32_u24_e32 v13, 0x10001, v15
	v_pk_fma_f16 v7, v10, v8, v7
	v_pk_fma_f16 v15, v10, v14, v17
	;; [unrolled: 1-line block ×5, first 2 shown]
	v_and_b32_e32 v10, 0xffff, v20
	v_and_b32_e32 v17, 0xffff, v21
	v_pk_fma_f16 v8, v11, v8, v16
	v_dual_lshrrev_b32 v16, 16, v20 :: v_dual_lshrrev_b32 v19, 16, v21
	s_delay_alu instid0(VALU_DEP_4) | instskip(NEXT) | instid1(VALU_DEP_4)
	v_mul_u32_u24_e32 v10, 0x10001, v10
	v_mul_u32_u24_e32 v17, 0x10001, v17
	v_pk_fma_f16 v5, v11, v13, v5
	s_delay_alu instid0(VALU_DEP_4)
	v_mul_u32_u24_e32 v16, 0x10001, v16
	v_pk_fma_f16 v9, v11, v9, v18
	v_pk_fma_f16 v7, v24, v10, v7
	;; [unrolled: 1-line block ×4, first 2 shown]
	v_and_b32_e32 v10, 0xffff, v22
	v_lshrrev_b32_e32 v14, 16, v22
	v_pk_fma_f16 v11, v24, v16, v15
	v_and_b32_e32 v15, 0xffff, v23
	v_pk_fma_f16 v12, v25, v16, v12
	v_mul_u32_u24_e32 v10, 0x10001, v10
	v_lshrrev_b32_e32 v16, 16, v23
	v_mul_u32_u24_e32 v14, 0x10001, v14
	v_mul_u32_u24_e32 v18, 0x10001, v19
	v_pk_fma_f16 v9, v25, v17, v9
	v_mul_u32_u24_e32 v15, 0x10001, v15
	v_pk_fma_f16 v7, v26, v10, v7
	v_pk_fma_f16 v11, v26, v14, v11
	;; [unrolled: 1-line block ×4, first 2 shown]
	v_mul_u32_u24_e32 v12, 0x10001, v16
	v_and_b32_e32 v14, 0xffff, v56
	v_and_b32_e32 v16, 0xffff, v57
	v_pk_fma_f16 v6, v24, v18, v6
	v_pk_fma_f16 v5, v25, v18, v5
	;; [unrolled: 1-line block ×4, first 2 shown]
	v_dual_lshrrev_b32 v15, 16, v56 :: v_dual_lshrrev_b32 v17, 16, v57
	v_mul_u32_u24_e32 v14, 0x10001, v14
	v_mul_u32_u24_e32 v16, 0x10001, v16
	v_pk_fma_f16 v6, v26, v12, v6
	s_delay_alu instid0(VALU_DEP_4)
	v_mul_u32_u24_e32 v15, 0x10001, v15
	v_pk_fma_f16 v5, v27, v12, v5
	v_pk_fma_f16 v7, v36, v14, v7
	;; [unrolled: 1-line block ×4, first 2 shown]
	v_and_b32_e32 v13, 0xffff, v58
	v_dual_lshrrev_b32 v14, 16, v58 :: v_dual_lshrrev_b32 v18, 16, v59
	v_pk_fma_f16 v11, v36, v15, v11
	v_pk_fma_f16 v10, v37, v15, v10
	s_delay_alu instid0(VALU_DEP_4) | instskip(NEXT) | instid1(VALU_DEP_4)
	v_mul_u32_u24_e32 v13, 0x10001, v13
	v_mul_u32_u24_e32 v14, 0x10001, v14
	;; [unrolled: 1-line block ×3, first 2 shown]
	v_and_b32_e32 v15, 0xffff, v59
	v_pk_fma_f16 v9, v37, v16, v9
	v_pk_fma_f16 v7, v38, v13, v7
	;; [unrolled: 1-line block ×5, first 2 shown]
	v_and_b32_e32 v13, 0xffff, v52
	v_lshrrev_b32_e32 v14, 16, v52
	v_mul_u32_u24_e32 v16, 0x10001, v18
	v_lshrrev_b32_e32 v18, 16, v53
	v_pk_fma_f16 v6, v36, v17, v6
	v_mul_u32_u24_e32 v13, 0x10001, v13
	v_mul_u32_u24_e32 v14, 0x10001, v14
	;; [unrolled: 1-line block ×3, first 2 shown]
	v_pk_fma_f16 v5, v37, v17, v5
	v_and_b32_e32 v17, 0xffff, v53
	v_pk_fma_f16 v7, v44, v13, v7
	v_pk_fma_f16 v11, v44, v14, v11
	v_pk_fma_f16 v8, v45, v13, v8
	v_pk_fma_f16 v10, v45, v14, v10
	v_and_b32_e32 v13, 0xffff, v54
	v_lshrrev_b32_e32 v14, 16, v54
	v_pk_fma_f16 v12, v38, v15, v12
	v_pk_fma_f16 v9, v39, v15, v9
	v_mul_u32_u24_e32 v15, 0x10001, v17
	v_mul_u32_u24_e32 v17, 0x10001, v18
	v_lshrrev_b32_e32 v18, 16, v55
	v_mul_u32_u24_e32 v13, 0x10001, v13
	v_mul_u32_u24_e32 v14, 0x10001, v14
	v_pk_fma_f16 v6, v38, v16, v6
	v_pk_fma_f16 v5, v39, v16, v5
	v_and_b32_e32 v16, 0xffff, v55
	v_pk_fma_f16 v7, v46, v13, v7
	v_pk_fma_f16 v11, v46, v14, v11
	v_pk_fma_f16 v8, v47, v13, v8
	v_pk_fma_f16 v10, v47, v14, v10
	v_and_b32_e32 v13, 0xffff, v130
	v_lshrrev_b32_e32 v14, 16, v130
	v_pk_fma_f16 v12, v44, v15, v12
	v_pk_fma_f16 v9, v45, v15, v9
	v_mul_u32_u24_e32 v15, 0x10001, v16
	v_mul_u32_u24_e32 v16, 0x10001, v18
	v_lshrrev_b32_e32 v18, 16, v131
	v_mul_u32_u24_e32 v13, 0x10001, v13
	v_mul_u32_u24_e32 v14, 0x10001, v14
	v_pk_fma_f16 v6, v44, v17, v6
	;; [unrolled: 16-line block ×6, first 2 shown]
	v_pk_fma_f16 v5, v127, v17, v5
	v_and_b32_e32 v17, 0xffff, v139
	v_pk_fma_f16 v7, v64, v13, v7
	v_pk_fma_f16 v11, v64, v14, v11
	;; [unrolled: 1-line block ×4, first 2 shown]
	v_and_b32_e32 v13, 0xffff, v140
	v_lshrrev_b32_e32 v14, 16, v140
	v_pk_fma_f16 v12, v128, v15, v12
	v_pk_fma_f16 v6, v128, v16, v6
	;; [unrolled: 1-line block ×3, first 2 shown]
	v_mul_u32_u24_e32 v15, 0x10001, v17
	v_mul_u32_u24_e32 v17, 0x10001, v18
	v_pk_fma_f16 v5, v129, v16, v5
	v_and_b32_e32 v16, 0xffff, v141
	v_lshrrev_b32_e32 v18, 16, v141
	v_mul_u32_u24_e32 v13, 0x10001, v13
	v_mul_u32_u24_e32 v14, 0x10001, v14
	v_pk_fma_f16 v12, v64, v15, v12
	v_pk_fma_f16 v6, v64, v17, v6
	;; [unrolled: 1-line block ×3, first 2 shown]
	v_mul_u32_u24_e32 v15, 0x10001, v16
	v_mul_u32_u24_e32 v16, 0x10001, v18
	v_pk_fma_f16 v5, v65, v17, v5
	v_pk_fma_f16 v7, v66, v13, v7
	;; [unrolled: 1-line block ×5, first 2 shown]
	v_and_b32_e32 v13, 0xffff, v60
	v_dual_lshrrev_b32 v14, 16, v60 :: v_dual_lshrrev_b32 v18, 16, v61
	v_and_b32_e32 v17, 0xffff, v61
	v_pk_fma_f16 v12, v66, v15, v12
	v_pk_fma_f16 v6, v66, v16, v6
	;; [unrolled: 1-line block ×3, first 2 shown]
	v_mul_u32_u24_e32 v9, 0x10001, v13
	v_mul_u32_u24_e32 v13, 0x10001, v14
	;; [unrolled: 1-line block ×4, first 2 shown]
	v_pk_fma_f16 v5, v67, v16, v5
	v_pk_fma_f16 v16, v48, v9, v7
	;; [unrolled: 1-line block ×3, first 2 shown]
	s_wait_loadcnt 0x3
	ds_store_b128 v105, v[142:145]
	s_wait_loadcnt 0x2
	ds_store_b128 v108, v[146:149]
	s_wait_loadcnt 0x1
	ds_store_b128 v109, v[150:153]
	s_wait_loadcnt 0x0
	ds_store_b128 v110, v[154:157]
	v_pk_fma_f16 v20, v48, v17, v6
	s_wait_dscnt 0x0
	s_barrier_signal -1
	s_barrier_wait -1
	ds_load_b128 v[6:9], v107 offset:512
	v_pk_fma_f16 v18, v48, v13, v11
	v_pk_fma_f16 v19, v48, v14, v12
	;; [unrolled: 1-line block ×3, first 2 shown]
	v_and_b32_e32 v10, 0xffff, v62
	v_dual_lshrrev_b32 v11, 16, v62 :: v_dual_lshrrev_b32 v13, 16, v63
	v_and_b32_e32 v12, 0xffff, v63
	v_pk_fma_f16 v14, v49, v14, v15
	v_pk_fma_f16 v5, v49, v17, v5
	v_mul_u32_u24_e32 v15, 0x10001, v10
	v_mul_u32_u24_e32 v17, 0x10001, v11
	;; [unrolled: 1-line block ×4, first 2 shown]
	ds_load_2addr_b64 v[10:13], v96 offset1:32
	v_pk_fma_f16 v26, v50, v15, v16
	v_pk_fma_f16 v27, v50, v17, v18
	v_pk_fma_f16 v28, v50, v23, v19
	v_pk_fma_f16 v30, v51, v15, v21
	v_pk_fma_f16 v31, v51, v17, v22
	v_pk_fma_f16 v32, v51, v23, v14
	ds_load_b128 v[14:17], v107 offset:528
	s_wait_dscnt 0x2
	v_and_b32_e32 v18, 0xffff, v6
	v_lshrrev_b32_e32 v6, 16, v6
	v_and_b32_e32 v19, 0xffff, v7
	v_lshrrev_b32_e32 v7, 16, v7
	v_pk_fma_f16 v29, v50, v24, v20
	v_mul_u32_u24_e32 v33, 0x10001, v18
	v_mul_u32_u24_e32 v6, 0x10001, v6
	;; [unrolled: 1-line block ×4, first 2 shown]
	v_lshrrev_b32_e32 v7, 16, v8
	v_pk_fma_f16 v5, v51, v24, v5
	ds_load_b128 v[18:21], v107 offset:544
	ds_load_b128 v[22:25], v107 offset:560
	s_wait_dscnt 0x3
	v_pk_fma_f16 v26, v10, v33, v26
	v_pk_fma_f16 v27, v10, v6, v27
	;; [unrolled: 1-line block ×6, first 2 shown]
	v_and_b32_e32 v6, 0xffff, v8
	v_pk_fma_f16 v31, v11, v34, v32
	v_and_b32_e32 v32, 0xffff, v9
	v_lshrrev_b32_e32 v33, 16, v9
	v_mul_u32_u24_e32 v36, 0x10001, v7
	v_mul_u32_u24_e32 v34, 0x10001, v6
	ds_load_2addr_b64 v[6:9], v96 offset0:64 offset1:96
	v_mul_u32_u24_e32 v32, 0x10001, v32
	v_mul_u32_u24_e32 v33, 0x10001, v33
	v_pk_fma_f16 v5, v11, v35, v5
	v_pk_fma_f16 v11, v12, v34, v26
	;; [unrolled: 1-line block ×7, first 2 shown]
	s_wait_dscnt 0x3
	v_and_b32_e32 v29, 0xffff, v14
	v_lshrrev_b32_e32 v14, 16, v14
	v_and_b32_e32 v30, 0xffff, v15
	v_lshrrev_b32_e32 v15, 16, v15
	v_pk_fma_f16 v31, v13, v32, v31
	v_mul_u32_u24_e32 v29, 0x10001, v29
	v_mul_u32_u24_e32 v14, 0x10001, v14
	;; [unrolled: 1-line block ×4, first 2 shown]
	v_pk_fma_f16 v5, v13, v33, v5
	s_wait_dscnt 0x0
	v_pk_fma_f16 v32, v6, v29, v11
	v_pk_fma_f16 v26, v6, v14, v26
	v_pk_fma_f16 v27, v6, v30, v27
	v_pk_fma_f16 v6, v6, v15, v10
	v_and_b32_e32 v10, 0xffff, v16
	v_lshrrev_b32_e32 v11, 16, v16
	v_pk_fma_f16 v29, v7, v29, v12
	v_pk_fma_f16 v14, v7, v14, v28
	;; [unrolled: 1-line block ×3, first 2 shown]
	v_and_b32_e32 v28, 0xffff, v17
	v_lshrrev_b32_e32 v17, 16, v17
	v_mul_u32_u24_e32 v30, 0x10001, v10
	v_mul_u32_u24_e32 v31, 0x10001, v11
	ds_load_2addr_b64 v[10:13], v96 offset0:128 offset1:160
	v_mul_u32_u24_e32 v28, 0x10001, v28
	v_mul_u32_u24_e32 v17, 0x10001, v17
	v_pk_fma_f16 v5, v7, v15, v5
	v_pk_fma_f16 v7, v8, v30, v32
	;; [unrolled: 1-line block ×6, first 2 shown]
	v_and_b32_e32 v27, 0xffff, v18
	v_lshrrev_b32_e32 v18, 16, v18
	v_and_b32_e32 v29, 0xffff, v19
	v_lshrrev_b32_e32 v19, 16, v19
	v_pk_fma_f16 v16, v9, v28, v16
	v_mul_u32_u24_e32 v27, 0x10001, v27
	v_mul_u32_u24_e32 v18, 0x10001, v18
	;; [unrolled: 1-line block ×4, first 2 shown]
	v_pk_fma_f16 v14, v9, v31, v14
	v_pk_fma_f16 v5, v9, v17, v5
	s_wait_dscnt 0x0
	v_pk_fma_f16 v17, v10, v27, v7
	v_pk_fma_f16 v15, v10, v18, v15
	v_pk_fma_f16 v26, v10, v28, v26
	v_pk_fma_f16 v10, v10, v19, v6
	v_and_b32_e32 v6, 0xffff, v20
	v_dual_lshrrev_b32 v7, 16, v20 :: v_dual_lshrrev_b32 v20, 16, v21
	v_pk_fma_f16 v27, v11, v27, v8
	v_pk_fma_f16 v14, v11, v18, v14
	;; [unrolled: 1-line block ×3, first 2 shown]
	v_and_b32_e32 v18, 0xffff, v21
	v_mul_u32_u24_e32 v21, 0x10001, v6
	v_mul_u32_u24_e32 v28, 0x10001, v7
	ds_load_2addr_b64 v[6:9], v96 offset0:192 offset1:224
	v_mul_u32_u24_e32 v20, 0x10001, v20
	v_mul_u32_u24_e32 v18, 0x10001, v18
	v_pk_fma_f16 v5, v11, v19, v5
	v_pk_fma_f16 v11, v12, v21, v17
	;; [unrolled: 1-line block ×6, first 2 shown]
	v_and_b32_e32 v19, 0xffff, v22
	v_lshrrev_b32_e32 v21, 16, v22
	v_and_b32_e32 v22, 0xffff, v23
	v_lshrrev_b32_e32 v23, 16, v23
	v_pk_fma_f16 v16, v13, v18, v16
	v_mul_u32_u24_e32 v18, 0x10001, v19
	v_mul_u32_u24_e32 v19, 0x10001, v21
	;; [unrolled: 1-line block ×4, first 2 shown]
	v_pk_fma_f16 v14, v13, v28, v14
	v_pk_fma_f16 v5, v13, v20, v5
	s_wait_dscnt 0x0
	v_pk_fma_f16 v20, v6, v18, v11
	v_pk_fma_f16 v23, v6, v19, v15
	;; [unrolled: 1-line block ×5, first 2 shown]
	ds_load_b128 v[10:13], v107 offset:576
	v_pk_fma_f16 v19, v7, v19, v14
	v_and_b32_e32 v14, 0xffff, v24
	v_lshrrev_b32_e32 v15, 16, v24
	v_and_b32_e32 v17, 0xffff, v25
	v_pk_fma_f16 v24, v7, v21, v16
	v_lshrrev_b32_e32 v21, 16, v25
	v_mul_u32_u24_e32 v25, 0x10001, v14
	v_mul_u32_u24_e32 v27, 0x10001, v15
	;; [unrolled: 1-line block ×3, first 2 shown]
	ds_load_2addr_b64 v[14:17], v116 offset1:32
	v_mul_u32_u24_e32 v29, 0x10001, v21
	v_pk_fma_f16 v5, v7, v22, v5
	v_pk_fma_f16 v7, v8, v25, v20
	;; [unrolled: 1-line block ×7, first 2 shown]
	ds_load_b128 v[18:21], v107 offset:592
	s_wait_dscnt 0x2
	v_and_b32_e32 v26, 0xffff, v10
	v_lshrrev_b32_e32 v10, 16, v10
	v_and_b32_e32 v27, 0xffff, v11
	v_lshrrev_b32_e32 v11, 16, v11
	v_pk_fma_f16 v24, v9, v28, v24
	v_mul_u32_u24_e32 v26, 0x10001, v26
	v_mul_u32_u24_e32 v10, 0x10001, v10
	;; [unrolled: 1-line block ×4, first 2 shown]
	v_pk_fma_f16 v5, v9, v29, v5
	s_wait_dscnt 0x1
	v_pk_fma_f16 v28, v14, v26, v7
	v_pk_fma_f16 v22, v14, v10, v22
	;; [unrolled: 1-line block ×4, first 2 shown]
	v_and_b32_e32 v6, 0xffff, v12
	v_lshrrev_b32_e32 v7, 16, v12
	v_pk_fma_f16 v26, v15, v26, v8
	v_pk_fma_f16 v10, v15, v10, v25
	;; [unrolled: 1-line block ×3, first 2 shown]
	v_and_b32_e32 v24, 0xffff, v13
	v_lshrrev_b32_e32 v13, 16, v13
	v_mul_u32_u24_e32 v25, 0x10001, v6
	v_mul_u32_u24_e32 v27, 0x10001, v7
	ds_load_2addr_b64 v[6:9], v116 offset0:64 offset1:96
	v_mul_u32_u24_e32 v24, 0x10001, v24
	v_mul_u32_u24_e32 v13, 0x10001, v13
	v_pk_fma_f16 v5, v15, v11, v5
	v_pk_fma_f16 v15, v16, v27, v22
	;; [unrolled: 1-line block ×5, first 2 shown]
	s_wait_dscnt 0x1
	v_and_b32_e32 v10, 0xffff, v18
	v_pk_fma_f16 v14, v16, v13, v14
	v_pk_fma_f16 v16, v17, v25, v26
	v_lshrrev_b32_e32 v18, 16, v18
	v_and_b32_e32 v25, 0xffff, v19
	v_lshrrev_b32_e32 v19, 16, v19
	v_mul_u32_u24_e32 v10, 0x10001, v10
	v_pk_fma_f16 v24, v17, v24, v12
	v_mul_u32_u24_e32 v18, 0x10001, v18
	v_mul_u32_u24_e32 v25, 0x10001, v25
	;; [unrolled: 1-line block ×3, first 2 shown]
	v_pk_fma_f16 v5, v17, v13, v5
	s_wait_dscnt 0x0
	v_pk_fma_f16 v26, v6, v10, v11
	v_pk_fma_f16 v28, v7, v10, v16
	ds_load_b128 v[10:13], v107 offset:608
	v_pk_fma_f16 v27, v6, v18, v15
	v_pk_fma_f16 v22, v6, v25, v22
	;; [unrolled: 1-line block ×3, first 2 shown]
	v_and_b32_e32 v14, 0xffff, v20
	v_dual_lshrrev_b32 v15, 16, v20 :: v_dual_lshrrev_b32 v20, 16, v21
	v_and_b32_e32 v16, 0xffff, v21
	v_pk_fma_f16 v18, v7, v18, v23
	v_pk_fma_f16 v23, v7, v25, v24
	v_mul_u32_u24_e32 v21, 0x10001, v14
	v_mul_u32_u24_e32 v24, 0x10001, v15
	;; [unrolled: 1-line block ×3, first 2 shown]
	ds_load_2addr_b64 v[14:17], v116 offset0:128 offset1:160
	v_mul_u32_u24_e32 v29, 0x10001, v20
	v_pk_fma_f16 v5, v7, v19, v5
	v_pk_fma_f16 v7, v8, v21, v26
	;; [unrolled: 1-line block ×7, first 2 shown]
	ds_load_b128 v[18:21], v107 offset:624
	s_wait_dscnt 0x2
	v_and_b32_e32 v27, 0xffff, v10
	v_lshrrev_b32_e32 v10, 16, v10
	v_and_b32_e32 v28, 0xffff, v11
	v_lshrrev_b32_e32 v11, 16, v11
	v_pk_fma_f16 v23, v9, v25, v23
	v_mul_u32_u24_e32 v25, 0x10001, v27
	v_mul_u32_u24_e32 v10, 0x10001, v10
	;; [unrolled: 1-line block ×4, first 2 shown]
	v_pk_fma_f16 v5, v9, v29, v5
	s_wait_dscnt 0x1
	v_pk_fma_f16 v28, v14, v25, v7
	v_pk_fma_f16 v26, v14, v10, v26
	;; [unrolled: 1-line block ×4, first 2 shown]
	v_and_b32_e32 v6, 0xffff, v12
	v_lshrrev_b32_e32 v7, 16, v12
	v_pk_fma_f16 v25, v15, v25, v8
	v_pk_fma_f16 v10, v15, v10, v24
	;; [unrolled: 1-line block ×3, first 2 shown]
	v_and_b32_e32 v23, 0xffff, v13
	v_lshrrev_b32_e32 v13, 16, v13
	v_mul_u32_u24_e32 v24, 0x10001, v6
	v_mul_u32_u24_e32 v27, 0x10001, v7
	ds_load_2addr_b64 v[6:9], v116 offset0:192 offset1:224
	v_mul_u32_u24_e32 v23, 0x10001, v23
	v_mul_u32_u24_e32 v13, 0x10001, v13
	v_pk_fma_f16 v5, v15, v11, v5
	v_pk_fma_f16 v11, v16, v24, v28
	;; [unrolled: 1-line block ×7, first 2 shown]
	s_wait_dscnt 0x1
	v_and_b32_e32 v10, 0xffff, v18
	v_lshrrev_b32_e32 v18, 16, v18
	v_and_b32_e32 v25, 0xffff, v19
	v_lshrrev_b32_e32 v19, 16, v19
	v_pk_fma_f16 v23, v17, v23, v12
	v_mul_u32_u24_e32 v10, 0x10001, v10
	v_mul_u32_u24_e32 v18, 0x10001, v18
	;; [unrolled: 1-line block ×4, first 2 shown]
	v_pk_fma_f16 v5, v17, v13, v5
	s_wait_dscnt 0x0
	v_pk_fma_f16 v26, v6, v10, v11
	v_pk_fma_f16 v28, v7, v10, v16
	ds_load_b128 v[10:13], v107 offset:640
	v_pk_fma_f16 v27, v6, v18, v15
	v_pk_fma_f16 v22, v6, v25, v22
	;; [unrolled: 1-line block ×3, first 2 shown]
	v_and_b32_e32 v14, 0xffff, v20
	v_dual_lshrrev_b32 v15, 16, v20 :: v_dual_lshrrev_b32 v20, 16, v21
	v_and_b32_e32 v16, 0xffff, v21
	v_pk_fma_f16 v18, v7, v18, v24
	v_pk_fma_f16 v23, v7, v25, v23
	v_mul_u32_u24_e32 v21, 0x10001, v14
	v_mul_u32_u24_e32 v24, 0x10001, v15
	;; [unrolled: 1-line block ×3, first 2 shown]
	ds_load_2addr_b64 v[14:17], v117 offset1:32
	v_mul_u32_u24_e32 v29, 0x10001, v20
	v_pk_fma_f16 v5, v7, v19, v5
	v_pk_fma_f16 v7, v8, v21, v26
	;; [unrolled: 1-line block ×7, first 2 shown]
	ds_load_b128 v[18:21], v107 offset:656
	s_wait_dscnt 0x2
	v_and_b32_e32 v27, 0xffff, v10
	v_lshrrev_b32_e32 v10, 16, v10
	v_and_b32_e32 v28, 0xffff, v11
	v_lshrrev_b32_e32 v11, 16, v11
	v_pk_fma_f16 v23, v9, v25, v23
	v_mul_u32_u24_e32 v25, 0x10001, v27
	v_mul_u32_u24_e32 v10, 0x10001, v10
	;; [unrolled: 1-line block ×4, first 2 shown]
	v_pk_fma_f16 v5, v9, v29, v5
	s_wait_dscnt 0x1
	v_pk_fma_f16 v28, v14, v25, v7
	v_pk_fma_f16 v26, v14, v10, v26
	;; [unrolled: 1-line block ×4, first 2 shown]
	v_and_b32_e32 v6, 0xffff, v12
	v_lshrrev_b32_e32 v7, 16, v12
	v_pk_fma_f16 v25, v15, v25, v8
	v_pk_fma_f16 v10, v15, v10, v24
	;; [unrolled: 1-line block ×3, first 2 shown]
	v_and_b32_e32 v23, 0xffff, v13
	v_lshrrev_b32_e32 v13, 16, v13
	v_mul_u32_u24_e32 v24, 0x10001, v6
	v_mul_u32_u24_e32 v27, 0x10001, v7
	ds_load_2addr_b64 v[6:9], v117 offset0:64 offset1:96
	v_mul_u32_u24_e32 v23, 0x10001, v23
	v_mul_u32_u24_e32 v13, 0x10001, v13
	v_pk_fma_f16 v5, v15, v11, v5
	v_pk_fma_f16 v11, v16, v24, v28
	;; [unrolled: 1-line block ×7, first 2 shown]
	s_wait_dscnt 0x1
	v_and_b32_e32 v10, 0xffff, v18
	v_lshrrev_b32_e32 v18, 16, v18
	v_and_b32_e32 v25, 0xffff, v19
	v_lshrrev_b32_e32 v19, 16, v19
	v_pk_fma_f16 v23, v17, v23, v12
	v_mul_u32_u24_e32 v10, 0x10001, v10
	v_mul_u32_u24_e32 v18, 0x10001, v18
	;; [unrolled: 1-line block ×4, first 2 shown]
	v_pk_fma_f16 v5, v17, v13, v5
	s_wait_dscnt 0x0
	v_pk_fma_f16 v26, v6, v10, v11
	v_pk_fma_f16 v28, v7, v10, v16
	ds_load_b128 v[10:13], v107 offset:672
	v_pk_fma_f16 v27, v6, v18, v15
	v_pk_fma_f16 v22, v6, v25, v22
	;; [unrolled: 1-line block ×3, first 2 shown]
	v_and_b32_e32 v14, 0xffff, v20
	v_dual_lshrrev_b32 v15, 16, v20 :: v_dual_lshrrev_b32 v20, 16, v21
	v_and_b32_e32 v16, 0xffff, v21
	v_pk_fma_f16 v18, v7, v18, v24
	v_pk_fma_f16 v23, v7, v25, v23
	v_mul_u32_u24_e32 v21, 0x10001, v14
	v_mul_u32_u24_e32 v24, 0x10001, v15
	;; [unrolled: 1-line block ×3, first 2 shown]
	ds_load_2addr_b64 v[14:17], v117 offset0:128 offset1:160
	v_mul_u32_u24_e32 v29, 0x10001, v20
	v_pk_fma_f16 v5, v7, v19, v5
	v_pk_fma_f16 v7, v8, v21, v26
	;; [unrolled: 1-line block ×7, first 2 shown]
	ds_load_b128 v[18:21], v107 offset:688
	s_wait_dscnt 0x2
	v_and_b32_e32 v27, 0xffff, v10
	v_lshrrev_b32_e32 v10, 16, v10
	v_and_b32_e32 v28, 0xffff, v11
	v_lshrrev_b32_e32 v11, 16, v11
	v_pk_fma_f16 v23, v9, v25, v23
	v_mul_u32_u24_e32 v25, 0x10001, v27
	v_mul_u32_u24_e32 v10, 0x10001, v10
	;; [unrolled: 1-line block ×4, first 2 shown]
	v_pk_fma_f16 v5, v9, v29, v5
	s_wait_dscnt 0x1
	v_pk_fma_f16 v28, v14, v25, v7
	v_pk_fma_f16 v26, v14, v10, v26
	;; [unrolled: 1-line block ×4, first 2 shown]
	v_and_b32_e32 v6, 0xffff, v12
	v_lshrrev_b32_e32 v7, 16, v12
	v_pk_fma_f16 v25, v15, v25, v8
	v_pk_fma_f16 v10, v15, v10, v24
	;; [unrolled: 1-line block ×3, first 2 shown]
	v_and_b32_e32 v23, 0xffff, v13
	v_lshrrev_b32_e32 v13, 16, v13
	v_mul_u32_u24_e32 v24, 0x10001, v6
	v_mul_u32_u24_e32 v27, 0x10001, v7
	ds_load_2addr_b64 v[6:9], v117 offset0:192 offset1:224
	v_mul_u32_u24_e32 v23, 0x10001, v23
	v_mul_u32_u24_e32 v13, 0x10001, v13
	v_pk_fma_f16 v5, v15, v11, v5
	v_pk_fma_f16 v11, v16, v24, v28
	;; [unrolled: 1-line block ×7, first 2 shown]
	s_wait_dscnt 0x1
	v_and_b32_e32 v10, 0xffff, v18
	v_lshrrev_b32_e32 v18, 16, v18
	v_and_b32_e32 v25, 0xffff, v19
	v_lshrrev_b32_e32 v19, 16, v19
	v_pk_fma_f16 v23, v17, v23, v12
	v_mul_u32_u24_e32 v10, 0x10001, v10
	v_mul_u32_u24_e32 v18, 0x10001, v18
	;; [unrolled: 1-line block ×4, first 2 shown]
	v_pk_fma_f16 v5, v17, v13, v5
	s_wait_dscnt 0x0
	v_pk_fma_f16 v26, v6, v10, v11
	v_pk_fma_f16 v28, v7, v10, v16
	ds_load_b128 v[10:13], v107 offset:704
	v_pk_fma_f16 v27, v6, v18, v15
	v_pk_fma_f16 v22, v6, v25, v22
	;; [unrolled: 1-line block ×3, first 2 shown]
	v_and_b32_e32 v14, 0xffff, v20
	v_dual_lshrrev_b32 v15, 16, v20 :: v_dual_lshrrev_b32 v20, 16, v21
	v_and_b32_e32 v16, 0xffff, v21
	v_pk_fma_f16 v18, v7, v18, v24
	v_pk_fma_f16 v23, v7, v25, v23
	v_mul_u32_u24_e32 v21, 0x10001, v14
	v_mul_u32_u24_e32 v24, 0x10001, v15
	;; [unrolled: 1-line block ×3, first 2 shown]
	ds_load_2addr_b64 v[14:17], v118 offset1:32
	v_mul_u32_u24_e32 v29, 0x10001, v20
	v_pk_fma_f16 v5, v7, v19, v5
	v_pk_fma_f16 v7, v8, v21, v26
	;; [unrolled: 1-line block ×7, first 2 shown]
	ds_load_b128 v[18:21], v107 offset:720
	s_wait_dscnt 0x2
	v_and_b32_e32 v27, 0xffff, v10
	v_lshrrev_b32_e32 v10, 16, v10
	v_and_b32_e32 v28, 0xffff, v11
	v_lshrrev_b32_e32 v11, 16, v11
	v_pk_fma_f16 v23, v9, v25, v23
	v_mul_u32_u24_e32 v25, 0x10001, v27
	v_mul_u32_u24_e32 v10, 0x10001, v10
	;; [unrolled: 1-line block ×4, first 2 shown]
	v_pk_fma_f16 v5, v9, v29, v5
	s_wait_dscnt 0x1
	v_pk_fma_f16 v28, v14, v25, v7
	v_pk_fma_f16 v26, v14, v10, v26
	;; [unrolled: 1-line block ×4, first 2 shown]
	v_and_b32_e32 v6, 0xffff, v12
	v_lshrrev_b32_e32 v7, 16, v12
	v_pk_fma_f16 v25, v15, v25, v8
	v_pk_fma_f16 v10, v15, v10, v24
	;; [unrolled: 1-line block ×3, first 2 shown]
	v_and_b32_e32 v23, 0xffff, v13
	v_lshrrev_b32_e32 v13, 16, v13
	v_mul_u32_u24_e32 v24, 0x10001, v6
	v_mul_u32_u24_e32 v27, 0x10001, v7
	ds_load_2addr_b64 v[6:9], v118 offset0:64 offset1:96
	v_mul_u32_u24_e32 v23, 0x10001, v23
	v_mul_u32_u24_e32 v13, 0x10001, v13
	v_pk_fma_f16 v5, v15, v11, v5
	v_pk_fma_f16 v11, v16, v24, v28
	;; [unrolled: 1-line block ×7, first 2 shown]
	s_wait_dscnt 0x1
	v_and_b32_e32 v10, 0xffff, v18
	v_lshrrev_b32_e32 v18, 16, v18
	v_and_b32_e32 v25, 0xffff, v19
	v_lshrrev_b32_e32 v19, 16, v19
	v_pk_fma_f16 v23, v17, v23, v12
	v_mul_u32_u24_e32 v10, 0x10001, v10
	v_mul_u32_u24_e32 v18, 0x10001, v18
	;; [unrolled: 1-line block ×4, first 2 shown]
	v_pk_fma_f16 v5, v17, v13, v5
	s_wait_dscnt 0x0
	v_pk_fma_f16 v26, v6, v10, v11
	v_pk_fma_f16 v28, v7, v10, v16
	ds_load_b128 v[10:13], v107 offset:736
	v_pk_fma_f16 v27, v6, v18, v15
	v_pk_fma_f16 v22, v6, v25, v22
	;; [unrolled: 1-line block ×3, first 2 shown]
	v_and_b32_e32 v14, 0xffff, v20
	v_dual_lshrrev_b32 v15, 16, v20 :: v_dual_lshrrev_b32 v20, 16, v21
	v_and_b32_e32 v16, 0xffff, v21
	v_pk_fma_f16 v18, v7, v18, v24
	v_pk_fma_f16 v23, v7, v25, v23
	v_mul_u32_u24_e32 v21, 0x10001, v14
	v_mul_u32_u24_e32 v24, 0x10001, v15
	;; [unrolled: 1-line block ×3, first 2 shown]
	ds_load_2addr_b64 v[14:17], v118 offset0:128 offset1:160
	v_mul_u32_u24_e32 v29, 0x10001, v20
	v_pk_fma_f16 v5, v7, v19, v5
	v_pk_fma_f16 v7, v8, v21, v26
	;; [unrolled: 1-line block ×7, first 2 shown]
	ds_load_b128 v[18:21], v107 offset:752
	s_wait_dscnt 0x2
	v_and_b32_e32 v27, 0xffff, v10
	v_lshrrev_b32_e32 v10, 16, v10
	v_and_b32_e32 v28, 0xffff, v11
	v_lshrrev_b32_e32 v11, 16, v11
	v_pk_fma_f16 v23, v9, v25, v23
	v_mul_u32_u24_e32 v25, 0x10001, v27
	v_mul_u32_u24_e32 v10, 0x10001, v10
	v_mul_u32_u24_e32 v27, 0x10001, v28
	v_mul_u32_u24_e32 v11, 0x10001, v11
	v_pk_fma_f16 v5, v9, v29, v5
	s_wait_dscnt 0x1
	v_pk_fma_f16 v28, v14, v25, v7
	v_pk_fma_f16 v26, v14, v10, v26
	;; [unrolled: 1-line block ×4, first 2 shown]
	v_and_b32_e32 v6, 0xffff, v12
	v_lshrrev_b32_e32 v7, 16, v12
	v_pk_fma_f16 v25, v15, v25, v8
	v_pk_fma_f16 v10, v15, v10, v24
	;; [unrolled: 1-line block ×3, first 2 shown]
	v_and_b32_e32 v23, 0xffff, v13
	v_lshrrev_b32_e32 v13, 16, v13
	v_mul_u32_u24_e32 v24, 0x10001, v6
	v_mul_u32_u24_e32 v27, 0x10001, v7
	ds_load_2addr_b64 v[6:9], v118 offset0:192 offset1:224
	v_mul_u32_u24_e32 v23, 0x10001, v23
	v_mul_u32_u24_e32 v13, 0x10001, v13
	v_pk_fma_f16 v5, v15, v11, v5
	v_pk_fma_f16 v11, v16, v24, v28
	;; [unrolled: 1-line block ×7, first 2 shown]
	s_wait_dscnt 0x1
	v_and_b32_e32 v10, 0xffff, v18
	v_lshrrev_b32_e32 v18, 16, v18
	v_and_b32_e32 v25, 0xffff, v19
	v_lshrrev_b32_e32 v19, 16, v19
	v_pk_fma_f16 v23, v17, v23, v12
	v_mul_u32_u24_e32 v10, 0x10001, v10
	v_mul_u32_u24_e32 v18, 0x10001, v18
	;; [unrolled: 1-line block ×4, first 2 shown]
	v_pk_fma_f16 v5, v17, v13, v5
	s_wait_dscnt 0x0
	v_pk_fma_f16 v26, v6, v10, v11
	v_pk_fma_f16 v28, v7, v10, v16
	ds_load_b128 v[10:13], v107 offset:768
	v_pk_fma_f16 v27, v6, v18, v15
	v_pk_fma_f16 v22, v6, v25, v22
	;; [unrolled: 1-line block ×3, first 2 shown]
	v_and_b32_e32 v14, 0xffff, v20
	v_dual_lshrrev_b32 v15, 16, v20 :: v_dual_lshrrev_b32 v20, 16, v21
	v_and_b32_e32 v16, 0xffff, v21
	v_pk_fma_f16 v18, v7, v18, v24
	v_pk_fma_f16 v23, v7, v25, v23
	v_mul_u32_u24_e32 v21, 0x10001, v14
	v_mul_u32_u24_e32 v24, 0x10001, v15
	;; [unrolled: 1-line block ×3, first 2 shown]
	ds_load_2addr_b64 v[14:17], v119 offset1:32
	v_mul_u32_u24_e32 v29, 0x10001, v20
	v_pk_fma_f16 v5, v7, v19, v5
	v_pk_fma_f16 v7, v8, v21, v26
	;; [unrolled: 1-line block ×7, first 2 shown]
	ds_load_b128 v[18:21], v107 offset:784
	s_wait_dscnt 0x2
	v_and_b32_e32 v27, 0xffff, v10
	v_lshrrev_b32_e32 v10, 16, v10
	v_and_b32_e32 v28, 0xffff, v11
	v_lshrrev_b32_e32 v11, 16, v11
	v_pk_fma_f16 v23, v9, v25, v23
	v_mul_u32_u24_e32 v25, 0x10001, v27
	v_mul_u32_u24_e32 v10, 0x10001, v10
	v_mul_u32_u24_e32 v27, 0x10001, v28
	v_mul_u32_u24_e32 v11, 0x10001, v11
	v_pk_fma_f16 v5, v9, v29, v5
	s_wait_dscnt 0x1
	v_pk_fma_f16 v28, v14, v25, v7
	v_pk_fma_f16 v26, v14, v10, v26
	v_pk_fma_f16 v22, v14, v27, v22
	v_pk_fma_f16 v14, v14, v11, v6
	v_and_b32_e32 v6, 0xffff, v12
	v_lshrrev_b32_e32 v7, 16, v12
	v_pk_fma_f16 v25, v15, v25, v8
	v_pk_fma_f16 v10, v15, v10, v24
	;; [unrolled: 1-line block ×3, first 2 shown]
	v_and_b32_e32 v23, 0xffff, v13
	v_lshrrev_b32_e32 v13, 16, v13
	v_mul_u32_u24_e32 v24, 0x10001, v6
	v_mul_u32_u24_e32 v27, 0x10001, v7
	ds_load_2addr_b64 v[6:9], v119 offset0:64 offset1:96
	v_mul_u32_u24_e32 v23, 0x10001, v23
	v_mul_u32_u24_e32 v13, 0x10001, v13
	v_pk_fma_f16 v5, v15, v11, v5
	v_pk_fma_f16 v11, v16, v24, v28
	;; [unrolled: 1-line block ×7, first 2 shown]
	s_wait_dscnt 0x1
	v_and_b32_e32 v10, 0xffff, v18
	v_lshrrev_b32_e32 v18, 16, v18
	v_and_b32_e32 v25, 0xffff, v19
	v_lshrrev_b32_e32 v19, 16, v19
	v_pk_fma_f16 v23, v17, v23, v12
	v_mul_u32_u24_e32 v10, 0x10001, v10
	v_mul_u32_u24_e32 v18, 0x10001, v18
	;; [unrolled: 1-line block ×4, first 2 shown]
	v_pk_fma_f16 v5, v17, v13, v5
	s_wait_dscnt 0x0
	v_pk_fma_f16 v26, v6, v10, v11
	v_pk_fma_f16 v28, v7, v10, v16
	ds_load_b128 v[10:13], v107 offset:800
	v_pk_fma_f16 v27, v6, v18, v15
	v_pk_fma_f16 v22, v6, v25, v22
	;; [unrolled: 1-line block ×3, first 2 shown]
	v_and_b32_e32 v14, 0xffff, v20
	v_dual_lshrrev_b32 v15, 16, v20 :: v_dual_lshrrev_b32 v20, 16, v21
	v_and_b32_e32 v16, 0xffff, v21
	v_pk_fma_f16 v18, v7, v18, v24
	v_pk_fma_f16 v23, v7, v25, v23
	v_mul_u32_u24_e32 v21, 0x10001, v14
	v_mul_u32_u24_e32 v24, 0x10001, v15
	;; [unrolled: 1-line block ×3, first 2 shown]
	ds_load_2addr_b64 v[14:17], v119 offset0:128 offset1:160
	v_mul_u32_u24_e32 v29, 0x10001, v20
	v_pk_fma_f16 v5, v7, v19, v5
	v_pk_fma_f16 v7, v8, v21, v26
	;; [unrolled: 1-line block ×7, first 2 shown]
	ds_load_b128 v[18:21], v107 offset:816
	s_wait_dscnt 0x2
	v_and_b32_e32 v27, 0xffff, v10
	v_lshrrev_b32_e32 v10, 16, v10
	v_and_b32_e32 v28, 0xffff, v11
	v_lshrrev_b32_e32 v11, 16, v11
	v_pk_fma_f16 v23, v9, v25, v23
	v_mul_u32_u24_e32 v25, 0x10001, v27
	v_mul_u32_u24_e32 v10, 0x10001, v10
	;; [unrolled: 1-line block ×4, first 2 shown]
	v_pk_fma_f16 v5, v9, v29, v5
	s_wait_dscnt 0x1
	v_pk_fma_f16 v28, v14, v25, v7
	v_pk_fma_f16 v26, v14, v10, v26
	;; [unrolled: 1-line block ×4, first 2 shown]
	v_and_b32_e32 v6, 0xffff, v12
	v_lshrrev_b32_e32 v7, 16, v12
	v_pk_fma_f16 v25, v15, v25, v8
	v_pk_fma_f16 v10, v15, v10, v24
	;; [unrolled: 1-line block ×3, first 2 shown]
	v_and_b32_e32 v23, 0xffff, v13
	v_lshrrev_b32_e32 v13, 16, v13
	v_mul_u32_u24_e32 v24, 0x10001, v6
	v_mul_u32_u24_e32 v27, 0x10001, v7
	ds_load_2addr_b64 v[6:9], v119 offset0:192 offset1:224
	v_mul_u32_u24_e32 v23, 0x10001, v23
	v_mul_u32_u24_e32 v13, 0x10001, v13
	v_pk_fma_f16 v5, v15, v11, v5
	v_pk_fma_f16 v11, v16, v24, v28
	;; [unrolled: 1-line block ×7, first 2 shown]
	s_wait_dscnt 0x1
	v_and_b32_e32 v10, 0xffff, v18
	v_lshrrev_b32_e32 v18, 16, v18
	v_and_b32_e32 v25, 0xffff, v19
	v_lshrrev_b32_e32 v19, 16, v19
	v_pk_fma_f16 v23, v17, v23, v12
	v_mul_u32_u24_e32 v10, 0x10001, v10
	v_mul_u32_u24_e32 v18, 0x10001, v18
	;; [unrolled: 1-line block ×4, first 2 shown]
	v_pk_fma_f16 v5, v17, v13, v5
	s_wait_dscnt 0x0
	v_pk_fma_f16 v26, v6, v10, v11
	v_pk_fma_f16 v28, v7, v10, v16
	ds_load_b128 v[10:13], v107 offset:832
	v_pk_fma_f16 v27, v6, v18, v15
	v_pk_fma_f16 v22, v6, v25, v22
	;; [unrolled: 1-line block ×3, first 2 shown]
	v_and_b32_e32 v14, 0xffff, v20
	v_dual_lshrrev_b32 v15, 16, v20 :: v_dual_lshrrev_b32 v20, 16, v21
	v_and_b32_e32 v16, 0xffff, v21
	v_pk_fma_f16 v18, v7, v18, v24
	v_pk_fma_f16 v23, v7, v25, v23
	v_mul_u32_u24_e32 v21, 0x10001, v14
	v_mul_u32_u24_e32 v24, 0x10001, v15
	;; [unrolled: 1-line block ×3, first 2 shown]
	ds_load_2addr_b64 v[14:17], v120 offset1:32
	v_mul_u32_u24_e32 v29, 0x10001, v20
	v_pk_fma_f16 v5, v7, v19, v5
	v_pk_fma_f16 v7, v8, v21, v26
	;; [unrolled: 1-line block ×7, first 2 shown]
	ds_load_b128 v[18:21], v107 offset:848
	s_wait_dscnt 0x2
	v_and_b32_e32 v27, 0xffff, v10
	v_lshrrev_b32_e32 v10, 16, v10
	v_and_b32_e32 v28, 0xffff, v11
	v_lshrrev_b32_e32 v11, 16, v11
	v_pk_fma_f16 v23, v9, v25, v23
	v_mul_u32_u24_e32 v25, 0x10001, v27
	v_mul_u32_u24_e32 v10, 0x10001, v10
	;; [unrolled: 1-line block ×4, first 2 shown]
	v_pk_fma_f16 v5, v9, v29, v5
	s_wait_dscnt 0x1
	v_pk_fma_f16 v28, v14, v25, v7
	v_pk_fma_f16 v26, v14, v10, v26
	;; [unrolled: 1-line block ×4, first 2 shown]
	v_and_b32_e32 v6, 0xffff, v12
	v_lshrrev_b32_e32 v7, 16, v12
	v_pk_fma_f16 v25, v15, v25, v8
	v_pk_fma_f16 v10, v15, v10, v24
	;; [unrolled: 1-line block ×3, first 2 shown]
	v_and_b32_e32 v23, 0xffff, v13
	v_lshrrev_b32_e32 v13, 16, v13
	v_mul_u32_u24_e32 v24, 0x10001, v6
	v_mul_u32_u24_e32 v27, 0x10001, v7
	ds_load_2addr_b64 v[6:9], v120 offset0:64 offset1:96
	v_mul_u32_u24_e32 v23, 0x10001, v23
	v_mul_u32_u24_e32 v13, 0x10001, v13
	v_pk_fma_f16 v5, v15, v11, v5
	v_pk_fma_f16 v11, v16, v24, v28
	v_pk_fma_f16 v15, v16, v27, v26
	v_pk_fma_f16 v22, v16, v23, v22
	v_pk_fma_f16 v14, v16, v13, v14
	v_pk_fma_f16 v16, v17, v24, v25
	v_pk_fma_f16 v24, v17, v27, v10
	s_wait_dscnt 0x1
	v_and_b32_e32 v10, 0xffff, v18
	v_lshrrev_b32_e32 v18, 16, v18
	v_and_b32_e32 v25, 0xffff, v19
	v_lshrrev_b32_e32 v19, 16, v19
	v_pk_fma_f16 v23, v17, v23, v12
	v_mul_u32_u24_e32 v10, 0x10001, v10
	v_mul_u32_u24_e32 v18, 0x10001, v18
	;; [unrolled: 1-line block ×4, first 2 shown]
	v_pk_fma_f16 v5, v17, v13, v5
	s_wait_dscnt 0x0
	v_pk_fma_f16 v26, v6, v10, v11
	v_pk_fma_f16 v28, v7, v10, v16
	ds_load_b128 v[10:13], v107 offset:864
	v_pk_fma_f16 v27, v6, v18, v15
	v_pk_fma_f16 v22, v6, v25, v22
	;; [unrolled: 1-line block ×3, first 2 shown]
	v_and_b32_e32 v14, 0xffff, v20
	v_dual_lshrrev_b32 v15, 16, v20 :: v_dual_lshrrev_b32 v20, 16, v21
	v_and_b32_e32 v16, 0xffff, v21
	v_pk_fma_f16 v18, v7, v18, v24
	v_pk_fma_f16 v23, v7, v25, v23
	v_mul_u32_u24_e32 v21, 0x10001, v14
	v_mul_u32_u24_e32 v24, 0x10001, v15
	;; [unrolled: 1-line block ×3, first 2 shown]
	ds_load_2addr_b64 v[14:17], v120 offset0:128 offset1:160
	v_mul_u32_u24_e32 v29, 0x10001, v20
	v_pk_fma_f16 v5, v7, v19, v5
	v_pk_fma_f16 v7, v8, v21, v26
	;; [unrolled: 1-line block ×7, first 2 shown]
	ds_load_b128 v[18:21], v107 offset:880
	s_wait_dscnt 0x2
	v_and_b32_e32 v27, 0xffff, v10
	v_lshrrev_b32_e32 v10, 16, v10
	v_and_b32_e32 v28, 0xffff, v11
	v_lshrrev_b32_e32 v11, 16, v11
	v_pk_fma_f16 v23, v9, v25, v23
	v_mul_u32_u24_e32 v25, 0x10001, v27
	v_mul_u32_u24_e32 v10, 0x10001, v10
	;; [unrolled: 1-line block ×4, first 2 shown]
	v_pk_fma_f16 v5, v9, v29, v5
	s_wait_dscnt 0x1
	v_pk_fma_f16 v28, v14, v25, v7
	v_pk_fma_f16 v26, v14, v10, v26
	;; [unrolled: 1-line block ×4, first 2 shown]
	v_and_b32_e32 v6, 0xffff, v12
	v_lshrrev_b32_e32 v7, 16, v12
	v_pk_fma_f16 v25, v15, v25, v8
	v_pk_fma_f16 v10, v15, v10, v24
	;; [unrolled: 1-line block ×3, first 2 shown]
	v_and_b32_e32 v23, 0xffff, v13
	v_lshrrev_b32_e32 v13, 16, v13
	v_mul_u32_u24_e32 v24, 0x10001, v6
	v_mul_u32_u24_e32 v27, 0x10001, v7
	ds_load_2addr_b64 v[6:9], v120 offset0:192 offset1:224
	v_mul_u32_u24_e32 v23, 0x10001, v23
	v_mul_u32_u24_e32 v13, 0x10001, v13
	v_pk_fma_f16 v5, v15, v11, v5
	v_pk_fma_f16 v11, v16, v24, v28
	;; [unrolled: 1-line block ×7, first 2 shown]
	s_wait_dscnt 0x1
	v_and_b32_e32 v10, 0xffff, v18
	v_lshrrev_b32_e32 v18, 16, v18
	v_and_b32_e32 v25, 0xffff, v19
	v_lshrrev_b32_e32 v19, 16, v19
	v_pk_fma_f16 v23, v17, v23, v12
	v_mul_u32_u24_e32 v10, 0x10001, v10
	v_mul_u32_u24_e32 v18, 0x10001, v18
	;; [unrolled: 1-line block ×4, first 2 shown]
	v_pk_fma_f16 v5, v17, v13, v5
	s_wait_dscnt 0x0
	v_pk_fma_f16 v26, v6, v10, v11
	v_pk_fma_f16 v28, v7, v10, v16
	ds_load_b128 v[10:13], v107 offset:896
	v_pk_fma_f16 v27, v6, v18, v15
	v_pk_fma_f16 v22, v6, v25, v22
	;; [unrolled: 1-line block ×3, first 2 shown]
	v_and_b32_e32 v14, 0xffff, v20
	v_dual_lshrrev_b32 v15, 16, v20 :: v_dual_lshrrev_b32 v20, 16, v21
	v_and_b32_e32 v16, 0xffff, v21
	v_pk_fma_f16 v18, v7, v18, v24
	v_pk_fma_f16 v23, v7, v25, v23
	v_mul_u32_u24_e32 v21, 0x10001, v14
	v_mul_u32_u24_e32 v24, 0x10001, v15
	;; [unrolled: 1-line block ×3, first 2 shown]
	ds_load_2addr_b64 v[14:17], v121 offset1:32
	v_mul_u32_u24_e32 v29, 0x10001, v20
	v_pk_fma_f16 v5, v7, v19, v5
	v_pk_fma_f16 v7, v8, v21, v26
	;; [unrolled: 1-line block ×7, first 2 shown]
	ds_load_b128 v[18:21], v107 offset:912
	s_wait_dscnt 0x2
	v_and_b32_e32 v27, 0xffff, v10
	v_lshrrev_b32_e32 v10, 16, v10
	v_and_b32_e32 v28, 0xffff, v11
	v_lshrrev_b32_e32 v11, 16, v11
	v_pk_fma_f16 v23, v9, v25, v23
	v_mul_u32_u24_e32 v25, 0x10001, v27
	v_mul_u32_u24_e32 v10, 0x10001, v10
	;; [unrolled: 1-line block ×4, first 2 shown]
	v_pk_fma_f16 v5, v9, v29, v5
	s_wait_dscnt 0x1
	v_pk_fma_f16 v28, v14, v25, v7
	v_pk_fma_f16 v26, v14, v10, v26
	;; [unrolled: 1-line block ×4, first 2 shown]
	v_and_b32_e32 v6, 0xffff, v12
	v_lshrrev_b32_e32 v7, 16, v12
	v_pk_fma_f16 v25, v15, v25, v8
	v_pk_fma_f16 v10, v15, v10, v24
	;; [unrolled: 1-line block ×3, first 2 shown]
	v_and_b32_e32 v23, 0xffff, v13
	v_lshrrev_b32_e32 v13, 16, v13
	v_mul_u32_u24_e32 v24, 0x10001, v6
	v_mul_u32_u24_e32 v27, 0x10001, v7
	ds_load_2addr_b64 v[6:9], v121 offset0:64 offset1:96
	v_mul_u32_u24_e32 v23, 0x10001, v23
	v_mul_u32_u24_e32 v13, 0x10001, v13
	v_pk_fma_f16 v5, v15, v11, v5
	v_pk_fma_f16 v11, v16, v24, v28
	;; [unrolled: 1-line block ×7, first 2 shown]
	s_wait_dscnt 0x1
	v_and_b32_e32 v10, 0xffff, v18
	v_lshrrev_b32_e32 v18, 16, v18
	v_and_b32_e32 v25, 0xffff, v19
	v_lshrrev_b32_e32 v19, 16, v19
	v_pk_fma_f16 v23, v17, v23, v12
	v_mul_u32_u24_e32 v10, 0x10001, v10
	v_mul_u32_u24_e32 v18, 0x10001, v18
	;; [unrolled: 1-line block ×4, first 2 shown]
	v_pk_fma_f16 v5, v17, v13, v5
	s_wait_dscnt 0x0
	v_pk_fma_f16 v26, v6, v10, v11
	v_pk_fma_f16 v28, v7, v10, v16
	ds_load_b128 v[10:13], v107 offset:928
	v_pk_fma_f16 v27, v6, v18, v15
	v_pk_fma_f16 v22, v6, v25, v22
	;; [unrolled: 1-line block ×3, first 2 shown]
	v_and_b32_e32 v14, 0xffff, v20
	v_dual_lshrrev_b32 v15, 16, v20 :: v_dual_lshrrev_b32 v20, 16, v21
	v_and_b32_e32 v16, 0xffff, v21
	v_pk_fma_f16 v18, v7, v18, v24
	v_pk_fma_f16 v23, v7, v25, v23
	v_mul_u32_u24_e32 v21, 0x10001, v14
	v_mul_u32_u24_e32 v24, 0x10001, v15
	;; [unrolled: 1-line block ×3, first 2 shown]
	ds_load_2addr_b64 v[14:17], v121 offset0:128 offset1:160
	v_mul_u32_u24_e32 v29, 0x10001, v20
	v_pk_fma_f16 v5, v7, v19, v5
	v_pk_fma_f16 v7, v8, v21, v26
	;; [unrolled: 1-line block ×7, first 2 shown]
	ds_load_b128 v[18:21], v107 offset:944
	s_wait_dscnt 0x2
	v_and_b32_e32 v27, 0xffff, v10
	v_lshrrev_b32_e32 v10, 16, v10
	v_and_b32_e32 v28, 0xffff, v11
	v_lshrrev_b32_e32 v11, 16, v11
	v_pk_fma_f16 v23, v9, v25, v23
	v_mul_u32_u24_e32 v25, 0x10001, v27
	v_mul_u32_u24_e32 v10, 0x10001, v10
	;; [unrolled: 1-line block ×4, first 2 shown]
	v_pk_fma_f16 v5, v9, v29, v5
	s_wait_dscnt 0x1
	v_pk_fma_f16 v28, v14, v25, v7
	v_pk_fma_f16 v26, v14, v10, v26
	;; [unrolled: 1-line block ×4, first 2 shown]
	v_and_b32_e32 v6, 0xffff, v12
	v_lshrrev_b32_e32 v7, 16, v12
	v_pk_fma_f16 v25, v15, v25, v8
	v_pk_fma_f16 v10, v15, v10, v24
	;; [unrolled: 1-line block ×3, first 2 shown]
	v_and_b32_e32 v23, 0xffff, v13
	v_lshrrev_b32_e32 v13, 16, v13
	v_mul_u32_u24_e32 v24, 0x10001, v6
	v_mul_u32_u24_e32 v27, 0x10001, v7
	ds_load_2addr_b64 v[6:9], v121 offset0:192 offset1:224
	v_mul_u32_u24_e32 v23, 0x10001, v23
	v_mul_u32_u24_e32 v13, 0x10001, v13
	v_pk_fma_f16 v5, v15, v11, v5
	v_pk_fma_f16 v11, v16, v24, v28
	;; [unrolled: 1-line block ×7, first 2 shown]
	s_wait_dscnt 0x1
	v_and_b32_e32 v10, 0xffff, v18
	v_lshrrev_b32_e32 v18, 16, v18
	v_and_b32_e32 v25, 0xffff, v19
	v_lshrrev_b32_e32 v19, 16, v19
	v_pk_fma_f16 v23, v17, v23, v12
	v_mul_u32_u24_e32 v10, 0x10001, v10
	v_mul_u32_u24_e32 v18, 0x10001, v18
	;; [unrolled: 1-line block ×4, first 2 shown]
	v_pk_fma_f16 v5, v17, v13, v5
	s_wait_dscnt 0x0
	v_pk_fma_f16 v26, v6, v10, v11
	v_pk_fma_f16 v28, v7, v10, v16
	ds_load_b128 v[10:13], v107 offset:960
	v_pk_fma_f16 v27, v6, v18, v15
	v_pk_fma_f16 v22, v6, v25, v22
	;; [unrolled: 1-line block ×3, first 2 shown]
	v_and_b32_e32 v14, 0xffff, v20
	v_dual_lshrrev_b32 v15, 16, v20 :: v_dual_lshrrev_b32 v20, 16, v21
	v_and_b32_e32 v16, 0xffff, v21
	v_pk_fma_f16 v18, v7, v18, v24
	v_pk_fma_f16 v23, v7, v25, v23
	v_mul_u32_u24_e32 v21, 0x10001, v14
	v_mul_u32_u24_e32 v24, 0x10001, v15
	;; [unrolled: 1-line block ×3, first 2 shown]
	ds_load_2addr_b64 v[14:17], v4 offset1:32
	v_mul_u32_u24_e32 v29, 0x10001, v20
	v_pk_fma_f16 v5, v7, v19, v5
	v_pk_fma_f16 v7, v8, v21, v26
	;; [unrolled: 1-line block ×7, first 2 shown]
	ds_load_b128 v[18:21], v107 offset:976
	s_wait_dscnt 0x2
	v_and_b32_e32 v27, 0xffff, v10
	v_lshrrev_b32_e32 v10, 16, v10
	v_and_b32_e32 v28, 0xffff, v11
	v_lshrrev_b32_e32 v11, 16, v11
	v_pk_fma_f16 v23, v9, v25, v23
	v_mul_u32_u24_e32 v25, 0x10001, v27
	v_mul_u32_u24_e32 v10, 0x10001, v10
	;; [unrolled: 1-line block ×4, first 2 shown]
	v_pk_fma_f16 v5, v9, v29, v5
	s_wait_dscnt 0x1
	v_pk_fma_f16 v28, v14, v25, v7
	v_pk_fma_f16 v26, v14, v10, v26
	;; [unrolled: 1-line block ×4, first 2 shown]
	v_and_b32_e32 v6, 0xffff, v12
	v_lshrrev_b32_e32 v7, 16, v12
	v_pk_fma_f16 v25, v15, v25, v8
	v_pk_fma_f16 v10, v15, v10, v24
	;; [unrolled: 1-line block ×3, first 2 shown]
	v_and_b32_e32 v23, 0xffff, v13
	v_lshrrev_b32_e32 v13, 16, v13
	v_mul_u32_u24_e32 v24, 0x10001, v6
	v_mul_u32_u24_e32 v27, 0x10001, v7
	ds_load_2addr_b64 v[6:9], v4 offset0:64 offset1:96
	v_mul_u32_u24_e32 v23, 0x10001, v23
	v_mul_u32_u24_e32 v13, 0x10001, v13
	v_pk_fma_f16 v5, v15, v11, v5
	v_pk_fma_f16 v11, v16, v24, v28
	;; [unrolled: 1-line block ×7, first 2 shown]
	s_wait_dscnt 0x1
	v_and_b32_e32 v10, 0xffff, v18
	v_lshrrev_b32_e32 v18, 16, v18
	v_and_b32_e32 v25, 0xffff, v19
	v_lshrrev_b32_e32 v19, 16, v19
	v_pk_fma_f16 v23, v17, v23, v12
	v_mul_u32_u24_e32 v10, 0x10001, v10
	v_mul_u32_u24_e32 v18, 0x10001, v18
	v_mul_u32_u24_e32 v25, 0x10001, v25
	v_mul_u32_u24_e32 v19, 0x10001, v19
	v_pk_fma_f16 v5, v17, v13, v5
	s_wait_dscnt 0x0
	v_pk_fma_f16 v26, v6, v10, v11
	v_pk_fma_f16 v28, v7, v10, v16
	ds_load_b128 v[10:13], v107 offset:992
	v_pk_fma_f16 v27, v6, v18, v15
	v_pk_fma_f16 v22, v6, v25, v22
	;; [unrolled: 1-line block ×3, first 2 shown]
	v_and_b32_e32 v14, 0xffff, v20
	v_dual_lshrrev_b32 v15, 16, v20 :: v_dual_lshrrev_b32 v20, 16, v21
	v_and_b32_e32 v16, 0xffff, v21
	v_pk_fma_f16 v18, v7, v18, v24
	v_pk_fma_f16 v23, v7, v25, v23
	v_mul_u32_u24_e32 v21, 0x10001, v14
	v_mul_u32_u24_e32 v24, 0x10001, v15
	;; [unrolled: 1-line block ×3, first 2 shown]
	ds_load_2addr_b64 v[14:17], v4 offset0:128 offset1:160
	v_mul_u32_u24_e32 v29, 0x10001, v20
	v_pk_fma_f16 v5, v7, v19, v5
	v_pk_fma_f16 v7, v8, v21, v26
	;; [unrolled: 1-line block ×7, first 2 shown]
	ds_load_b128 v[18:21], v107 offset:1008
	s_wait_dscnt 0x2
	v_and_b32_e32 v27, 0xffff, v10
	v_lshrrev_b32_e32 v10, 16, v10
	v_and_b32_e32 v28, 0xffff, v11
	v_lshrrev_b32_e32 v11, 16, v11
	v_pk_fma_f16 v23, v9, v25, v23
	v_mul_u32_u24_e32 v25, 0x10001, v27
	v_mul_u32_u24_e32 v10, 0x10001, v10
	;; [unrolled: 1-line block ×4, first 2 shown]
	v_pk_fma_f16 v9, v9, v29, v5
	s_wait_dscnt 0x1
	v_pk_fma_f16 v28, v14, v25, v7
	v_pk_fma_f16 v26, v14, v10, v26
	;; [unrolled: 1-line block ×4, first 2 shown]
	v_and_b32_e32 v5, 0xffff, v12
	v_lshrrev_b32_e32 v6, 16, v12
	v_pk_fma_f16 v8, v15, v25, v8
	v_pk_fma_f16 v10, v15, v10, v24
	;; [unrolled: 1-line block ×3, first 2 shown]
	v_and_b32_e32 v23, 0xffff, v13
	v_lshrrev_b32_e32 v13, 16, v13
	v_mul_u32_u24_e32 v24, 0x10001, v5
	v_mul_u32_u24_e32 v25, 0x10001, v6
	ds_load_2addr_b64 v[4:7], v4 offset0:192 offset1:224
	v_mul_u32_u24_e32 v23, 0x10001, v23
	v_mul_u32_u24_e32 v13, 0x10001, v13
	s_wait_dscnt 0x0
	s_barrier_signal -1
	s_barrier_wait -1
	s_load_b32 s5, s[20:21], 0x4
	v_pk_fma_f16 v9, v15, v11, v9
	v_pk_fma_f16 v11, v16, v24, v28
	;; [unrolled: 1-line block ×6, first 2 shown]
	v_and_b32_e32 v16, 0xffff, v18
	v_lshrrev_b32_e32 v18, 16, v18
	v_and_b32_e32 v24, 0xffff, v19
	v_lshrrev_b32_e32 v19, 16, v19
	v_pk_fma_f16 v10, v17, v25, v10
	v_pk_fma_f16 v12, v17, v23, v12
	v_mul_u32_u24_e32 v16, 0x10001, v16
	v_mul_u32_u24_e32 v18, 0x10001, v18
	;; [unrolled: 1-line block ×4, first 2 shown]
	v_pk_fma_f16 v9, v17, v13, v9
	v_pk_fma_f16 v11, v4, v16, v11
	;; [unrolled: 1-line block ×7, first 2 shown]
	v_and_b32_e32 v14, 0xffff, v20
	v_dual_lshrrev_b32 v16, 16, v20 :: v_dual_lshrrev_b32 v18, 16, v21
	v_and_b32_e32 v17, 0xffff, v21
	v_pk_fma_f16 v12, v5, v23, v12
	s_delay_alu instid0(VALU_DEP_4) | instskip(NEXT) | instid1(VALU_DEP_4)
	v_mul_u32_u24_e32 v14, 0x10001, v14
	v_mul_u32_u24_e32 v16, 0x10001, v16
	;; [unrolled: 1-line block ×4, first 2 shown]
	v_pk_fma_f16 v5, v5, v19, v9
	s_wait_kmcnt 0x0
	s_lshl_b32 s5, s5, 7
	v_pk_fma_f16 v38, v6, v14, v11
	v_pk_fma_f16 v36, v6, v16, v13
	;; [unrolled: 1-line block ×8, first 2 shown]
	s_add_co_i32 s4, s5, s4
	s_delay_alu instid0(SALU_CYCLE_1)
	s_cmp_ge_i32 s4, s28
	s_cbranch_scc1 .LBB72_75
; %bb.74:                               ;   in Loop: Header=BB72_9 Depth=1
	v_dual_mov_b32 v42, v0 :: v_dual_mov_b32 v43, v1
	v_dual_mov_b32 v41, v2 :: v_dual_mov_b32 v40, v3
	s_branch .LBB72_9
.LBB72_75:
	v_mov_b32_e32 v5, v97
.LBB72_76:
	v_cmp_lt_i32_e32 vcc_lo, v115, v98
	s_cmp_lg_u64 s[12:13], 0
	s_cselect_b32 s3, -1, 0
	s_cmp_eq_u32 s29, 0
	v_cndmask_b32_e32 v4, v5, v115, vcc_lo
	v_cmp_lt_i32_e32 vcc_lo, v114, v98
	s_cselect_b32 s4, -1, 0
	s_delay_alu instid0(SALU_CYCLE_1) | instskip(NEXT) | instid1(VALU_DEP_2)
	s_and_b32 s3, s4, s3
	v_lshlrev_b32_e32 v4, 2, v4
	ds_bpermute_b32 v6, v4, v72
	ds_bpermute_b32 v7, v4, v73
	ds_bpermute_b32 v8, v4, v70
	ds_bpermute_b32 v9, v4, v71
	v_cndmask_b32_e32 v4, v5, v114, vcc_lo
	v_cmp_lt_i32_e32 vcc_lo, v113, v98
	s_delay_alu instid0(VALU_DEP_2)
	v_lshlrev_b32_e32 v4, 2, v4
	s_wait_dscnt 0x2
	v_pk_add_f32 v[6:7], v[72:73], v[6:7]
	s_wait_dscnt 0x0
	v_pk_add_f32 v[8:9], v[70:71], v[8:9]
	ds_bpermute_b32 v10, v4, v6
	ds_bpermute_b32 v11, v4, v7
	ds_bpermute_b32 v12, v4, v8
	ds_bpermute_b32 v13, v4, v9
	v_cndmask_b32_e32 v4, v5, v113, vcc_lo
	v_cmp_lt_i32_e32 vcc_lo, v112, v98
	s_delay_alu instid0(VALU_DEP_2)
	v_lshlrev_b32_e32 v4, 2, v4
	s_wait_dscnt 0x2
	v_pk_add_f32 v[6:7], v[6:7], v[10:11]
	s_wait_dscnt 0x0
	v_pk_add_f32 v[8:9], v[8:9], v[12:13]
	;; [unrolled: 12-line block ×3, first 2 shown]
	ds_bpermute_b32 v10, v4, v6
	ds_bpermute_b32 v11, v4, v7
	;; [unrolled: 1-line block ×4, first 2 shown]
	v_cndmask_b32_e32 v4, v5, v111, vcc_lo
	s_and_b32 vcc_lo, exec_lo, s3
	s_delay_alu instid0(VALU_DEP_1)
	v_lshlrev_b32_e32 v14, 2, v4
	s_wait_dscnt 0x2
	v_pk_add_f32 v[4:5], v[6:7], v[10:11]
	s_wait_dscnt 0x0
	v_pk_add_f32 v[8:9], v[8:9], v[12:13]
	ds_bpermute_b32 v6, v14, v4
	ds_bpermute_b32 v7, v14, v5
	;; [unrolled: 1-line block ×4, first 2 shown]
	s_wait_dscnt 0x2
	v_pk_add_f32 v[6:7], v[4:5], v[6:7]
	s_wait_dscnt 0x0
	v_pk_add_f32 v[4:5], v[8:9], v[10:11]
	v_add_nc_u32_e32 v8, s33, v68
	s_cbranch_vccz .LBB72_78
; %bb.77:
	s_delay_alu instid0(VALU_DEP_1) | instskip(SKIP_1) | instid1(VALU_DEP_2)
	v_dual_ashrrev_i32 v9, 31, v8 :: v_dual_max_num_f32 v15, v1, v1
	v_dual_max_num_f32 v16, v2, v2 :: v_dual_max_num_f32 v17, v3, v3
	v_lshl_add_u64 v[10:11], v[8:9], 2, s[12:13]
	v_max_num_f32_e32 v9, v0, v0
	global_load_b128 v[10:13], v[10:11], off
	s_wait_loadcnt 0x0
	v_dual_max_num_f32 v14, v10, v10 :: v_dual_max_num_f32 v18, v11, v11
	v_dual_max_num_f32 v19, v12, v12 :: v_dual_max_num_f32 v20, v13, v13
	s_delay_alu instid0(VALU_DEP_2) | instskip(NEXT) | instid1(VALU_DEP_2)
	v_max_num_f32_e32 v14, v9, v14
	v_dual_max_num_f32 v15, v15, v18 :: v_dual_max_num_f32 v16, v16, v19
	s_delay_alu instid0(VALU_DEP_2) | instskip(NEXT) | instid1(VALU_DEP_2)
	v_dual_max_num_f32 v17, v17, v20 :: v_dual_sub_f32 v0, v0, v14
	v_dual_sub_f32 v9, v10, v14 :: v_dual_sub_f32 v1, v1, v15
	s_delay_alu instid0(VALU_DEP_3) | instskip(NEXT) | instid1(VALU_DEP_3)
	v_dual_sub_f32 v10, v11, v15 :: v_dual_sub_f32 v11, v2, v16
	v_dual_sub_f32 v13, v13, v17 :: v_dual_mul_f32 v2, 0x3fb8aa3b, v0
	v_dual_sub_f32 v12, v12, v16 :: v_dual_sub_f32 v18, v3, v17
	s_delay_alu instid0(VALU_DEP_4) | instskip(NEXT) | instid1(VALU_DEP_4)
	v_mul_f32_e32 v19, 0x3fb8aa3b, v1
	v_dual_mul_f32 v3, 0x3fb8aa3b, v9 :: v_dual_mul_f32 v20, 0x3fb8aa3b, v10
	s_delay_alu instid0(VALU_DEP_4) | instskip(SKIP_4) | instid1(VALU_DEP_4)
	v_fma_f32 v25, 0x3fb8aa3b, v0, -v2
	v_rndne_f32_e32 v26, v2
	v_mul_f32_e32 v22, 0x3fb8aa3b, v12
	v_rndne_f32_e32 v30, v19
	v_fma_f32 v29, 0x3fb8aa3b, v1, -v19
	v_dual_fmac_f32 v25, 0x32a5705f, v0 :: v_dual_sub_f32 v2, v2, v26
	v_dual_mul_f32 v21, 0x3fb8aa3b, v11 :: v_dual_mul_f32 v24, 0x3fb8aa3b, v13
	s_delay_alu instid0(VALU_DEP_4) | instskip(SKIP_1) | instid1(VALU_DEP_4)
	v_sub_f32_e32 v19, v19, v30
	v_rndne_f32_e32 v28, v3
	v_add_f32_e32 v2, v2, v25
	v_rndne_f32_e32 v40, v20
	v_mul_f32_e32 v23, 0x3fb8aa3b, v18
	v_fma_f32 v41, 0x3fb8aa3b, v11, -v21
	v_rndne_f32_e32 v42, v21
	v_exp_f32_e32 v2, v2
	v_cvt_i32_f32_e32 v26, v26
	v_fma_f32 v27, 0x3fb8aa3b, v9, -v3
	v_fma_f32 v31, 0x3fb8aa3b, v10, -v20
	v_dual_sub_f32 v3, v3, v28 :: v_dual_sub_f32 v21, v21, v42
	v_sub_f32_e32 v20, v20, v40
	v_rndne_f32_e32 v46, v23
	v_ldexp_f32 v2, v2, v26
	v_cmp_ngt_f32_e32 vcc_lo, 0xc2ce8ed0, v0
	v_fmac_f32_e32 v41, 0x32a5705f, v11
	v_fma_f32 v45, 0x3fb8aa3b, v18, -v23
	v_rndne_f32_e32 v44, v22
	v_dual_fmac_f32 v27, 0x32a5705f, v9 :: v_dual_cndmask_b32 v2, 0, v2
	s_delay_alu instid0(VALU_DEP_4)
	v_dual_sub_f32 v23, v23, v46 :: v_dual_add_f32 v21, v21, v41
	v_cvt_i32_f32_e32 v42, v42
	v_fma_f32 v43, 0x3fb8aa3b, v12, -v22
	v_sub_f32_e32 v22, v22, v44
	v_rndne_f32_e32 v48, v24
	v_exp_f32_e32 v21, v21
	v_cvt_i32_f32_e32 v28, v28
	v_fmac_f32_e32 v29, 0x32a5705f, v1
	v_fma_f32 v47, 0x3fb8aa3b, v13, -v24
	v_fmac_f32_e32 v43, 0x32a5705f, v12
	v_dual_fmac_f32 v31, 0x32a5705f, v10 :: v_dual_sub_f32 v24, v24, v48
	s_delay_alu instid0(TRANS32_DEP_1)
	v_ldexp_f32 v21, v21, v42
	v_add_f32_e32 v3, v3, v27
	v_cmp_ngt_f32_e32 vcc_lo, 0xc2ce8ed0, v9
	v_add_f32_e32 v22, v22, v43
	v_add_f32_e32 v20, v20, v31
	v_cvt_i32_f32_e32 v30, v30
	v_exp_f32_e32 v3, v3
	v_cvt_i32_f32_e32 v40, v40
	v_exp_f32_e32 v22, v22
	v_exp_f32_e32 v20, v20
	v_cvt_i32_f32_e32 v44, v44
	v_cvt_i32_f32_e32 v46, v46
	;; [unrolled: 1-line block ×3, first 2 shown]
	v_ldexp_f32 v3, v3, v28
	v_add_f32_e32 v19, v19, v29
	v_ldexp_f32 v22, v22, v44
	v_ldexp_f32 v20, v20, v40
	s_delay_alu instid0(VALU_DEP_4) | instskip(NEXT) | instid1(VALU_DEP_4)
	v_cndmask_b32_e32 v3, 0, v3, vcc_lo
	v_exp_f32_e32 v19, v19
	v_cmp_ngt_f32_e32 vcc_lo, 0xc2ce8ed0, v1
	s_delay_alu instid0(TRANS32_DEP_1) | instskip(NEXT) | instid1(VALU_DEP_1)
	v_ldexp_f32 v19, v19, v30
	v_cndmask_b32_e32 v19, 0, v19, vcc_lo
	v_cmp_ngt_f32_e32 vcc_lo, 0xc2ce8ed0, v10
	v_dual_fmac_f32 v47, 0x32a5705f, v13 :: v_dual_cndmask_b32 v20, 0, v20
	s_delay_alu instid0(VALU_DEP_1) | instskip(SKIP_1) | instid1(VALU_DEP_2)
	v_dual_fmac_f32 v45, 0x32a5705f, v18 :: v_dual_add_f32 v24, v24, v47
	v_cmp_ngt_f32_e32 vcc_lo, 0xc2ce8ed0, v11
	v_exp_f32_e32 v24, v24
	v_cndmask_b32_e32 v21, 0, v21, vcc_lo
	v_cmp_ngt_f32_e32 vcc_lo, 0xc2ce8ed0, v12
	v_dual_add_f32 v23, v23, v45 :: v_dual_cndmask_b32 v22, 0, v22
	s_delay_alu instid0(VALU_DEP_1) | instskip(SKIP_1) | instid1(TRANS32_DEP_2)
	v_exp_f32_e32 v23, v23
	v_cmp_ngt_f32_e32 vcc_lo, 0xc2ce8ed0, v18
	v_ldexp_f32 v24, v24, v48
	s_delay_alu instid0(TRANS32_DEP_1) | instskip(NEXT) | instid1(VALU_DEP_1)
	v_ldexp_f32 v23, v23, v46
	v_cndmask_b32_e32 v23, 0, v23, vcc_lo
	v_cmp_ngt_f32_e32 vcc_lo, 0xc2ce8ed0, v13
	s_delay_alu instid0(VALU_DEP_4) | instskip(SKIP_3) | instid1(VALU_DEP_2)
	v_cndmask_b32_e32 v24, 0, v24, vcc_lo
	v_cmp_nlt_f32_e32 vcc_lo, 0x42b17218, v0
	v_cndmask_b32_e32 v0, 0x7f800000, v2, vcc_lo
	v_cmp_nlt_f32_e32 vcc_lo, 0x42b17218, v9
	v_cvt_f16_f32_e32 v9, v0
	v_cndmask_b32_e32 v2, 0x7f800000, v3, vcc_lo
	v_cmp_nlt_f32_e32 vcc_lo, 0x42b17218, v1
	s_delay_alu instid0(VALU_DEP_3) | instskip(SKIP_4) | instid1(VALU_DEP_2)
	v_and_b32_e32 v9, 0xffff, v9
	v_cndmask_b32_e32 v1, 0x7f800000, v19, vcc_lo
	v_cmp_nlt_f32_e32 vcc_lo, 0x42b17218, v10
	v_cndmask_b32_e32 v3, 0x7f800000, v20, vcc_lo
	v_cmp_nlt_f32_e32 vcc_lo, 0x42b17218, v11
	v_pk_fma_f32 v[6:7], v[6:7], v[0:1], v[2:3]
	v_cndmask_b32_e32 v10, 0x7f800000, v21, vcc_lo
	v_cmp_nlt_f32_e32 vcc_lo, 0x42b17218, v12
	v_mul_u32_u24_e32 v3, 0x10001, v9
	s_delay_alu instid0(VALU_DEP_3)
	v_cvt_f16_f32_e32 v19, v10
	v_cndmask_b32_e32 v12, 0x7f800000, v22, vcc_lo
	v_cmp_nlt_f32_e32 vcc_lo, 0x42b17218, v18
	v_cvt_f16_f32_e32 v18, v1
	v_pk_mul_f16 v38, v38, v3
	v_and_b32_e32 v1, 0xffff, v19
	v_pk_mul_f16 v39, v39, v3
	v_cndmask_b32_e32 v11, 0x7f800000, v23, vcc_lo
	v_and_b32_e32 v0, 0xffff, v18
	v_cmp_nlt_f32_e32 vcc_lo, 0x42b17218, v13
	v_mul_u32_u24_e32 v1, 0x10001, v1
	s_delay_alu instid0(VALU_DEP_4) | instskip(NEXT) | instid1(VALU_DEP_4)
	v_cvt_f16_f32_e32 v20, v11
	v_mul_u32_u24_e32 v0, 0x10001, v0
	v_cndmask_b32_e32 v13, 0x7f800000, v24, vcc_lo
	s_delay_alu instid0(VALU_DEP_4)
	v_pk_mul_f16 v34, v34, v1
	v_pk_mul_f16 v35, v35, v1
	v_and_b32_e32 v2, 0xffff, v20
	v_pk_mul_f16 v36, v36, v0
	v_pk_mul_f16 v37, v37, v0
	v_pk_fma_f32 v[4:5], v[4:5], v[10:11], v[12:13]
	s_delay_alu instid0(VALU_DEP_4) | instskip(NEXT) | instid1(VALU_DEP_1)
	v_mul_u32_u24_e32 v2, 0x10001, v2
	v_pk_mul_f16 v33, v33, v2
	v_pk_mul_f16 v32, v32, v2
	v_mov_b64_e32 v[0:1], v[14:15]
	v_mov_b64_e32 v[2:3], v[16:17]
.LBB72_78:
	s_mov_b32 s3, exec_lo
	v_cmpx_gt_i32_e64 s22, v94
	s_cbranch_execz .LBB72_95
; %bb.79:
	s_load_b32 s0, s[0:1], 0xd4
	v_mov_b32_e32 v10, 1.0
	s_wait_kmcnt 0x0
	s_cmp_lg_u32 s0, 1
	s_cselect_b32 s1, -1, 0
	s_cmp_eq_u32 s0, 1
	s_cselect_b32 s3, -1, 0
	s_and_b32 vcc_lo, exec_lo, s1
	s_cbranch_vccnz .LBB72_81
; %bb.80:
	v_div_scale_f32 v9, null, v6, v6, 1.0
	s_delay_alu instid0(VALU_DEP_1) | instskip(SKIP_1) | instid1(TRANS32_DEP_1)
	v_rcp_f32_e32 v10, v9
	v_nop
	v_fma_f32 v11, -v9, v10, 1.0
	s_delay_alu instid0(VALU_DEP_1) | instskip(SKIP_1) | instid1(VALU_DEP_1)
	v_fmac_f32_e32 v10, v11, v10
	v_div_scale_f32 v11, vcc_lo, 1.0, v6, 1.0
	v_mul_f32_e32 v12, v11, v10
	s_delay_alu instid0(VALU_DEP_1) | instskip(NEXT) | instid1(VALU_DEP_1)
	v_fma_f32 v13, -v9, v12, v11
	v_fmac_f32_e32 v12, v13, v10
	s_delay_alu instid0(VALU_DEP_1) | instskip(NEXT) | instid1(VALU_DEP_1)
	v_fma_f32 v9, -v9, v12, v11
	v_div_fmas_f32 v9, v9, v10, v12
	s_delay_alu instid0(VALU_DEP_1)
	v_div_fixup_f32 v10, v9, v6, 1.0
.LBB72_81:
	v_mad_u32 v9, s2, s22, v94
	v_lshrrev_b32_e32 v11, 16, v39
	v_cvt_f32_f16_e32 v12, v38
	v_cvt_f32_f16_e32 v16, v39
	v_cmp_eq_u32_e32 vcc_lo, 0, v95
	v_mov_b32_e32 v15, 0
	v_cvt_f32_f16_e32 v17, v11
	s_and_b32 s1, vcc_lo, s1
	v_mad_u32 v8, v9, s23, v8
	s_delay_alu instid0(VALU_DEP_1) | instskip(SKIP_1) | instid1(VALU_DEP_1)
	v_mad_u32 v9, s0, v8, s29
	v_lshrrev_b32_e32 v8, 16, v38
	v_cvt_f32_f16_e32 v13, v8
	s_delay_alu instid0(VALU_DEP_1) | instskip(NEXT) | instid1(VALU_DEP_4)
	v_pk_mul_f32 v[12:13], v[10:11], v[12:13] op_sel_hi:[0,1]
	v_lshl_add_u32 v14, v9, 7, v69
	s_delay_alu instid0(VALU_DEP_1)
	v_lshl_add_u64 v[18:19], v[14:15], 2, s[16:17]
	v_pk_mul_f32 v[14:15], v[10:11], v[16:17] op_sel_hi:[0,1]
	global_store_b128 v[18:19], v[12:15], off
	s_wait_xcnt 0x0
	s_and_saveexec_b32 s2, s1
	s_cbranch_execz .LBB72_83
; %bb.82:
	v_dual_mov_b32 v10, v0 :: v_dual_mov_b32 v11, v6
	global_store_b64 v9, v[10:11], s[18:19] scale_offset
.LBB72_83:
	s_wait_xcnt 0x0
	s_or_b32 exec_lo, exec_lo, s2
	v_cndmask_b32_e64 v8, 0, 1, s3
	v_mov_b32_e32 v0, 1.0
	s_and_not1_b32 vcc_lo, exec_lo, s3
	s_cbranch_vccnz .LBB72_85
; %bb.84:
	v_div_scale_f32 v0, null, v7, v7, 1.0
	s_delay_alu instid0(VALU_DEP_1) | instskip(SKIP_1) | instid1(TRANS32_DEP_1)
	v_rcp_f32_e32 v6, v0
	v_nop
	v_fma_f32 v10, -v0, v6, 1.0
	s_delay_alu instid0(VALU_DEP_1) | instskip(SKIP_1) | instid1(VALU_DEP_1)
	v_fmac_f32_e32 v6, v10, v6
	v_div_scale_f32 v10, vcc_lo, 1.0, v7, 1.0
	v_mul_f32_e32 v11, v10, v6
	s_delay_alu instid0(VALU_DEP_1) | instskip(NEXT) | instid1(VALU_DEP_1)
	v_fma_f32 v12, -v0, v11, v10
	v_fmac_f32_e32 v11, v12, v6
	s_delay_alu instid0(VALU_DEP_1) | instskip(NEXT) | instid1(VALU_DEP_1)
	v_fma_f32 v0, -v0, v11, v10
	v_div_fmas_f32 v0, v0, v6, v11
	s_delay_alu instid0(VALU_DEP_1)
	v_div_fixup_f32 v0, v0, v7, 1.0
.LBB72_85:
	v_dual_add_nc_u32 v9, s0, v9 :: v_dual_lshrrev_b32 v6, 16, v36
	v_dual_mov_b32 v11, 0 :: v_dual_lshrrev_b32 v15, 16, v37
	v_cvt_f32_f16_e32 v12, v36
	s_delay_alu instid0(VALU_DEP_3) | instskip(NEXT) | instid1(VALU_DEP_4)
	v_lshl_add_u32 v10, v9, 7, v69
	v_cvt_f32_f16_e32 v13, v6
	v_cvt_f32_f16_e32 v14, v37
	;; [unrolled: 1-line block ×3, first 2 shown]
	s_delay_alu instid0(VALU_DEP_4) | instskip(NEXT) | instid1(VALU_DEP_4)
	v_lshl_add_u64 v[16:17], v[10:11], 2, s[16:17]
	v_pk_mul_f32 v[10:11], v[0:1], v[12:13] op_sel_hi:[0,1]
	s_delay_alu instid0(VALU_DEP_3)
	v_pk_mul_f32 v[12:13], v[0:1], v[14:15] op_sel_hi:[0,1]
	global_store_b128 v[16:17], v[10:13], off
	s_wait_xcnt 0x0
	s_and_saveexec_b32 s2, s1
	s_cbranch_execz .LBB72_87
; %bb.86:
	v_mov_b32_e32 v6, v1
	global_store_b64 v9, v[6:7], s[18:19] scale_offset
.LBB72_87:
	s_wait_xcnt 0x0
	s_or_b32 exec_lo, exec_lo, s2
	v_cmp_ne_u32_e32 vcc_lo, 1, v8
	v_mov_b32_e32 v0, 1.0
	s_cbranch_vccnz .LBB72_89
; %bb.88:
	v_div_scale_f32 v0, null, v4, v4, 1.0
	s_delay_alu instid0(VALU_DEP_1) | instskip(SKIP_1) | instid1(TRANS32_DEP_1)
	v_rcp_f32_e32 v1, v0
	v_nop
	v_fma_f32 v6, -v0, v1, 1.0
	s_delay_alu instid0(VALU_DEP_1) | instskip(SKIP_1) | instid1(VALU_DEP_1)
	v_fmac_f32_e32 v1, v6, v1
	v_div_scale_f32 v6, vcc_lo, 1.0, v4, 1.0
	v_mul_f32_e32 v7, v6, v1
	s_delay_alu instid0(VALU_DEP_1) | instskip(NEXT) | instid1(VALU_DEP_1)
	v_fma_f32 v10, -v0, v7, v6
	v_fmac_f32_e32 v7, v10, v1
	s_delay_alu instid0(VALU_DEP_1) | instskip(NEXT) | instid1(VALU_DEP_1)
	v_fma_f32 v0, -v0, v7, v6
	v_div_fmas_f32 v0, v0, v1, v7
	s_delay_alu instid0(VALU_DEP_1)
	v_div_fixup_f32 v0, v0, v4, 1.0
.LBB72_89:
	v_dual_add_nc_u32 v1, s0, v9 :: v_dual_lshrrev_b32 v9, 16, v34
	v_dual_mov_b32 v7, 0 :: v_dual_lshrrev_b32 v13, 16, v35
	v_cvt_f32_f16_e32 v10, v34
	s_delay_alu instid0(VALU_DEP_3) | instskip(NEXT) | instid1(VALU_DEP_4)
	v_lshl_add_u32 v6, v1, 7, v69
	v_cvt_f32_f16_e32 v11, v9
	v_cvt_f32_f16_e32 v12, v35
	;; [unrolled: 1-line block ×3, first 2 shown]
	s_delay_alu instid0(VALU_DEP_4) | instskip(NEXT) | instid1(VALU_DEP_4)
	v_lshl_add_u64 v[6:7], v[6:7], 2, s[16:17]
	v_pk_mul_f32 v[10:11], v[0:1], v[10:11] op_sel_hi:[0,1]
	s_delay_alu instid0(VALU_DEP_3)
	v_pk_mul_f32 v[12:13], v[0:1], v[12:13] op_sel_hi:[0,1]
	global_store_b128 v[6:7], v[10:13], off
	s_wait_xcnt 0x0
	s_and_saveexec_b32 s2, s1
	s_cbranch_execz .LBB72_91
; %bb.90:
	v_dual_mov_b32 v6, v2 :: v_dual_mov_b32 v7, v4
	global_store_b64 v1, v[6:7], s[18:19] scale_offset
.LBB72_91:
	s_wait_xcnt 0x0
	s_or_b32 exec_lo, exec_lo, s2
	v_cmp_ne_u32_e32 vcc_lo, 1, v8
	v_mov_b32_e32 v0, 1.0
	s_cbranch_vccnz .LBB72_93
; %bb.92:
	v_div_scale_f32 v0, null, v5, v5, 1.0
	s_delay_alu instid0(VALU_DEP_1) | instskip(SKIP_1) | instid1(TRANS32_DEP_1)
	v_rcp_f32_e32 v2, v0
	v_nop
	v_fma_f32 v4, -v0, v2, 1.0
	s_delay_alu instid0(VALU_DEP_1) | instskip(SKIP_1) | instid1(VALU_DEP_1)
	v_fmac_f32_e32 v2, v4, v2
	v_div_scale_f32 v4, vcc_lo, 1.0, v5, 1.0
	v_mul_f32_e32 v6, v4, v2
	s_delay_alu instid0(VALU_DEP_1) | instskip(NEXT) | instid1(VALU_DEP_1)
	v_fma_f32 v7, -v0, v6, v4
	v_fmac_f32_e32 v6, v7, v2
	s_delay_alu instid0(VALU_DEP_1) | instskip(NEXT) | instid1(VALU_DEP_1)
	v_fma_f32 v0, -v0, v6, v4
	v_div_fmas_f32 v0, v0, v2, v6
	s_delay_alu instid0(VALU_DEP_1)
	v_div_fixup_f32 v0, v0, v5, 1.0
.LBB72_93:
	v_dual_add_nc_u32 v1, s0, v1 :: v_dual_mov_b32 v7, 0
	v_dual_lshrrev_b32 v2, 16, v33 :: v_dual_lshrrev_b32 v4, 16, v32
	v_cvt_f32_f16_e32 v8, v33
	s_delay_alu instid0(VALU_DEP_3) | instskip(SKIP_1) | instid1(VALU_DEP_4)
	v_lshl_add_u32 v6, v1, 7, v69
	v_cvt_f32_f16_e32 v10, v32
	v_cvt_f32_f16_e32 v9, v2
	;; [unrolled: 1-line block ×3, first 2 shown]
	s_delay_alu instid0(VALU_DEP_4) | instskip(NEXT) | instid1(VALU_DEP_3)
	v_lshl_add_u64 v[12:13], v[6:7], 2, s[16:17]
	v_pk_mul_f32 v[6:7], v[0:1], v[8:9] op_sel_hi:[0,1]
	s_delay_alu instid0(VALU_DEP_3)
	v_pk_mul_f32 v[8:9], v[0:1], v[10:11] op_sel_hi:[0,1]
	global_store_b128 v[12:13], v[6:9], off
	s_wait_xcnt 0x0
	s_and_b32 exec_lo, exec_lo, s1
	s_cbranch_execz .LBB72_95
; %bb.94:
	v_mov_b32_e32 v4, v3
	global_store_b64 v1, v[4:5], s[18:19] scale_offset
.LBB72_95:
	s_sendmsg sendmsg(MSG_DEALLOC_VGPRS)
	s_endpgm
	.section	.rodata,"a",@progbits
	.p2align	6, 0x0
	.amdhsa_kernel _ZL15flash_attn_tileILi128ELi128ELi4ELi8ELb1EEvPKcS1_S1_S1_S1_PKiPfP15HIP_vector_typeIfLj2EEffffjfiS5_IjLj3EEiiiiiiiiiiiliiliiiiil
		.amdhsa_group_segment_fixed_size 34816
		.amdhsa_private_segment_fixed_size 0
		.amdhsa_kernarg_size 464
		.amdhsa_user_sgpr_count 2
		.amdhsa_user_sgpr_dispatch_ptr 0
		.amdhsa_user_sgpr_queue_ptr 0
		.amdhsa_user_sgpr_kernarg_segment_ptr 1
		.amdhsa_user_sgpr_dispatch_id 0
		.amdhsa_user_sgpr_kernarg_preload_length 0
		.amdhsa_user_sgpr_kernarg_preload_offset 0
		.amdhsa_user_sgpr_private_segment_size 0
		.amdhsa_wavefront_size32 1
		.amdhsa_uses_dynamic_stack 0
		.amdhsa_enable_private_segment 0
		.amdhsa_system_sgpr_workgroup_id_x 1
		.amdhsa_system_sgpr_workgroup_id_y 1
		.amdhsa_system_sgpr_workgroup_id_z 1
		.amdhsa_system_sgpr_workgroup_info 0
		.amdhsa_system_vgpr_workitem_id 1
		.amdhsa_next_free_vgpr 172
		.amdhsa_next_free_sgpr 40
		.amdhsa_named_barrier_count 0
		.amdhsa_reserve_vcc 1
		.amdhsa_float_round_mode_32 0
		.amdhsa_float_round_mode_16_64 0
		.amdhsa_float_denorm_mode_32 3
		.amdhsa_float_denorm_mode_16_64 3
		.amdhsa_fp16_overflow 0
		.amdhsa_memory_ordered 1
		.amdhsa_forward_progress 1
		.amdhsa_inst_pref_size 245
		.amdhsa_round_robin_scheduling 0
		.amdhsa_exception_fp_ieee_invalid_op 0
		.amdhsa_exception_fp_denorm_src 0
		.amdhsa_exception_fp_ieee_div_zero 0
		.amdhsa_exception_fp_ieee_overflow 0
		.amdhsa_exception_fp_ieee_underflow 0
		.amdhsa_exception_fp_ieee_inexact 0
		.amdhsa_exception_int_div_zero 0
	.end_amdhsa_kernel
	.section	.text._ZL15flash_attn_tileILi128ELi128ELi4ELi8ELb1EEvPKcS1_S1_S1_S1_PKiPfP15HIP_vector_typeIfLj2EEffffjfiS5_IjLj3EEiiiiiiiiiiiliiliiiiil,"axG",@progbits,_ZL15flash_attn_tileILi128ELi128ELi4ELi8ELb1EEvPKcS1_S1_S1_S1_PKiPfP15HIP_vector_typeIfLj2EEffffjfiS5_IjLj3EEiiiiiiiiiiiliiliiiiil,comdat
.Lfunc_end72:
	.size	_ZL15flash_attn_tileILi128ELi128ELi4ELi8ELb1EEvPKcS1_S1_S1_S1_PKiPfP15HIP_vector_typeIfLj2EEffffjfiS5_IjLj3EEiiiiiiiiiiiliiliiiiil, .Lfunc_end72-_ZL15flash_attn_tileILi128ELi128ELi4ELi8ELb1EEvPKcS1_S1_S1_S1_PKiPfP15HIP_vector_typeIfLj2EEffffjfiS5_IjLj3EEiiiiiiiiiiiliiliiiiil
                                        ; -- End function
	.set _ZL15flash_attn_tileILi128ELi128ELi4ELi8ELb1EEvPKcS1_S1_S1_S1_PKiPfP15HIP_vector_typeIfLj2EEffffjfiS5_IjLj3EEiiiiiiiiiiiliiliiiiil.num_vgpr, 172
	.set _ZL15flash_attn_tileILi128ELi128ELi4ELi8ELb1EEvPKcS1_S1_S1_S1_PKiPfP15HIP_vector_typeIfLj2EEffffjfiS5_IjLj3EEiiiiiiiiiiiliiliiiiil.num_agpr, 0
	.set _ZL15flash_attn_tileILi128ELi128ELi4ELi8ELb1EEvPKcS1_S1_S1_S1_PKiPfP15HIP_vector_typeIfLj2EEffffjfiS5_IjLj3EEiiiiiiiiiiiliiliiiiil.numbered_sgpr, 40
	.set _ZL15flash_attn_tileILi128ELi128ELi4ELi8ELb1EEvPKcS1_S1_S1_S1_PKiPfP15HIP_vector_typeIfLj2EEffffjfiS5_IjLj3EEiiiiiiiiiiiliiliiiiil.num_named_barrier, 0
	.set _ZL15flash_attn_tileILi128ELi128ELi4ELi8ELb1EEvPKcS1_S1_S1_S1_PKiPfP15HIP_vector_typeIfLj2EEffffjfiS5_IjLj3EEiiiiiiiiiiiliiliiiiil.private_seg_size, 0
	.set _ZL15flash_attn_tileILi128ELi128ELi4ELi8ELb1EEvPKcS1_S1_S1_S1_PKiPfP15HIP_vector_typeIfLj2EEffffjfiS5_IjLj3EEiiiiiiiiiiiliiliiiiil.uses_vcc, 1
	.set _ZL15flash_attn_tileILi128ELi128ELi4ELi8ELb1EEvPKcS1_S1_S1_S1_PKiPfP15HIP_vector_typeIfLj2EEffffjfiS5_IjLj3EEiiiiiiiiiiiliiliiiiil.uses_flat_scratch, 0
	.set _ZL15flash_attn_tileILi128ELi128ELi4ELi8ELb1EEvPKcS1_S1_S1_S1_PKiPfP15HIP_vector_typeIfLj2EEffffjfiS5_IjLj3EEiiiiiiiiiiiliiliiiiil.has_dyn_sized_stack, 0
	.set _ZL15flash_attn_tileILi128ELi128ELi4ELi8ELb1EEvPKcS1_S1_S1_S1_PKiPfP15HIP_vector_typeIfLj2EEffffjfiS5_IjLj3EEiiiiiiiiiiiliiliiiiil.has_recursion, 0
	.set _ZL15flash_attn_tileILi128ELi128ELi4ELi8ELb1EEvPKcS1_S1_S1_S1_PKiPfP15HIP_vector_typeIfLj2EEffffjfiS5_IjLj3EEiiiiiiiiiiiliiliiiiil.has_indirect_call, 0
	.section	.AMDGPU.csdata,"",@progbits
; Kernel info:
; codeLenInByte = 31312
; TotalNumSgprs: 42
; NumVgprs: 172
; ScratchSize: 0
; MemoryBound: 0
; FloatMode: 240
; IeeeMode: 1
; LDSByteSize: 34816 bytes/workgroup (compile time only)
; SGPRBlocks: 0
; VGPRBlocks: 10
; NumSGPRsForWavesPerEU: 42
; NumVGPRsForWavesPerEU: 172
; NamedBarCnt: 0
; Occupancy: 5
; WaveLimiterHint : 1
; COMPUTE_PGM_RSRC2:SCRATCH_EN: 0
; COMPUTE_PGM_RSRC2:USER_SGPR: 2
; COMPUTE_PGM_RSRC2:TRAP_HANDLER: 0
; COMPUTE_PGM_RSRC2:TGID_X_EN: 1
; COMPUTE_PGM_RSRC2:TGID_Y_EN: 1
; COMPUTE_PGM_RSRC2:TGID_Z_EN: 1
; COMPUTE_PGM_RSRC2:TIDIG_COMP_CNT: 1
	.section	.text._ZL15flash_attn_tileILi128ELi128ELi2ELi8ELb1EEvPKcS1_S1_S1_S1_PKiPfP15HIP_vector_typeIfLj2EEffffjfiS5_IjLj3EEiiiiiiiiiiiliiliiiiil,"axG",@progbits,_ZL15flash_attn_tileILi128ELi128ELi2ELi8ELb1EEvPKcS1_S1_S1_S1_PKiPfP15HIP_vector_typeIfLj2EEffffjfiS5_IjLj3EEiiiiiiiiiiiliiliiiiil,comdat
	.globl	_ZL15flash_attn_tileILi128ELi128ELi2ELi8ELb1EEvPKcS1_S1_S1_S1_PKiPfP15HIP_vector_typeIfLj2EEffffjfiS5_IjLj3EEiiiiiiiiiiiliiliiiiil ; -- Begin function _ZL15flash_attn_tileILi128ELi128ELi2ELi8ELb1EEvPKcS1_S1_S1_S1_PKiPfP15HIP_vector_typeIfLj2EEffffjfiS5_IjLj3EEiiiiiiiiiiiliiliiiiil
	.p2align	8
	.type	_ZL15flash_attn_tileILi128ELi128ELi2ELi8ELb1EEvPKcS1_S1_S1_S1_PKiPfP15HIP_vector_typeIfLj2EEffffjfiS5_IjLj3EEiiiiiiiiiiiliiliiiiil,@function
_ZL15flash_attn_tileILi128ELi128ELi2ELi8ELb1EEvPKcS1_S1_S1_S1_PKiPfP15HIP_vector_typeIfLj2EEffffjfiS5_IjLj3EEiiiiiiiiiiiliiliiiiil: ; @_ZL15flash_attn_tileILi128ELi128ELi2ELi8ELb1EEvPKcS1_S1_S1_S1_PKiPfP15HIP_vector_typeIfLj2EEffffjfiS5_IjLj3EEiiiiiiiiiiiliiliiiiil
; %bb.0:
	s_clause 0x1
	s_load_b128 s[20:23], s[0:1], 0x5c
	s_load_b64 s[28:29], s[0:1], 0x80
	s_bfe_u32 s5, ttmp6, 0x40014
	s_lshr_b32 s4, ttmp7, 16
	s_add_co_i32 s5, s5, 1
	s_bfe_u32 s6, ttmp6, 0x40008
	s_mul_i32 s5, s4, s5
	s_getreg_b32 s27, hwreg(HW_REG_IB_STS2, 6, 4)
	s_add_co_i32 s6, s6, s5
	s_load_b64 s[36:37], s[0:1], 0xb8
	s_mov_b32 s35, 0
	s_mov_b64 s[30:31], 0
	s_wait_kmcnt 0x0
	s_ashr_i32 s2, s23, 31
	s_delay_alu instid0(SALU_CYCLE_1) | instskip(NEXT) | instid1(SALU_CYCLE_1)
	s_lshr_b32 s2, s2, 29
	s_add_co_i32 s2, s23, s2
	s_delay_alu instid0(SALU_CYCLE_1) | instskip(NEXT) | instid1(SALU_CYCLE_1)
	s_ashr_i32 s2, s2, 3
	s_cvt_f32_u32 s3, s2
	s_sub_co_i32 s7, 0, s2
	s_delay_alu instid0(SALU_CYCLE_2) | instskip(SKIP_1) | instid1(TRANS32_DEP_1)
	v_rcp_iflag_f32_e32 v1, s3
	v_nop
	v_readfirstlane_b32 s3, v1
	s_mul_f32 s3, s3, 0x4f7ffffe
	s_delay_alu instid0(SALU_CYCLE_3) | instskip(NEXT) | instid1(SALU_CYCLE_3)
	s_cvt_u32_f32 s3, s3
	s_mul_i32 s7, s7, s3
	s_delay_alu instid0(SALU_CYCLE_1) | instskip(NEXT) | instid1(SALU_CYCLE_1)
	s_mul_hi_u32 s7, s3, s7
	s_add_co_i32 s3, s3, s7
	s_cmp_eq_u32 s27, 0
	s_cselect_b32 s4, s4, s6
	s_delay_alu instid0(SALU_CYCLE_1) | instskip(NEXT) | instid1(SALU_CYCLE_1)
	s_mul_hi_u32 s3, s4, s3
	s_mul_i32 s5, s3, s2
	s_add_co_i32 s6, s3, 1
	s_sub_co_i32 s5, s4, s5
	s_delay_alu instid0(SALU_CYCLE_1)
	s_sub_co_i32 s7, s5, s2
	s_cmp_ge_u32 s5, s2
	s_cselect_b32 s3, s6, s3
	s_cselect_b32 s5, s7, s5
	s_add_co_i32 s6, s3, 1
	s_cmp_ge_u32 s5, s2
	s_cselect_b32 s2, s6, s3
	s_abs_i32 s3, s29
	s_lshl_b32 s4, s4, 3
	s_cvt_f32_u32 s5, s3
	s_sub_co_i32 s6, 0, s3
	s_mul_i32 s7, s2, s23
	s_abs_i32 s8, s23
	v_rcp_iflag_f32_e32 v1, s5
	s_sub_co_i32 s33, s4, s7
	v_nop
	s_delay_alu instid0(TRANS32_DEP_1) | instskip(SKIP_1) | instid1(SALU_CYCLE_3)
	v_readfirstlane_b32 s5, v1
	s_mul_f32 s5, s5, 0x4f7ffffe
	s_cvt_u32_f32 s5, s5
	s_delay_alu instid0(SALU_CYCLE_3) | instskip(NEXT) | instid1(SALU_CYCLE_1)
	s_mul_i32 s6, s6, s5
	s_mul_hi_u32 s6, s5, s6
	s_delay_alu instid0(SALU_CYCLE_1) | instskip(NEXT) | instid1(SALU_CYCLE_1)
	s_add_co_i32 s5, s5, s6
	s_mul_hi_u32 s4, s8, s5
	s_xor_b32 s5, s23, s29
	s_mul_i32 s6, s4, s3
	s_ashr_i32 s24, s5, 31
	s_sub_co_i32 s5, s8, s6
	s_add_co_i32 s6, s4, 1
	s_sub_co_i32 s7, s5, s3
	s_cmp_ge_u32 s5, s3
	s_cselect_b32 s4, s6, s4
	s_cselect_b32 s5, s7, s5
	s_add_co_i32 s6, s4, 1
	s_cmp_ge_u32 s5, s3
	s_cselect_b32 s3, s6, s4
	s_load_b512 s[4:19], s[0:1], 0x0
	s_xor_b32 s3, s3, s24
	s_delay_alu instid0(SALU_CYCLE_1) | instskip(NEXT) | instid1(SALU_CYCLE_1)
	s_sub_co_i32 s3, s3, s24
	s_abs_i32 s38, s3
	s_delay_alu instid0(SALU_CYCLE_1) | instskip(NEXT) | instid1(SALU_CYCLE_3)
	s_cvt_f32_u32 s24, s38
	v_rcp_iflag_f32_e32 v1, s24
	v_nop
	s_delay_alu instid0(TRANS32_DEP_1)
	v_readfirstlane_b32 s34, v1
	s_wait_kmcnt 0x0
	s_cmp_eq_u64 s[10:11], 0
	s_cbranch_scc1 .LBB73_2
; %bb.1:
	s_abs_i32 s26, s36
	s_abs_i32 s29, s2
	s_cvt_f32_u32 s24, s26
	s_sub_co_i32 s25, 0, s26
	s_delay_alu instid0(SALU_CYCLE_2) | instskip(SKIP_1) | instid1(TRANS32_DEP_1)
	v_rcp_iflag_f32_e32 v1, s24
	v_nop
	v_readfirstlane_b32 s24, v1
	s_mul_f32 s24, s24, 0x4f7ffffe
	s_delay_alu instid0(SALU_CYCLE_3) | instskip(NEXT) | instid1(SALU_CYCLE_3)
	s_cvt_u32_f32 s24, s24
	s_mul_i32 s25, s25, s24
	s_delay_alu instid0(SALU_CYCLE_1) | instskip(NEXT) | instid1(SALU_CYCLE_1)
	s_mul_hi_u32 s25, s24, s25
	s_add_co_i32 s24, s24, s25
	s_delay_alu instid0(SALU_CYCLE_1) | instskip(SKIP_2) | instid1(SALU_CYCLE_1)
	s_mul_hi_u32 s30, s29, s24
	s_load_b64 s[24:25], s[0:1], 0xc8
	s_mul_i32 s30, s30, s26
	s_sub_co_i32 s29, s29, s30
	s_ashr_i32 s30, s2, 31
	s_sub_co_i32 s31, s29, s26
	s_cmp_ge_u32 s29, s26
	s_cselect_b32 s29, s31, s29
	s_delay_alu instid0(SALU_CYCLE_1) | instskip(SKIP_2) | instid1(SALU_CYCLE_1)
	s_sub_co_i32 s31, s29, s26
	s_cmp_ge_u32 s29, s26
	s_cselect_b32 s26, s31, s29
	s_xor_b32 s26, s26, s30
	s_delay_alu instid0(SALU_CYCLE_1) | instskip(NEXT) | instid1(SALU_CYCLE_1)
	s_sub_co_i32 s30, s26, s30
	s_ashr_i32 s31, s30, 31
	s_wait_kmcnt 0x0
	s_mul_u64 s[24:25], s[24:25], s[30:31]
	s_delay_alu instid0(SALU_CYCLE_1)
	s_add_nc_u64 s[30:31], s[10:11], s[24:25]
.LBB73_2:
	s_bfe_u32 s10, ttmp6, 0x4000c
	v_dual_lshrrev_b32 v1, 10, v0 :: v_dual_mov_b32 v3, 0
	s_add_co_i32 s10, s10, 1
	s_and_b32 s11, ttmp6, 15
	s_mul_i32 s10, ttmp9, s10
	s_delay_alu instid0(VALU_DEP_1)
	v_bfe_u32 v1, v1, 2, 8
	s_add_co_i32 s11, s11, s10
	s_cmp_eq_u32 s27, 0
	s_load_b96 s[24:26], s[0:1], 0x70
	s_cselect_b32 s10, ttmp9, s11
	v_bfe_u32 v16, v0, 10, 10
	v_lshl_add_u32 v122, s10, 1, v1
	v_dual_mov_b32 v77, v3 :: v_dual_mov_b32 v7, v3
	v_mov_b32_e32 v11, v3
	s_delay_alu instid0(VALU_DEP_3) | instskip(NEXT) | instid1(VALU_DEP_1)
	v_mul_hi_u32 v1, s20, v122
	v_add_nc_u32_e32 v1, v122, v1
	s_wait_kmcnt 0x0
	s_mul_i32 s20, s33, s25
	s_ashr_i32 s41, s25, 31
	s_mov_b32 s40, s25
	s_ashr_i32 s25, s24, 31
	v_lshrrev_b32_e32 v1, s21, v1
	s_lshr_b64 s[24:25], s[24:25], 2
	s_ashr_i32 s21, s20, 31
	s_delay_alu instid0(VALU_DEP_1) | instskip(NEXT) | instid1(VALU_DEP_1)
	v_mul_lo_u32 v1, v1, s22
	v_dual_sub_nc_u32 v2, v122, v1 :: v_dual_lshlrev_b32 v1, 1, v16
	s_delay_alu instid0(VALU_DEP_1) | instskip(NEXT) | instid1(VALU_DEP_2)
	v_mul_u64_e32 v[4:5], s[24:25], v[2:3]
	v_and_b32_e32 v76, 6, v1
	v_bitop3_b32 v6, v1, 7, 1 bitop3:0xc8
	s_lshr_b64 s[24:25], s[40:41], 2
	s_delay_alu instid0(VALU_DEP_2) | instid1(SALU_CYCLE_1)
	v_mul_u64_e32 v[8:9], s[24:25], v[76:77]
	s_delay_alu instid0(VALU_DEP_2)
	v_mul_u64_e32 v[6:7], s[24:25], v[6:7]
	s_mul_i32 s24, s2, s26
	v_and_b32_e32 v77, 0x3ff, v0
	s_ashr_i32 s25, s24, 31
	v_lshlrev_b32_e32 v0, 9, v16
	s_add_nc_u64 s[4:5], s[4:5], s[24:25]
	s_cmp_eq_u64 s[14:15], 0
	s_add_nc_u64 s[4:5], s[4:5], s[20:21]
	v_dual_lshlrev_b32 v10, 4, v77 :: v_dual_lshlrev_b32 v124, 3, v77
	s_delay_alu instid0(VALU_DEP_1) | instskip(SKIP_2) | instid1(VALU_DEP_1)
	v_add_nc_u32_e32 v3, 0x9800, v124
	v_lshl_add_u64 v[4:5], v[4:5], 2, s[4:5]
	s_load_b32 s4, s[0:1], 0x40
	v_add_nc_u64_e32 v[4:5], v[4:5], v[10:11]
	s_delay_alu instid0(VALU_DEP_1)
	v_lshl_add_u64 v[12:13], v[8:9], 2, v[4:5]
	v_lshl_add_u64 v[14:15], v[6:7], 2, v[4:5]
	s_clause 0x1
	global_load_b128 v[4:7], v[12:13], off
	global_load_b128 v[8:11], v[14:15], off
	s_wait_xcnt 0x1
	v_or_b32_e32 v12, 1, v1
	s_wait_loadcnt 0x1
	s_wait_kmcnt 0x0
	v_fma_mixlo_f16 v4, s4, v4, 0
	v_fma_mixlo_f16 v5, s4, v5, 0
	;; [unrolled: 1-line block ×3, first 2 shown]
	s_wait_loadcnt 0x0
	v_fma_mixlo_f16 v8, s4, v8, 0
	v_fma_mixlo_f16 v9, s4, v9, 0
	v_dual_add_nc_u32 v13, v3, v0 :: v_dual_lshlrev_b32 v5, 16, v5
	v_fma_mixlo_f16 v6, s4, v6, 0
	v_fma_mixlo_f16 v11, s4, v11, 0
	v_and_b32_e32 v4, 0xffff, v4
	v_fma_mixlo_f16 v10, s4, v10, 0
	v_dual_lshlrev_b32 v7, 16, v7 :: v_dual_lshlrev_b32 v9, 16, v9
	v_and_b32_e32 v8, 0xffff, v8
	v_and_b32_e32 v6, 0xffff, v6
	v_dual_lshlrev_b32 v11, 16, v11 :: v_dual_bitop2_b32 v4, v5, v4 bitop3:0x54
	v_and_b32_e32 v10, 0xffff, v10
	s_delay_alu instid0(VALU_DEP_4) | instskip(NEXT) | instid1(VALU_DEP_4)
	v_or_b32_e32 v8, v9, v8
	v_or3_b32 v5, v7, v6, 0
	v_lshl_add_u32 v3, v12, 8, v3
	v_or3_b32 v4, 0, 0, v4
	v_or3_b32 v7, v11, v10, 0
	;; [unrolled: 1-line block ×3, first 2 shown]
	ds_store_b64 v13, v[4:5]
	ds_store_b64 v3, v[6:7]
	s_wait_dscnt 0x0
	s_barrier_signal -1
	s_barrier_wait -1
	s_cbranch_scc1 .LBB73_4
; %bb.3:
	s_load_b32 s4, s[0:1], 0xd0
	s_wait_kmcnt 0x0
	s_mul_i32 s4, s4, s2
	s_delay_alu instid0(SALU_CYCLE_1)
	s_add_co_i32 s4, s4, s10
	s_load_b32 s28, s[14:15], s4 offset:0x0 scale_offset
.LBB73_4:
	s_wait_xcnt 0x0
	s_bfe_u32 s4, ttmp6, 0x40010
	s_and_b32 s5, ttmp7, 0xffff
	s_add_co_i32 s4, s4, 1
	s_bfe_u32 s10, ttmp6, 0x40004
	s_mul_i32 s4, s5, s4
	v_mbcnt_lo_u32_b32 v125, -1, 0
	s_add_co_i32 s10, s10, s4
	s_cmp_eq_u32 s27, 0
	s_cselect_b32 s29, s5, s10
	s_mov_b32 s5, 0
	s_lshl_b32 s4, s29, 7
	s_wait_kmcnt 0x0
	s_cmp_lt_i32 s4, s28
	s_cbranch_scc1 .LBB73_7
; %bb.5:
	v_mbcnt_lo_u32_b32 v3, -1, 0
	s_delay_alu instid0(VALU_DEP_1)
	v_dual_mov_b32 v126, 32 :: v_dual_bitop2_b32 v153, 16, v3 bitop3:0x14
	v_xor_b32_e32 v149, 8, v3
	v_xor_b32_e32 v150, 4, v3
	;; [unrolled: 1-line block ×3, first 2 shown]
	v_dual_lshlrev_b32 v123, 2, v77 :: v_dual_bitop2_b32 v152, 1, v3 bitop3:0x14
	s_and_not1_b32 vcc_lo, exec_lo, s5
	s_cbranch_vccz .LBB73_8
; %bb.6:
	v_dual_mov_b32 v115, 0xfeffffff :: v_dual_mov_b32 v148, 0
	v_dual_mov_b32 v95, 0 :: v_dual_mov_b32 v33, 0
	;; [unrolled: 1-line block ×3, first 2 shown]
	s_delay_alu instid0(VALU_DEP_2)
	v_dual_mov_b32 v114, v115 :: v_dual_mov_b32 v94, v95
	s_branch .LBB73_44
.LBB73_7:
                                        ; implicit-def: $vgpr3
                                        ; implicit-def: $vgpr126
                                        ; implicit-def: $vgpr153
                                        ; implicit-def: $vgpr149
                                        ; implicit-def: $vgpr150
                                        ; implicit-def: $vgpr151
                                        ; implicit-def: $vgpr152
	v_lshlrev_b32_e32 v123, 2, v77
.LBB73_8:
	s_clause 0x1
	s_load_b128 s[24:27], s[0:1], 0x98
	s_load_b64 s[14:15], s[0:1], 0x8c
	s_mul_f32 s5, s34, 0x4f7ffffe
	s_sub_co_i32 s10, 0, s38
	s_abs_i32 s34, s33
	s_mov_b32 s11, s35
	s_cvt_u32_f32 s5, s5
	s_ashr_i32 s39, s33, 31
	s_ashr_i32 s40, s3, 31
	;; [unrolled: 1-line block ×3, first 2 shown]
	s_mul_i32 s10, s10, s5
	s_ashr_i32 s3, s2, 31
	s_mul_hi_u32 s10, s5, s10
	s_clause 0x1
	s_load_b64 s[20:21], s[0:1], 0xa8
	s_load_b32 s36, s[0:1], 0x54
	s_add_co_i32 s10, s5, s10
	s_xor_b32 s5, s39, s40
	s_mul_u64 s[10:11], s[34:35], s[10:11]
	v_mad_u32 v138, v2, s37, v77
	s_mul_i32 s35, s11, s38
	s_wait_kmcnt 0x0
	s_ashr_i32 s10, s26, 2
	s_sub_co_i32 s26, s34, s35
	s_ashr_i32 s14, s14, 2
	s_add_co_i32 s34, s11, 1
	s_sub_co_i32 s35, s26, s38
	s_cmp_ge_u32 s26, s38
	s_mul_u64 s[24:25], s[24:25], s[2:3]
	s_cselect_b32 s11, s34, s11
	s_cselect_b32 s26, s35, s26
	s_add_co_i32 s34, s11, 1
	s_cmp_ge_u32 s26, s38
	s_add_nc_u64 s[6:7], s[6:7], s[24:25]
	s_cselect_b32 s11, s34, s11
	s_mul_u64 s[20:21], s[20:21], s[2:3]
	s_xor_b32 s11, s11, s5
	s_lshl_b32 s3, s10, 4
	s_sub_co_i32 s5, s11, s5
	s_lshl_b32 s11, s14, 4
	v_dual_lshrrev_b32 v3, 4, v77 :: v_dual_bitop2_b32 v4, 60, v123 bitop3:0x40
	s_mul_i32 s24, s5, s15
	s_add_nc_u64 s[8:9], s[8:9], s[20:21]
	s_mul_i32 s20, s5, s27
	s_delay_alu instid0(VALU_DEP_1) | instskip(SKIP_3) | instid1(VALU_DEP_4)
	v_add_nc_u32_e32 v1, v3, v1
	v_mul_u32_u24_e32 v136, 0x110, v77
	v_add_nc_u32_e32 v139, 0x8800, v0
	v_dual_mov_b32 v35, 0xfeffffff :: v_dual_lshlrev_b32 v86, 2, v4
	v_mul_lo_u32 v78, s14, v1
	v_mul_lo_u32 v88, s10, v1
	s_ashr_i32 s25, s24, 31
	s_ashr_i32 s21, s20, 31
	s_add_nc_u64 s[6:7], s[6:7], s[24:25]
	s_add_nc_u64 s[8:9], s[8:9], s[20:21]
	s_ashr_i32 s15, s14, 31
	s_add_nc_u64 s[20:21], s[0:1], 0xd0
	v_mov_b32_e32 v87, 0
	v_dual_mov_b32 v126, 32 :: v_dual_add_nc_u32 v135, 0x9800, v0
	s_delay_alu instid0(VALU_DEP_4) | instskip(SKIP_1) | instid1(VALU_DEP_4)
	v_add_nc_u32_e32 v80, s11, v78
	v_mov_b32_e32 v34, 0xfeffffff
	v_dual_mov_b32 v94, v87 :: v_dual_mov_b32 v95, v87
	s_delay_alu instid0(VALU_DEP_3) | instskip(SKIP_2) | instid1(VALU_DEP_3)
	v_dual_mov_b32 v32, v87 :: v_dual_add_nc_u32 v82, s11, v80
	v_lshlrev_b32_e32 v3, 2, v4
	v_dual_ashrrev_i32 v81, 31, v80 :: v_dual_mov_b32 v147, v87
	v_dual_mov_b32 v33, v87 :: v_dual_add_nc_u32 v84, s11, v82
	v_ashrrev_i32_e32 v79, 31, v78
	s_delay_alu instid0(VALU_DEP_4) | instskip(SKIP_1) | instid1(VALU_DEP_4)
	v_mad_u32_u24 v127, 0x110, v1, v3
	v_lshl_or_b32 v137, v1, 8, v3
	v_dual_ashrrev_i32 v83, 31, v82 :: v_dual_add_nc_u32 v90, s11, v84
	v_add_nc_u32_e32 v96, s3, v88
	v_ashrrev_i32_e32 v85, 31, v84
	v_add_nc_u32_e32 v128, 0x1100, v127
	v_add_nc_u32_e32 v129, 0x2200, v127
	v_dual_add_nc_u32 v92, s11, v90 :: v_dual_ashrrev_i32 v91, 31, v90
	v_add_nc_u32_e32 v130, 0x3300, v127
	v_add_nc_u32_e32 v131, 0x4400, v127
	;; [unrolled: 1-line block ×3, first 2 shown]
	s_delay_alu instid0(VALU_DEP_4) | instskip(SKIP_3) | instid1(VALU_DEP_4)
	v_dual_add_nc_u32 v98, s11, v92 :: v_dual_ashrrev_i32 v93, 31, v92
	v_add_nc_u32_e32 v100, s3, v96
	v_add_nc_u32_e32 v133, 0x6600, v127
	;; [unrolled: 1-line block ×3, first 2 shown]
	v_dual_add_nc_u32 v102, s11, v98 :: v_dual_ashrrev_i32 v99, 31, v98
	s_delay_alu instid0(VALU_DEP_4) | instskip(SKIP_2) | instid1(VALU_DEP_4)
	v_add_nc_u32_e32 v104, s3, v100
	v_add_nc_u32_e32 v140, 0x1000, v137
	;; [unrolled: 1-line block ×3, first 2 shown]
	v_ashrrev_i32_e32 v103, 31, v102
	v_add_nc_u32_e32 v142, 0x3000, v137
	v_add_nc_u32_e32 v106, s3, v104
	v_ashrrev_i32_e32 v89, 31, v88
	v_ashrrev_i32_e32 v97, 31, v96
	v_add_nc_u32_e32 v143, 0x4000, v137
	v_add_nc_u32_e32 v144, 0x5000, v137
	v_dual_add_nc_u32 v108, s3, v106 :: v_dual_ashrrev_i32 v107, 31, v106
	v_add_nc_u32_e32 v145, 0x6000, v137
	v_add_nc_u32_e32 v146, 0x7000, v137
	s_delay_alu instid0(VALU_DEP_3)
	v_dual_mov_b32 v148, v87 :: v_dual_add_nc_u32 v110, s3, v108
	v_ashrrev_i32_e32 v109, 31, v108
	v_ashrrev_i32_e32 v101, 31, v100
	;; [unrolled: 1-line block ×3, first 2 shown]
	s_ashr_i32 s11, s10, 31
	v_dual_add_nc_u32 v112, s3, v110 :: v_dual_ashrrev_i32 v111, 31, v110
	s_mov_b32 s3, 0xbbbac73d
	s_delay_alu instid0(VALU_DEP_1)
	v_ashrrev_i32_e32 v113, 31, v112
.LBB73_9:                               ; =>This Inner Loop Header: Depth=1
	s_ashr_i32 s5, s4, 31
	v_mov_b32_e32 v57, 0
	s_mul_u64 s[24:25], s[4:5], s[14:15]
	v_mov_b32_e32 v58, 0
	s_lshl_b64 s[24:25], s[24:25], 2
	v_mov_b32_e32 v59, 0
	s_add_nc_u64 s[24:25], s[6:7], s[24:25]
	v_mov_b32_e32 v60, 0
	v_lshl_add_u64 v[0:1], v[78:79], 2, s[24:25]
	v_lshl_add_u64 v[2:3], v[80:81], 2, s[24:25]
	;; [unrolled: 1-line block ×6, first 2 shown]
	v_add_nc_u64_e32 v[36:37], v[0:1], v[86:87]
	v_lshl_add_u64 v[12:13], v[98:99], 2, s[24:25]
	v_add_nc_u64_e32 v[38:39], v[2:3], v[86:87]
	v_lshl_add_u64 v[14:15], v[102:103], 2, s[24:25]
	v_add_nc_u64_e32 v[40:41], v[4:5], v[86:87]
	v_add_nc_u64_e32 v[42:43], v[6:7], v[86:87]
	v_add_nc_u64_e32 v[44:45], v[8:9], v[86:87]
	v_add_nc_u64_e32 v[46:47], v[10:11], v[86:87]
	v_add_nc_u64_e32 v[48:49], v[12:13], v[86:87]
	v_add_nc_u64_e32 v[50:51], v[14:15], v[86:87]
	s_clause 0x7
	global_load_b128 v[0:3], v[36:37], off
	global_load_b128 v[4:7], v[38:39], off
	;; [unrolled: 1-line block ×8, first 2 shown]
	s_wait_loadcnt 0x7
	ds_store_b128 v127, v[0:3]
	s_wait_loadcnt 0x6
	ds_store_b128 v128, v[4:7]
	s_wait_loadcnt 0x5
	ds_store_b128 v129, v[8:11]
	s_wait_loadcnt 0x4
	ds_store_b128 v130, v[12:15]
	s_wait_loadcnt 0x3
	ds_store_b128 v131, v[16:19]
	s_wait_loadcnt 0x2
	ds_store_b128 v132, v[20:23]
	s_wait_loadcnt 0x1
	ds_store_b128 v133, v[24:27]
	s_wait_loadcnt 0x0
	ds_store_b128 v134, v[28:31]
	s_wait_dscnt 0x0
	s_barrier_signal -1
	s_barrier_wait -1
	ds_load_b128 v[0:3], v136
	ds_load_b128 v[10:13], v135
	ds_load_b128 v[14:17], v135 offset:256
	ds_load_b128 v[18:21], v136 offset:8704
	v_mov_b32_e32 v6, 0
	ds_load_b128 v[22:25], v136 offset:17408
	ds_load_b128 v[26:29], v136 offset:26112
	v_dual_mov_b32 v7, 0 :: v_dual_mov_b32 v8, 0
	v_mov_b32_e32 v9, 0
	s_wait_dscnt 0x4
	;;#ASMSTART
	v_dot2_f32_f16 v6, v0, v10, v6
	;;#ASMEND
	;;#ASMSTART
	v_dot2_f32_f16 v6, v1, v11, v6
	;;#ASMEND
	;;#ASMSTART
	v_dot2_f32_f16 v6, v2, v12, v6
	;;#ASMEND
	;;#ASMSTART
	v_dot2_f32_f16 v6, v3, v13, v6
	;;#ASMEND
	s_wait_dscnt 0x3
	;;#ASMSTART
	v_dot2_f32_f16 v57, v0, v14, v57
	;;#ASMEND
	;;#ASMSTART
	v_dot2_f32_f16 v57, v1, v15, v57
	;;#ASMEND
	;;#ASMSTART
	v_dot2_f32_f16 v57, v2, v16, v57
	;;#ASMEND
	;;#ASMSTART
	v_dot2_f32_f16 v57, v3, v17, v57
	;;#ASMEND
	;; [unrolled: 13-line block ×3, first 2 shown]
	;;#ASMSTART
	v_dot2_f32_f16 v58, v18, v14, v58
	;;#ASMEND
	;;#ASMSTART
	v_dot2_f32_f16 v58, v19, v15, v58
	;;#ASMEND
	;; [unrolled: 3-line block ×4, first 2 shown]
	s_wait_dscnt 0x1
	;;#ASMSTART
	v_dot2_f32_f16 v8, v22, v10, v8
	;;#ASMEND
	;;#ASMSTART
	v_dot2_f32_f16 v8, v23, v11, v8
	;;#ASMEND
	;; [unrolled: 3-line block ×8, first 2 shown]
	s_wait_dscnt 0x0
	;;#ASMSTART
	v_dot2_f32_f16 v9, v26, v10, v9
	;;#ASMEND
	;;#ASMSTART
	v_dot2_f32_f16 v9, v27, v11, v9
	;;#ASMEND
	;; [unrolled: 3-line block ×8, first 2 shown]
	ds_load_b128 v[0:3], v136 offset:16
	ds_load_b128 v[10:13], v135 offset:16
	;; [unrolled: 1-line block ×6, first 2 shown]
	s_wait_dscnt 0x4
	;;#ASMSTART
	v_dot2_f32_f16 v6, v0, v10, v6
	;;#ASMEND
	;;#ASMSTART
	v_dot2_f32_f16 v6, v1, v11, v6
	;;#ASMEND
	;;#ASMSTART
	v_dot2_f32_f16 v6, v2, v12, v6
	;;#ASMEND
	;;#ASMSTART
	v_dot2_f32_f16 v6, v3, v13, v6
	;;#ASMEND
	s_wait_dscnt 0x3
	;;#ASMSTART
	v_dot2_f32_f16 v57, v0, v14, v57
	;;#ASMEND
	;;#ASMSTART
	v_dot2_f32_f16 v57, v1, v15, v57
	;;#ASMEND
	;;#ASMSTART
	v_dot2_f32_f16 v57, v2, v16, v57
	;;#ASMEND
	;;#ASMSTART
	v_dot2_f32_f16 v57, v3, v17, v57
	;;#ASMEND
	;; [unrolled: 13-line block ×3, first 2 shown]
	;;#ASMSTART
	v_dot2_f32_f16 v58, v18, v14, v58
	;;#ASMEND
	;;#ASMSTART
	v_dot2_f32_f16 v58, v19, v15, v58
	;;#ASMEND
	;; [unrolled: 3-line block ×4, first 2 shown]
	s_wait_dscnt 0x1
	;;#ASMSTART
	v_dot2_f32_f16 v8, v22, v10, v8
	;;#ASMEND
	;;#ASMSTART
	v_dot2_f32_f16 v8, v23, v11, v8
	;;#ASMEND
	;;#ASMSTART
	v_dot2_f32_f16 v8, v24, v12, v8
	;;#ASMEND
	;;#ASMSTART
	v_dot2_f32_f16 v8, v25, v13, v8
	;;#ASMEND
	;;#ASMSTART
	v_dot2_f32_f16 v59, v22, v14, v59
	;;#ASMEND
	;;#ASMSTART
	v_dot2_f32_f16 v59, v23, v15, v59
	;;#ASMEND
	;;#ASMSTART
	v_dot2_f32_f16 v59, v24, v16, v59
	;;#ASMEND
	;;#ASMSTART
	v_dot2_f32_f16 v59, v25, v17, v59
	;;#ASMEND
	s_wait_dscnt 0x0
	;;#ASMSTART
	v_dot2_f32_f16 v9, v26, v10, v9
	;;#ASMEND
	;;#ASMSTART
	v_dot2_f32_f16 v9, v27, v11, v9
	;;#ASMEND
	;; [unrolled: 3-line block ×8, first 2 shown]
	ds_load_b128 v[0:3], v136 offset:32
	ds_load_b128 v[10:13], v135 offset:32
	;; [unrolled: 1-line block ×6, first 2 shown]
	s_wait_dscnt 0x4
	;;#ASMSTART
	v_dot2_f32_f16 v6, v0, v10, v6
	;;#ASMEND
	;;#ASMSTART
	v_dot2_f32_f16 v6, v1, v11, v6
	;;#ASMEND
	;;#ASMSTART
	v_dot2_f32_f16 v6, v2, v12, v6
	;;#ASMEND
	;;#ASMSTART
	v_dot2_f32_f16 v6, v3, v13, v6
	;;#ASMEND
	s_wait_dscnt 0x3
	;;#ASMSTART
	v_dot2_f32_f16 v57, v0, v14, v57
	;;#ASMEND
	;;#ASMSTART
	v_dot2_f32_f16 v57, v1, v15, v57
	;;#ASMEND
	;;#ASMSTART
	v_dot2_f32_f16 v57, v2, v16, v57
	;;#ASMEND
	;;#ASMSTART
	v_dot2_f32_f16 v57, v3, v17, v57
	;;#ASMEND
	;; [unrolled: 13-line block ×3, first 2 shown]
	;;#ASMSTART
	v_dot2_f32_f16 v58, v18, v14, v58
	;;#ASMEND
	;;#ASMSTART
	v_dot2_f32_f16 v58, v19, v15, v58
	;;#ASMEND
	;; [unrolled: 3-line block ×4, first 2 shown]
	s_wait_dscnt 0x1
	;;#ASMSTART
	v_dot2_f32_f16 v8, v22, v10, v8
	;;#ASMEND
	;;#ASMSTART
	v_dot2_f32_f16 v8, v23, v11, v8
	;;#ASMEND
	;; [unrolled: 3-line block ×8, first 2 shown]
	s_wait_dscnt 0x0
	;;#ASMSTART
	v_dot2_f32_f16 v9, v26, v10, v9
	;;#ASMEND
	;;#ASMSTART
	v_dot2_f32_f16 v9, v27, v11, v9
	;;#ASMEND
	;; [unrolled: 3-line block ×8, first 2 shown]
	ds_load_b128 v[0:3], v136 offset:48
	ds_load_b128 v[10:13], v135 offset:48
	;; [unrolled: 1-line block ×6, first 2 shown]
	s_wait_dscnt 0x4
	;;#ASMSTART
	v_dot2_f32_f16 v6, v0, v10, v6
	;;#ASMEND
	;;#ASMSTART
	v_dot2_f32_f16 v6, v1, v11, v6
	;;#ASMEND
	;;#ASMSTART
	v_dot2_f32_f16 v6, v2, v12, v6
	;;#ASMEND
	;;#ASMSTART
	v_dot2_f32_f16 v6, v3, v13, v6
	;;#ASMEND
	s_wait_dscnt 0x3
	;;#ASMSTART
	v_dot2_f32_f16 v57, v0, v14, v57
	;;#ASMEND
	;;#ASMSTART
	v_dot2_f32_f16 v57, v1, v15, v57
	;;#ASMEND
	;;#ASMSTART
	v_dot2_f32_f16 v57, v2, v16, v57
	;;#ASMEND
	;;#ASMSTART
	v_dot2_f32_f16 v57, v3, v17, v57
	;;#ASMEND
	;; [unrolled: 13-line block ×3, first 2 shown]
	;;#ASMSTART
	v_dot2_f32_f16 v58, v18, v14, v58
	;;#ASMEND
	;;#ASMSTART
	v_dot2_f32_f16 v58, v19, v15, v58
	;;#ASMEND
	;; [unrolled: 3-line block ×4, first 2 shown]
	s_wait_dscnt 0x1
	;;#ASMSTART
	v_dot2_f32_f16 v8, v22, v10, v8
	;;#ASMEND
	;;#ASMSTART
	v_dot2_f32_f16 v8, v23, v11, v8
	;;#ASMEND
	;; [unrolled: 3-line block ×8, first 2 shown]
	s_wait_dscnt 0x0
	;;#ASMSTART
	v_dot2_f32_f16 v9, v26, v10, v9
	;;#ASMEND
	;;#ASMSTART
	v_dot2_f32_f16 v9, v27, v11, v9
	;;#ASMEND
	;; [unrolled: 3-line block ×8, first 2 shown]
	ds_load_b128 v[0:3], v136 offset:64
	ds_load_b128 v[10:13], v135 offset:64
	;; [unrolled: 1-line block ×6, first 2 shown]
	s_wait_dscnt 0x4
	;;#ASMSTART
	v_dot2_f32_f16 v6, v0, v10, v6
	;;#ASMEND
	;;#ASMSTART
	v_dot2_f32_f16 v6, v1, v11, v6
	;;#ASMEND
	;;#ASMSTART
	v_dot2_f32_f16 v6, v2, v12, v6
	;;#ASMEND
	;;#ASMSTART
	v_dot2_f32_f16 v6, v3, v13, v6
	;;#ASMEND
	s_wait_dscnt 0x3
	;;#ASMSTART
	v_dot2_f32_f16 v57, v0, v14, v57
	;;#ASMEND
	;;#ASMSTART
	v_dot2_f32_f16 v57, v1, v15, v57
	;;#ASMEND
	;;#ASMSTART
	v_dot2_f32_f16 v57, v2, v16, v57
	;;#ASMEND
	;;#ASMSTART
	v_dot2_f32_f16 v57, v3, v17, v57
	;;#ASMEND
	;; [unrolled: 13-line block ×3, first 2 shown]
	;;#ASMSTART
	v_dot2_f32_f16 v58, v18, v14, v58
	;;#ASMEND
	;;#ASMSTART
	v_dot2_f32_f16 v58, v19, v15, v58
	;;#ASMEND
	;;#ASMSTART
	v_dot2_f32_f16 v58, v20, v16, v58
	;;#ASMEND
	;;#ASMSTART
	v_dot2_f32_f16 v58, v21, v17, v58
	;;#ASMEND
	s_wait_dscnt 0x1
	;;#ASMSTART
	v_dot2_f32_f16 v8, v22, v10, v8
	;;#ASMEND
	;;#ASMSTART
	v_dot2_f32_f16 v8, v23, v11, v8
	;;#ASMEND
	;; [unrolled: 3-line block ×8, first 2 shown]
	s_wait_dscnt 0x0
	;;#ASMSTART
	v_dot2_f32_f16 v9, v26, v10, v9
	;;#ASMEND
	;;#ASMSTART
	v_dot2_f32_f16 v9, v27, v11, v9
	;;#ASMEND
	;; [unrolled: 3-line block ×8, first 2 shown]
	ds_load_b128 v[0:3], v136 offset:80
	ds_load_b128 v[10:13], v135 offset:80
	;; [unrolled: 1-line block ×6, first 2 shown]
	s_wait_dscnt 0x4
	;;#ASMSTART
	v_dot2_f32_f16 v6, v0, v10, v6
	;;#ASMEND
	;;#ASMSTART
	v_dot2_f32_f16 v6, v1, v11, v6
	;;#ASMEND
	;;#ASMSTART
	v_dot2_f32_f16 v6, v2, v12, v6
	;;#ASMEND
	;;#ASMSTART
	v_dot2_f32_f16 v6, v3, v13, v6
	;;#ASMEND
	s_wait_dscnt 0x3
	;;#ASMSTART
	v_dot2_f32_f16 v57, v0, v14, v57
	;;#ASMEND
	;;#ASMSTART
	v_dot2_f32_f16 v57, v1, v15, v57
	;;#ASMEND
	;;#ASMSTART
	v_dot2_f32_f16 v57, v2, v16, v57
	;;#ASMEND
	;;#ASMSTART
	v_dot2_f32_f16 v57, v3, v17, v57
	;;#ASMEND
	;; [unrolled: 13-line block ×3, first 2 shown]
	;;#ASMSTART
	v_dot2_f32_f16 v58, v18, v14, v58
	;;#ASMEND
	;;#ASMSTART
	v_dot2_f32_f16 v58, v19, v15, v58
	;;#ASMEND
	;; [unrolled: 3-line block ×4, first 2 shown]
	s_wait_dscnt 0x1
	;;#ASMSTART
	v_dot2_f32_f16 v8, v22, v10, v8
	;;#ASMEND
	;;#ASMSTART
	v_dot2_f32_f16 v8, v23, v11, v8
	;;#ASMEND
	;;#ASMSTART
	v_dot2_f32_f16 v8, v24, v12, v8
	;;#ASMEND
	;;#ASMSTART
	v_dot2_f32_f16 v8, v25, v13, v8
	;;#ASMEND
	;;#ASMSTART
	v_dot2_f32_f16 v59, v22, v14, v59
	;;#ASMEND
	;;#ASMSTART
	v_dot2_f32_f16 v59, v23, v15, v59
	;;#ASMEND
	;;#ASMSTART
	v_dot2_f32_f16 v59, v24, v16, v59
	;;#ASMEND
	;;#ASMSTART
	v_dot2_f32_f16 v59, v25, v17, v59
	;;#ASMEND
	s_wait_dscnt 0x0
	;;#ASMSTART
	v_dot2_f32_f16 v9, v26, v10, v9
	;;#ASMEND
	;;#ASMSTART
	v_dot2_f32_f16 v9, v27, v11, v9
	;;#ASMEND
	;; [unrolled: 3-line block ×8, first 2 shown]
	ds_load_b128 v[0:3], v136 offset:96
	ds_load_b128 v[10:13], v135 offset:96
	;; [unrolled: 1-line block ×6, first 2 shown]
	s_wait_dscnt 0x4
	;;#ASMSTART
	v_dot2_f32_f16 v6, v0, v10, v6
	;;#ASMEND
	;;#ASMSTART
	v_dot2_f32_f16 v6, v1, v11, v6
	;;#ASMEND
	;;#ASMSTART
	v_dot2_f32_f16 v6, v2, v12, v6
	;;#ASMEND
	;;#ASMSTART
	v_dot2_f32_f16 v6, v3, v13, v6
	;;#ASMEND
	s_wait_dscnt 0x3
	;;#ASMSTART
	v_dot2_f32_f16 v57, v0, v14, v57
	;;#ASMEND
	;;#ASMSTART
	v_dot2_f32_f16 v57, v1, v15, v57
	;;#ASMEND
	;;#ASMSTART
	v_dot2_f32_f16 v57, v2, v16, v57
	;;#ASMEND
	;;#ASMSTART
	v_dot2_f32_f16 v57, v3, v17, v57
	;;#ASMEND
	;; [unrolled: 13-line block ×3, first 2 shown]
	;;#ASMSTART
	v_dot2_f32_f16 v58, v18, v14, v58
	;;#ASMEND
	;;#ASMSTART
	v_dot2_f32_f16 v58, v19, v15, v58
	;;#ASMEND
	;;#ASMSTART
	v_dot2_f32_f16 v58, v20, v16, v58
	;;#ASMEND
	;;#ASMSTART
	v_dot2_f32_f16 v58, v21, v17, v58
	;;#ASMEND
	s_wait_dscnt 0x1
	;;#ASMSTART
	v_dot2_f32_f16 v8, v22, v10, v8
	;;#ASMEND
	;;#ASMSTART
	v_dot2_f32_f16 v8, v23, v11, v8
	;;#ASMEND
	;; [unrolled: 3-line block ×8, first 2 shown]
	s_wait_dscnt 0x0
	;;#ASMSTART
	v_dot2_f32_f16 v9, v26, v10, v9
	;;#ASMEND
	;;#ASMSTART
	v_dot2_f32_f16 v9, v27, v11, v9
	;;#ASMEND
	;; [unrolled: 3-line block ×8, first 2 shown]
	ds_load_b128 v[0:3], v136 offset:112
	ds_load_b128 v[10:13], v135 offset:112
	ds_load_b128 v[14:17], v135 offset:368
	ds_load_b128 v[18:21], v136 offset:8816
	ds_load_b128 v[22:25], v136 offset:17520
	ds_load_b128 v[26:29], v136 offset:26224
	s_wait_dscnt 0x4
	;;#ASMSTART
	v_dot2_f32_f16 v6, v0, v10, v6
	;;#ASMEND
	;;#ASMSTART
	v_dot2_f32_f16 v6, v1, v11, v6
	;;#ASMEND
	;;#ASMSTART
	v_dot2_f32_f16 v6, v2, v12, v6
	;;#ASMEND
	;;#ASMSTART
	v_dot2_f32_f16 v6, v3, v13, v6
	;;#ASMEND
	s_wait_dscnt 0x3
	;;#ASMSTART
	v_dot2_f32_f16 v57, v0, v14, v57
	;;#ASMEND
	;;#ASMSTART
	v_dot2_f32_f16 v57, v1, v15, v57
	;;#ASMEND
	;;#ASMSTART
	v_dot2_f32_f16 v57, v2, v16, v57
	;;#ASMEND
	;;#ASMSTART
	v_dot2_f32_f16 v57, v3, v17, v57
	;;#ASMEND
	;; [unrolled: 13-line block ×3, first 2 shown]
	;;#ASMSTART
	v_dot2_f32_f16 v58, v18, v14, v58
	;;#ASMEND
	;;#ASMSTART
	v_dot2_f32_f16 v58, v19, v15, v58
	;;#ASMEND
	;; [unrolled: 3-line block ×4, first 2 shown]
	s_wait_dscnt 0x1
	;;#ASMSTART
	v_dot2_f32_f16 v8, v22, v10, v8
	;;#ASMEND
	;;#ASMSTART
	v_dot2_f32_f16 v8, v23, v11, v8
	;;#ASMEND
	;;#ASMSTART
	v_dot2_f32_f16 v8, v24, v12, v8
	;;#ASMEND
	;;#ASMSTART
	v_dot2_f32_f16 v8, v25, v13, v8
	;;#ASMEND
	;;#ASMSTART
	v_dot2_f32_f16 v59, v22, v14, v59
	;;#ASMEND
	;;#ASMSTART
	v_dot2_f32_f16 v59, v23, v15, v59
	;;#ASMEND
	;;#ASMSTART
	v_dot2_f32_f16 v59, v24, v16, v59
	;;#ASMEND
	;;#ASMSTART
	v_dot2_f32_f16 v59, v25, v17, v59
	;;#ASMEND
	s_wait_dscnt 0x0
	;;#ASMSTART
	v_dot2_f32_f16 v9, v26, v10, v9
	;;#ASMEND
	;;#ASMSTART
	v_dot2_f32_f16 v9, v27, v11, v9
	;;#ASMEND
	;; [unrolled: 3-line block ×8, first 2 shown]
	ds_load_b128 v[0:3], v136 offset:128
	ds_load_b128 v[10:13], v135 offset:128
	ds_load_b128 v[14:17], v135 offset:384
	ds_load_b128 v[18:21], v136 offset:8832
	ds_load_b128 v[22:25], v136 offset:17536
	ds_load_b128 v[26:29], v136 offset:26240
	s_wait_dscnt 0x4
	;;#ASMSTART
	v_dot2_f32_f16 v6, v0, v10, v6
	;;#ASMEND
	;;#ASMSTART
	v_dot2_f32_f16 v6, v1, v11, v6
	;;#ASMEND
	;;#ASMSTART
	v_dot2_f32_f16 v6, v2, v12, v6
	;;#ASMEND
	;;#ASMSTART
	v_dot2_f32_f16 v6, v3, v13, v6
	;;#ASMEND
	s_wait_dscnt 0x3
	;;#ASMSTART
	v_dot2_f32_f16 v57, v0, v14, v57
	;;#ASMEND
	;;#ASMSTART
	v_dot2_f32_f16 v57, v1, v15, v57
	;;#ASMEND
	;;#ASMSTART
	v_dot2_f32_f16 v57, v2, v16, v57
	;;#ASMEND
	;;#ASMSTART
	v_dot2_f32_f16 v57, v3, v17, v57
	;;#ASMEND
	;; [unrolled: 13-line block ×3, first 2 shown]
	;;#ASMSTART
	v_dot2_f32_f16 v58, v18, v14, v58
	;;#ASMEND
	;;#ASMSTART
	v_dot2_f32_f16 v58, v19, v15, v58
	;;#ASMEND
	;; [unrolled: 3-line block ×4, first 2 shown]
	s_wait_dscnt 0x1
	;;#ASMSTART
	v_dot2_f32_f16 v8, v22, v10, v8
	;;#ASMEND
	;;#ASMSTART
	v_dot2_f32_f16 v8, v23, v11, v8
	;;#ASMEND
	;; [unrolled: 3-line block ×8, first 2 shown]
	s_wait_dscnt 0x0
	;;#ASMSTART
	v_dot2_f32_f16 v9, v26, v10, v9
	;;#ASMEND
	;;#ASMSTART
	v_dot2_f32_f16 v9, v27, v11, v9
	;;#ASMEND
	;; [unrolled: 3-line block ×8, first 2 shown]
	ds_load_b128 v[0:3], v136 offset:144
	ds_load_b128 v[10:13], v135 offset:144
	;; [unrolled: 1-line block ×6, first 2 shown]
	s_wait_dscnt 0x4
	;;#ASMSTART
	v_dot2_f32_f16 v6, v0, v10, v6
	;;#ASMEND
	;;#ASMSTART
	v_dot2_f32_f16 v6, v1, v11, v6
	;;#ASMEND
	;;#ASMSTART
	v_dot2_f32_f16 v6, v2, v12, v6
	;;#ASMEND
	;;#ASMSTART
	v_dot2_f32_f16 v6, v3, v13, v6
	;;#ASMEND
	s_wait_dscnt 0x3
	;;#ASMSTART
	v_dot2_f32_f16 v57, v0, v14, v57
	;;#ASMEND
	;;#ASMSTART
	v_dot2_f32_f16 v57, v1, v15, v57
	;;#ASMEND
	;;#ASMSTART
	v_dot2_f32_f16 v57, v2, v16, v57
	;;#ASMEND
	;;#ASMSTART
	v_dot2_f32_f16 v57, v3, v17, v57
	;;#ASMEND
	s_wait_dscnt 0x2
	;;#ASMSTART
	v_dot2_f32_f16 v7, v18, v10, v7
	;;#ASMEND
	;;#ASMSTART
	v_dot2_f32_f16 v7, v19, v11, v7
	;;#ASMEND
	;;#ASMSTART
	v_dot2_f32_f16 v7, v20, v12, v7
	;;#ASMEND
	;;#ASMSTART
	v_dot2_f32_f16 v7, v21, v13, v7
	;;#ASMEND
	;;#ASMSTART
	v_dot2_f32_f16 v58, v18, v14, v58
	;;#ASMEND
	;;#ASMSTART
	v_dot2_f32_f16 v58, v19, v15, v58
	;;#ASMEND
	;; [unrolled: 3-line block ×4, first 2 shown]
	s_wait_dscnt 0x1
	;;#ASMSTART
	v_dot2_f32_f16 v8, v22, v10, v8
	;;#ASMEND
	;;#ASMSTART
	v_dot2_f32_f16 v8, v23, v11, v8
	;;#ASMEND
	;; [unrolled: 3-line block ×8, first 2 shown]
	s_wait_dscnt 0x0
	;;#ASMSTART
	v_dot2_f32_f16 v9, v26, v10, v9
	;;#ASMEND
	;;#ASMSTART
	v_dot2_f32_f16 v9, v27, v11, v9
	;;#ASMEND
	;; [unrolled: 3-line block ×8, first 2 shown]
	ds_load_b128 v[0:3], v136 offset:160
	ds_load_b128 v[10:13], v135 offset:160
	;; [unrolled: 1-line block ×6, first 2 shown]
	s_wait_dscnt 0x4
	;;#ASMSTART
	v_dot2_f32_f16 v6, v0, v10, v6
	;;#ASMEND
	;;#ASMSTART
	v_dot2_f32_f16 v6, v1, v11, v6
	;;#ASMEND
	;;#ASMSTART
	v_dot2_f32_f16 v6, v2, v12, v6
	;;#ASMEND
	;;#ASMSTART
	v_dot2_f32_f16 v6, v3, v13, v6
	;;#ASMEND
	s_wait_dscnt 0x3
	;;#ASMSTART
	v_dot2_f32_f16 v57, v0, v14, v57
	;;#ASMEND
	;;#ASMSTART
	v_dot2_f32_f16 v57, v1, v15, v57
	;;#ASMEND
	;;#ASMSTART
	v_dot2_f32_f16 v57, v2, v16, v57
	;;#ASMEND
	;;#ASMSTART
	v_dot2_f32_f16 v57, v3, v17, v57
	;;#ASMEND
	;; [unrolled: 13-line block ×3, first 2 shown]
	;;#ASMSTART
	v_dot2_f32_f16 v58, v18, v14, v58
	;;#ASMEND
	;;#ASMSTART
	v_dot2_f32_f16 v58, v19, v15, v58
	;;#ASMEND
	;; [unrolled: 3-line block ×4, first 2 shown]
	s_wait_dscnt 0x1
	;;#ASMSTART
	v_dot2_f32_f16 v8, v22, v10, v8
	;;#ASMEND
	;;#ASMSTART
	v_dot2_f32_f16 v8, v23, v11, v8
	;;#ASMEND
	;; [unrolled: 3-line block ×8, first 2 shown]
	s_wait_dscnt 0x0
	;;#ASMSTART
	v_dot2_f32_f16 v9, v26, v10, v9
	;;#ASMEND
	;;#ASMSTART
	v_dot2_f32_f16 v9, v27, v11, v9
	;;#ASMEND
	;; [unrolled: 3-line block ×8, first 2 shown]
	ds_load_b128 v[0:3], v136 offset:176
	ds_load_b128 v[10:13], v135 offset:176
	;; [unrolled: 1-line block ×6, first 2 shown]
	s_wait_dscnt 0x4
	;;#ASMSTART
	v_dot2_f32_f16 v6, v0, v10, v6
	;;#ASMEND
	;;#ASMSTART
	v_dot2_f32_f16 v6, v1, v11, v6
	;;#ASMEND
	;;#ASMSTART
	v_dot2_f32_f16 v6, v2, v12, v6
	;;#ASMEND
	;;#ASMSTART
	v_dot2_f32_f16 v6, v3, v13, v6
	;;#ASMEND
	s_wait_dscnt 0x3
	;;#ASMSTART
	v_dot2_f32_f16 v57, v0, v14, v57
	;;#ASMEND
	;;#ASMSTART
	v_dot2_f32_f16 v57, v1, v15, v57
	;;#ASMEND
	;;#ASMSTART
	v_dot2_f32_f16 v57, v2, v16, v57
	;;#ASMEND
	;;#ASMSTART
	v_dot2_f32_f16 v57, v3, v17, v57
	;;#ASMEND
	;; [unrolled: 13-line block ×3, first 2 shown]
	;;#ASMSTART
	v_dot2_f32_f16 v58, v18, v14, v58
	;;#ASMEND
	;;#ASMSTART
	v_dot2_f32_f16 v58, v19, v15, v58
	;;#ASMEND
	;;#ASMSTART
	v_dot2_f32_f16 v58, v20, v16, v58
	;;#ASMEND
	;;#ASMSTART
	v_dot2_f32_f16 v58, v21, v17, v58
	;;#ASMEND
	s_wait_dscnt 0x1
	;;#ASMSTART
	v_dot2_f32_f16 v8, v22, v10, v8
	;;#ASMEND
	;;#ASMSTART
	v_dot2_f32_f16 v8, v23, v11, v8
	;;#ASMEND
	;; [unrolled: 3-line block ×8, first 2 shown]
	s_wait_dscnt 0x0
	;;#ASMSTART
	v_dot2_f32_f16 v9, v26, v10, v9
	;;#ASMEND
	;;#ASMSTART
	v_dot2_f32_f16 v9, v27, v11, v9
	;;#ASMEND
	;; [unrolled: 3-line block ×8, first 2 shown]
	ds_load_b128 v[0:3], v136 offset:192
	ds_load_b128 v[10:13], v135 offset:192
	;; [unrolled: 1-line block ×6, first 2 shown]
	s_wait_dscnt 0x4
	;;#ASMSTART
	v_dot2_f32_f16 v6, v0, v10, v6
	;;#ASMEND
	;;#ASMSTART
	v_dot2_f32_f16 v6, v1, v11, v6
	;;#ASMEND
	;;#ASMSTART
	v_dot2_f32_f16 v6, v2, v12, v6
	;;#ASMEND
	;;#ASMSTART
	v_dot2_f32_f16 v6, v3, v13, v6
	;;#ASMEND
	s_wait_dscnt 0x3
	;;#ASMSTART
	v_dot2_f32_f16 v57, v0, v14, v57
	;;#ASMEND
	;;#ASMSTART
	v_dot2_f32_f16 v57, v1, v15, v57
	;;#ASMEND
	;;#ASMSTART
	v_dot2_f32_f16 v57, v2, v16, v57
	;;#ASMEND
	;;#ASMSTART
	v_dot2_f32_f16 v57, v3, v17, v57
	;;#ASMEND
	;; [unrolled: 13-line block ×3, first 2 shown]
	;;#ASMSTART
	v_dot2_f32_f16 v58, v18, v14, v58
	;;#ASMEND
	;;#ASMSTART
	v_dot2_f32_f16 v58, v19, v15, v58
	;;#ASMEND
	;;#ASMSTART
	v_dot2_f32_f16 v58, v20, v16, v58
	;;#ASMEND
	;;#ASMSTART
	v_dot2_f32_f16 v58, v21, v17, v58
	;;#ASMEND
	s_wait_dscnt 0x1
	;;#ASMSTART
	v_dot2_f32_f16 v8, v22, v10, v8
	;;#ASMEND
	;;#ASMSTART
	v_dot2_f32_f16 v8, v23, v11, v8
	;;#ASMEND
	;; [unrolled: 3-line block ×8, first 2 shown]
	s_wait_dscnt 0x0
	;;#ASMSTART
	v_dot2_f32_f16 v9, v26, v10, v9
	;;#ASMEND
	;;#ASMSTART
	v_dot2_f32_f16 v9, v27, v11, v9
	;;#ASMEND
	;; [unrolled: 3-line block ×8, first 2 shown]
	ds_load_b128 v[0:3], v136 offset:208
	ds_load_b128 v[10:13], v135 offset:208
	;; [unrolled: 1-line block ×6, first 2 shown]
	s_wait_dscnt 0x4
	;;#ASMSTART
	v_dot2_f32_f16 v6, v0, v10, v6
	;;#ASMEND
	;;#ASMSTART
	v_dot2_f32_f16 v6, v1, v11, v6
	;;#ASMEND
	;;#ASMSTART
	v_dot2_f32_f16 v6, v2, v12, v6
	;;#ASMEND
	;;#ASMSTART
	v_dot2_f32_f16 v6, v3, v13, v6
	;;#ASMEND
	s_wait_dscnt 0x3
	;;#ASMSTART
	v_dot2_f32_f16 v57, v0, v14, v57
	;;#ASMEND
	;;#ASMSTART
	v_dot2_f32_f16 v57, v1, v15, v57
	;;#ASMEND
	;;#ASMSTART
	v_dot2_f32_f16 v57, v2, v16, v57
	;;#ASMEND
	;;#ASMSTART
	v_dot2_f32_f16 v57, v3, v17, v57
	;;#ASMEND
	s_wait_dscnt 0x2
	;;#ASMSTART
	v_dot2_f32_f16 v7, v18, v10, v7
	;;#ASMEND
	;;#ASMSTART
	v_dot2_f32_f16 v7, v19, v11, v7
	;;#ASMEND
	;;#ASMSTART
	v_dot2_f32_f16 v7, v20, v12, v7
	;;#ASMEND
	;;#ASMSTART
	v_dot2_f32_f16 v7, v21, v13, v7
	;;#ASMEND
	;;#ASMSTART
	v_dot2_f32_f16 v58, v18, v14, v58
	;;#ASMEND
	;;#ASMSTART
	v_dot2_f32_f16 v58, v19, v15, v58
	;;#ASMEND
	;; [unrolled: 3-line block ×4, first 2 shown]
	s_wait_dscnt 0x1
	;;#ASMSTART
	v_dot2_f32_f16 v8, v22, v10, v8
	;;#ASMEND
	;;#ASMSTART
	v_dot2_f32_f16 v8, v23, v11, v8
	;;#ASMEND
	;; [unrolled: 3-line block ×8, first 2 shown]
	s_wait_dscnt 0x0
	;;#ASMSTART
	v_dot2_f32_f16 v9, v26, v10, v9
	;;#ASMEND
	;;#ASMSTART
	v_dot2_f32_f16 v9, v27, v11, v9
	;;#ASMEND
	;; [unrolled: 3-line block ×8, first 2 shown]
	ds_load_b128 v[0:3], v136 offset:224
	ds_load_b128 v[10:13], v135 offset:224
	;; [unrolled: 1-line block ×6, first 2 shown]
	s_wait_dscnt 0x4
	;;#ASMSTART
	v_dot2_f32_f16 v6, v0, v10, v6
	;;#ASMEND
	;;#ASMSTART
	v_dot2_f32_f16 v6, v1, v11, v6
	;;#ASMEND
	;;#ASMSTART
	v_dot2_f32_f16 v6, v2, v12, v6
	;;#ASMEND
	;;#ASMSTART
	v_dot2_f32_f16 v6, v3, v13, v6
	;;#ASMEND
	s_wait_dscnt 0x3
	;;#ASMSTART
	v_dot2_f32_f16 v57, v0, v14, v57
	;;#ASMEND
	;;#ASMSTART
	v_dot2_f32_f16 v57, v1, v15, v57
	;;#ASMEND
	;;#ASMSTART
	v_dot2_f32_f16 v57, v2, v16, v57
	;;#ASMEND
	;;#ASMSTART
	v_dot2_f32_f16 v57, v3, v17, v57
	;;#ASMEND
	;; [unrolled: 13-line block ×3, first 2 shown]
	;;#ASMSTART
	v_dot2_f32_f16 v58, v18, v14, v58
	;;#ASMEND
	;;#ASMSTART
	v_dot2_f32_f16 v58, v19, v15, v58
	;;#ASMEND
	;; [unrolled: 3-line block ×4, first 2 shown]
	s_wait_dscnt 0x1
	;;#ASMSTART
	v_dot2_f32_f16 v8, v22, v10, v8
	;;#ASMEND
	;;#ASMSTART
	v_dot2_f32_f16 v8, v23, v11, v8
	;;#ASMEND
	;;#ASMSTART
	v_dot2_f32_f16 v8, v24, v12, v8
	;;#ASMEND
	;;#ASMSTART
	v_dot2_f32_f16 v8, v25, v13, v8
	;;#ASMEND
	;;#ASMSTART
	v_dot2_f32_f16 v59, v22, v14, v59
	;;#ASMEND
	;;#ASMSTART
	v_dot2_f32_f16 v59, v23, v15, v59
	;;#ASMEND
	;;#ASMSTART
	v_dot2_f32_f16 v59, v24, v16, v59
	;;#ASMEND
	;;#ASMSTART
	v_dot2_f32_f16 v59, v25, v17, v59
	;;#ASMEND
	s_wait_dscnt 0x0
	;;#ASMSTART
	v_dot2_f32_f16 v9, v26, v10, v9
	;;#ASMEND
	;;#ASMSTART
	v_dot2_f32_f16 v9, v27, v11, v9
	;;#ASMEND
	;; [unrolled: 3-line block ×8, first 2 shown]
	ds_load_b128 v[0:3], v136 offset:240
	ds_load_b128 v[10:13], v135 offset:240
	ds_load_b128 v[14:17], v135 offset:496
	ds_load_b128 v[18:21], v136 offset:8944
	ds_load_b128 v[22:25], v136 offset:17648
	ds_load_b128 v[26:29], v136 offset:26352
	s_wait_dscnt 0x4
	;;#ASMSTART
	v_dot2_f32_f16 v6, v0, v10, v6
	;;#ASMEND
	;;#ASMSTART
	v_dot2_f32_f16 v6, v1, v11, v6
	;;#ASMEND
	;;#ASMSTART
	v_dot2_f32_f16 v6, v2, v12, v6
	;;#ASMEND
	;;#ASMSTART
	v_dot2_f32_f16 v6, v3, v13, v6
	;;#ASMEND
	s_wait_dscnt 0x3
	;;#ASMSTART
	v_dot2_f32_f16 v57, v0, v14, v57
	;;#ASMEND
	;;#ASMSTART
	v_dot2_f32_f16 v57, v1, v15, v57
	;;#ASMEND
	;;#ASMSTART
	v_dot2_f32_f16 v57, v2, v16, v57
	;;#ASMEND
	;;#ASMSTART
	v_dot2_f32_f16 v57, v3, v17, v57
	;;#ASMEND
	;; [unrolled: 13-line block ×3, first 2 shown]
	;;#ASMSTART
	v_dot2_f32_f16 v58, v18, v14, v58
	;;#ASMEND
	;;#ASMSTART
	v_dot2_f32_f16 v58, v19, v15, v58
	;;#ASMEND
	;; [unrolled: 3-line block ×4, first 2 shown]
	s_wait_dscnt 0x1
	;;#ASMSTART
	v_dot2_f32_f16 v8, v22, v10, v8
	;;#ASMEND
	;;#ASMSTART
	v_dot2_f32_f16 v8, v23, v11, v8
	;;#ASMEND
	;; [unrolled: 3-line block ×8, first 2 shown]
	s_wait_dscnt 0x0
	;;#ASMSTART
	v_dot2_f32_f16 v9, v26, v10, v9
	;;#ASMEND
	v_cmp_ngt_f32_e64 s24, 0x3f200000, |v6|
	;;#ASMSTART
	v_dot2_f32_f16 v9, v27, v11, v9
	;;#ASMEND
	;;#ASMSTART
	v_dot2_f32_f16 v9, v28, v12, v9
	;;#ASMEND
	;; [unrolled: 3-line block ×7, first 2 shown]
                                        ; implicit-def: $vgpr2
	s_and_saveexec_b32 s25, s24
	s_delay_alu instid0(SALU_CYCLE_1)
	s_xor_b32 s24, exec_lo, s25
	s_cbranch_execz .LBB73_11
; %bb.10:                               ;   in Loop: Header=BB73_9 Depth=1
	v_add_f32_e64 v0, |v6|, |v6|
	s_delay_alu instid0(VALU_DEP_1) | instskip(SKIP_1) | instid1(VALU_DEP_2)
	v_mul_f32_e32 v1, 0x3fb8aa3b, v0
	v_cmp_ngt_f32_e32 vcc_lo, 0xc2ce8ed0, v0
	v_rndne_f32_e32 v2, v1
	v_fma_f32 v3, 0x3fb8aa3b, v0, -v1
	s_delay_alu instid0(VALU_DEP_2) | instskip(NEXT) | instid1(VALU_DEP_2)
	v_sub_f32_e32 v1, v1, v2
	v_fmac_f32_e32 v3, 0x32a5705f, v0
	v_cvt_i32_f32_e32 v2, v2
	s_delay_alu instid0(VALU_DEP_2) | instskip(NEXT) | instid1(VALU_DEP_1)
	v_add_f32_e32 v1, v1, v3
	v_exp_f32_e32 v1, v1
	v_nop
	s_delay_alu instid0(TRANS32_DEP_1) | instskip(NEXT) | instid1(VALU_DEP_1)
	v_ldexp_f32 v1, v1, v2
	v_cndmask_b32_e32 v1, 0, v1, vcc_lo
	v_cmp_nlt_f32_e32 vcc_lo, 0x42b17218, v0
	s_delay_alu instid0(VALU_DEP_2) | instskip(NEXT) | instid1(VALU_DEP_1)
	v_cndmask_b32_e32 v0, 0x7f800000, v1, vcc_lo
	v_add_f32_e32 v0, 1.0, v0
	s_delay_alu instid0(VALU_DEP_1) | instskip(SKIP_1) | instid1(TRANS32_DEP_1)
	v_rcp_f32_e32 v0, v0
	v_nop
	v_fma_f32 v2, v0, -2.0, 1.0
.LBB73_11:                              ;   in Loop: Header=BB73_9 Depth=1
	s_and_not1_saveexec_b32 s24, s24
	s_cbranch_execz .LBB73_13
; %bb.12:                               ;   in Loop: Header=BB73_9 Depth=1
	v_mul_f32_e32 v0, v6, v6
	s_delay_alu instid0(VALU_DEP_1) | instskip(NEXT) | instid1(VALU_DEP_1)
	v_fmaak_f32 v1, s3, v0, 0x3ca908c9
	v_fmaak_f32 v1, v0, v1, 0xbd5c1c4e
	s_delay_alu instid0(VALU_DEP_1) | instskip(NEXT) | instid1(VALU_DEP_1)
	v_fmaak_f32 v1, v0, v1, 0x3e088382
	v_fmaak_f32 v1, v0, v1, 0xbeaaaa99
	s_delay_alu instid0(VALU_DEP_1) | instskip(NEXT) | instid1(VALU_DEP_1)
	v_mul_f32_e64 v1, |v6|, v1
	v_fma_f32 v2, v0, v1, |v6|
.LBB73_13:                              ;   in Loop: Header=BB73_9 Depth=1
	s_or_b32 exec_lo, exec_lo, s24
	v_add_nc_u32_e32 v0, s4, v138
	v_cmp_ngt_f32_e64 s24, 0x3f200000, |v7|
                                        ; implicit-def: $vgpr3
	global_load_u16 v42, v0, s[30:31] scale_offset
	s_wait_xcnt 0x0
	s_and_saveexec_b32 s25, s24
	s_delay_alu instid0(SALU_CYCLE_1)
	s_xor_b32 s24, exec_lo, s25
	s_cbranch_execz .LBB73_15
; %bb.14:                               ;   in Loop: Header=BB73_9 Depth=1
	v_add_f32_e64 v1, |v7|, |v7|
	s_delay_alu instid0(VALU_DEP_1) | instskip(SKIP_1) | instid1(VALU_DEP_2)
	v_mul_f32_e32 v3, 0x3fb8aa3b, v1
	v_cmp_ngt_f32_e32 vcc_lo, 0xc2ce8ed0, v1
	v_rndne_f32_e32 v4, v3
	v_fma_f32 v5, 0x3fb8aa3b, v1, -v3
	s_delay_alu instid0(VALU_DEP_2) | instskip(NEXT) | instid1(VALU_DEP_2)
	v_sub_f32_e32 v3, v3, v4
	v_fmac_f32_e32 v5, 0x32a5705f, v1
	v_cvt_i32_f32_e32 v4, v4
	s_delay_alu instid0(VALU_DEP_2) | instskip(NEXT) | instid1(VALU_DEP_1)
	v_add_f32_e32 v3, v3, v5
	v_exp_f32_e32 v3, v3
	v_nop
	s_delay_alu instid0(TRANS32_DEP_1) | instskip(NEXT) | instid1(VALU_DEP_1)
	v_ldexp_f32 v3, v3, v4
	v_cndmask_b32_e32 v3, 0, v3, vcc_lo
	v_cmp_nlt_f32_e32 vcc_lo, 0x42b17218, v1
	s_delay_alu instid0(VALU_DEP_2) | instskip(NEXT) | instid1(VALU_DEP_1)
	v_cndmask_b32_e32 v1, 0x7f800000, v3, vcc_lo
	v_add_f32_e32 v1, 1.0, v1
	s_delay_alu instid0(VALU_DEP_1) | instskip(SKIP_1) | instid1(TRANS32_DEP_1)
	v_rcp_f32_e32 v1, v1
	v_nop
	v_fma_f32 v3, v1, -2.0, 1.0
.LBB73_15:                              ;   in Loop: Header=BB73_9 Depth=1
	s_and_not1_saveexec_b32 s24, s24
	s_cbranch_execz .LBB73_17
; %bb.16:                               ;   in Loop: Header=BB73_9 Depth=1
	v_mul_f32_e32 v1, v7, v7
	s_delay_alu instid0(VALU_DEP_1) | instskip(NEXT) | instid1(VALU_DEP_1)
	v_fmaak_f32 v3, s3, v1, 0x3ca908c9
	v_fmaak_f32 v3, v1, v3, 0xbd5c1c4e
	s_delay_alu instid0(VALU_DEP_1) | instskip(NEXT) | instid1(VALU_DEP_1)
	v_fmaak_f32 v3, v1, v3, 0x3e088382
	v_fmaak_f32 v3, v1, v3, 0xbeaaaa99
	s_delay_alu instid0(VALU_DEP_1) | instskip(NEXT) | instid1(VALU_DEP_1)
	v_mul_f32_e64 v3, |v7|, v3
	v_fma_f32 v3, v1, v3, |v7|
.LBB73_17:                              ;   in Loop: Header=BB73_9 Depth=1
	s_or_b32 exec_lo, exec_lo, s24
	v_ashrrev_i32_e32 v1, 31, v0
	v_cmp_ngt_f32_e64 s24, 0x3f200000, |v8|
                                        ; implicit-def: $vgpr4
	s_delay_alu instid0(VALU_DEP_2) | instskip(SKIP_3) | instid1(SALU_CYCLE_1)
	v_lshl_add_u64 v[0:1], v[0:1], 1, s[30:31]
	global_load_u16 v43, v[0:1], off offset:64
	s_wait_xcnt 0x0
	s_and_saveexec_b32 s25, s24
	s_xor_b32 s24, exec_lo, s25
	s_cbranch_execz .LBB73_19
; %bb.18:                               ;   in Loop: Header=BB73_9 Depth=1
	v_add_f32_e64 v4, |v8|, |v8|
	s_delay_alu instid0(VALU_DEP_1) | instskip(SKIP_1) | instid1(VALU_DEP_2)
	v_mul_f32_e32 v5, 0x3fb8aa3b, v4
	v_cmp_ngt_f32_e32 vcc_lo, 0xc2ce8ed0, v4
	v_rndne_f32_e32 v10, v5
	v_fma_f32 v11, 0x3fb8aa3b, v4, -v5
	s_delay_alu instid0(VALU_DEP_2) | instskip(NEXT) | instid1(VALU_DEP_2)
	v_sub_f32_e32 v5, v5, v10
	v_fmac_f32_e32 v11, 0x32a5705f, v4
	v_cvt_i32_f32_e32 v10, v10
	s_delay_alu instid0(VALU_DEP_2) | instskip(NEXT) | instid1(VALU_DEP_1)
	v_add_f32_e32 v5, v5, v11
	v_exp_f32_e32 v5, v5
	v_nop
	s_delay_alu instid0(TRANS32_DEP_1) | instskip(NEXT) | instid1(VALU_DEP_1)
	v_ldexp_f32 v5, v5, v10
	v_cndmask_b32_e32 v5, 0, v5, vcc_lo
	v_cmp_nlt_f32_e32 vcc_lo, 0x42b17218, v4
	s_delay_alu instid0(VALU_DEP_2) | instskip(NEXT) | instid1(VALU_DEP_1)
	v_cndmask_b32_e32 v4, 0x7f800000, v5, vcc_lo
	v_add_f32_e32 v4, 1.0, v4
	s_delay_alu instid0(VALU_DEP_1) | instskip(SKIP_1) | instid1(TRANS32_DEP_1)
	v_rcp_f32_e32 v4, v4
	v_nop
	v_fma_f32 v4, v4, -2.0, 1.0
.LBB73_19:                              ;   in Loop: Header=BB73_9 Depth=1
	s_and_not1_saveexec_b32 s24, s24
	s_cbranch_execz .LBB73_21
; %bb.20:                               ;   in Loop: Header=BB73_9 Depth=1
	v_mul_f32_e32 v4, v8, v8
	s_delay_alu instid0(VALU_DEP_1) | instskip(NEXT) | instid1(VALU_DEP_1)
	v_fmaak_f32 v5, s3, v4, 0x3ca908c9
	v_fmaak_f32 v5, v4, v5, 0xbd5c1c4e
	s_delay_alu instid0(VALU_DEP_1) | instskip(NEXT) | instid1(VALU_DEP_1)
	v_fmaak_f32 v5, v4, v5, 0x3e088382
	v_fmaak_f32 v5, v4, v5, 0xbeaaaa99
	s_delay_alu instid0(VALU_DEP_1) | instskip(NEXT) | instid1(VALU_DEP_1)
	v_mul_f32_e64 v5, |v8|, v5
	v_fma_f32 v4, v4, v5, |v8|
.LBB73_21:                              ;   in Loop: Header=BB73_9 Depth=1
	s_or_b32 exec_lo, exec_lo, s24
	global_load_u16 v46, v[0:1], off offset:128
	v_cmp_ngt_f32_e64 s24, 0x3f200000, |v9|
                                        ; implicit-def: $vgpr5
	s_wait_xcnt 0x0
	s_and_saveexec_b32 s25, s24
	s_delay_alu instid0(SALU_CYCLE_1)
	s_xor_b32 s24, exec_lo, s25
	s_cbranch_execz .LBB73_23
; %bb.22:                               ;   in Loop: Header=BB73_9 Depth=1
	v_add_f32_e64 v5, |v9|, |v9|
	s_delay_alu instid0(VALU_DEP_1) | instskip(SKIP_1) | instid1(VALU_DEP_2)
	v_mul_f32_e32 v10, 0x3fb8aa3b, v5
	v_cmp_ngt_f32_e32 vcc_lo, 0xc2ce8ed0, v5
	v_rndne_f32_e32 v11, v10
	v_fma_f32 v12, 0x3fb8aa3b, v5, -v10
	s_delay_alu instid0(VALU_DEP_2) | instskip(NEXT) | instid1(VALU_DEP_2)
	v_sub_f32_e32 v10, v10, v11
	v_fmac_f32_e32 v12, 0x32a5705f, v5
	v_cvt_i32_f32_e32 v11, v11
	s_delay_alu instid0(VALU_DEP_2) | instskip(NEXT) | instid1(VALU_DEP_1)
	v_add_f32_e32 v10, v10, v12
	v_exp_f32_e32 v10, v10
	v_nop
	s_delay_alu instid0(TRANS32_DEP_1) | instskip(NEXT) | instid1(VALU_DEP_1)
	v_ldexp_f32 v10, v10, v11
	v_cndmask_b32_e32 v10, 0, v10, vcc_lo
	v_cmp_nlt_f32_e32 vcc_lo, 0x42b17218, v5
	s_delay_alu instid0(VALU_DEP_2) | instskip(NEXT) | instid1(VALU_DEP_1)
	v_cndmask_b32_e32 v5, 0x7f800000, v10, vcc_lo
	v_add_f32_e32 v5, 1.0, v5
	s_delay_alu instid0(VALU_DEP_1) | instskip(SKIP_1) | instid1(TRANS32_DEP_1)
	v_rcp_f32_e32 v5, v5
	v_nop
	v_fma_f32 v5, v5, -2.0, 1.0
.LBB73_23:                              ;   in Loop: Header=BB73_9 Depth=1
	s_and_not1_saveexec_b32 s24, s24
	s_cbranch_execz .LBB73_25
; %bb.24:                               ;   in Loop: Header=BB73_9 Depth=1
	v_mul_f32_e32 v5, v9, v9
	s_delay_alu instid0(VALU_DEP_1) | instskip(NEXT) | instid1(VALU_DEP_1)
	v_fmaak_f32 v10, s3, v5, 0x3ca908c9
	v_fmaak_f32 v10, v5, v10, 0xbd5c1c4e
	s_delay_alu instid0(VALU_DEP_1) | instskip(NEXT) | instid1(VALU_DEP_1)
	v_fmaak_f32 v10, v5, v10, 0x3e088382
	v_fmaak_f32 v10, v5, v10, 0xbeaaaa99
	s_delay_alu instid0(VALU_DEP_1) | instskip(NEXT) | instid1(VALU_DEP_1)
	v_mul_f32_e64 v10, |v9|, v10
	v_fma_f32 v5, v5, v10, |v9|
.LBB73_25:                              ;   in Loop: Header=BB73_9 Depth=1
	s_or_b32 exec_lo, exec_lo, s24
	global_load_u16 v47, v[0:1], off offset:192
	s_wait_xcnt 0x0
	v_bfi_b32 v0, 0x7fffffff, v2, v6
	v_bfi_b32 v1, 0x7fffffff, v3, v7
	v_xor_b32_e32 v153, 16, v125
	v_bfi_b32 v2, 0x7fffffff, v5, v9
	v_xor_b32_e32 v149, 8, v125
	s_wait_loadcnt 0x3
	v_fma_mix_f32 v37, s36, v0, v42 op_sel_hi:[0,0,1]
	s_wait_loadcnt 0x2
	v_fma_mix_f32 v38, s36, v1, v43 op_sel_hi:[0,0,1]
	v_bfi_b32 v0, 0x7fffffff, v4, v8
	v_cmp_gt_i32_e32 vcc_lo, 32, v153
	v_xor_b32_e32 v152, 1, v125
	v_xor_b32_e32 v151, 2, v125
	v_add_f32_e32 v3, 0x40051340, v38
	s_wait_loadcnt 0x1
	v_fma_mix_f32 v40, s36, v0, v46 op_sel_hi:[0,0,1]
	v_xor_b32_e32 v150, 4, v125
	v_cmp_ngt_f32_e64 s24, 0x3f200000, |v57|
                                        ; implicit-def: $vgpr53
	s_wait_loadcnt 0x0
	v_fma_mix_f32 v41, s36, v2, v47 op_sel_hi:[0,0,1]
	v_cndmask_b32_e32 v2, v125, v153, vcc_lo
	v_add_f32_e32 v1, 0x40051340, v37
	v_cmp_gt_i32_e32 vcc_lo, 32, v149
	s_delay_alu instid0(VALU_DEP_3) | instskip(NEXT) | instid1(VALU_DEP_3)
	v_lshlrev_b32_e32 v48, 2, v2
	v_max3_num_f32 v0, v35, v1, v3
	v_dual_add_f32 v1, 0x40051340, v40 :: v_dual_cndmask_b32 v2, v125, v149
	v_cmp_gt_i32_e32 vcc_lo, 32, v150
	v_add_f32_e32 v3, 0x40051340, v41
	s_delay_alu instid0(VALU_DEP_3) | instskip(SKIP_1) | instid1(VALU_DEP_3)
	v_lshlrev_b32_e32 v49, 2, v2
	v_cndmask_b32_e32 v2, v125, v150, vcc_lo
	v_max3_num_f32 v0, v0, v1, v3
	v_cmp_gt_i32_e32 vcc_lo, 32, v151
	s_delay_alu instid0(VALU_DEP_3) | instskip(SKIP_3) | instid1(VALU_DEP_2)
	v_lshlrev_b32_e32 v50, 2, v2
	ds_bpermute_b32 v1, v48, v0
	v_cndmask_b32_e32 v2, v125, v151, vcc_lo
	v_cmp_gt_i32_e32 vcc_lo, 32, v152
	v_dual_cndmask_b32 v2, v125, v152 :: v_dual_lshlrev_b32 v39, 2, v2
	s_wait_dscnt 0x0
	s_delay_alu instid0(VALU_DEP_1) | instskip(NEXT) | instid1(VALU_DEP_1)
	v_dual_max_num_f32 v1, v1, v1 :: v_dual_lshlrev_b32 v36, 2, v2
	v_max_num_f32_e32 v0, v0, v1
	ds_bpermute_b32 v1, v49, v0
	s_wait_dscnt 0x0
	v_max_num_f32_e32 v1, v1, v1
	s_delay_alu instid0(VALU_DEP_1) | instskip(SKIP_3) | instid1(VALU_DEP_1)
	v_max_num_f32_e32 v0, v0, v1
	ds_bpermute_b32 v1, v50, v0
	s_wait_dscnt 0x0
	v_max_num_f32_e32 v1, v1, v1
	v_max_num_f32_e32 v0, v0, v1
	ds_bpermute_b32 v1, v39, v0
	s_wait_dscnt 0x0
	v_max_num_f32_e32 v1, v1, v1
	s_delay_alu instid0(VALU_DEP_1) | instskip(SKIP_2) | instid1(SALU_CYCLE_1)
	v_max_num_f32_e32 v51, v0, v1
	ds_bpermute_b32 v52, v36, v51
	s_and_saveexec_b32 s25, s24
	s_xor_b32 s24, exec_lo, s25
	s_cbranch_execz .LBB73_27
; %bb.26:                               ;   in Loop: Header=BB73_9 Depth=1
	v_add_f32_e64 v0, |v57|, |v57|
	s_delay_alu instid0(VALU_DEP_1) | instskip(SKIP_1) | instid1(VALU_DEP_2)
	v_mul_f32_e32 v1, 0x3fb8aa3b, v0
	v_cmp_ngt_f32_e32 vcc_lo, 0xc2ce8ed0, v0
	v_rndne_f32_e32 v2, v1
	v_fma_f32 v3, 0x3fb8aa3b, v0, -v1
	s_delay_alu instid0(VALU_DEP_2) | instskip(NEXT) | instid1(VALU_DEP_2)
	v_sub_f32_e32 v1, v1, v2
	v_fmac_f32_e32 v3, 0x32a5705f, v0
	v_cvt_i32_f32_e32 v2, v2
	s_delay_alu instid0(VALU_DEP_2) | instskip(NEXT) | instid1(VALU_DEP_1)
	v_add_f32_e32 v1, v1, v3
	v_exp_f32_e32 v1, v1
	v_nop
	s_delay_alu instid0(TRANS32_DEP_1) | instskip(NEXT) | instid1(VALU_DEP_1)
	v_ldexp_f32 v1, v1, v2
	v_cndmask_b32_e32 v1, 0, v1, vcc_lo
	v_cmp_nlt_f32_e32 vcc_lo, 0x42b17218, v0
	s_delay_alu instid0(VALU_DEP_2) | instskip(NEXT) | instid1(VALU_DEP_1)
	v_cndmask_b32_e32 v0, 0x7f800000, v1, vcc_lo
	v_add_f32_e32 v0, 1.0, v0
	s_delay_alu instid0(VALU_DEP_1) | instskip(SKIP_1) | instid1(TRANS32_DEP_1)
	v_rcp_f32_e32 v0, v0
	v_nop
	v_fma_f32 v53, v0, -2.0, 1.0
.LBB73_27:                              ;   in Loop: Header=BB73_9 Depth=1
	s_and_not1_saveexec_b32 s24, s24
	s_cbranch_execz .LBB73_29
; %bb.28:                               ;   in Loop: Header=BB73_9 Depth=1
	v_mul_f32_e32 v0, v57, v57
	s_delay_alu instid0(VALU_DEP_1) | instskip(NEXT) | instid1(VALU_DEP_1)
	v_fmaak_f32 v1, s3, v0, 0x3ca908c9
	v_fmaak_f32 v1, v0, v1, 0xbd5c1c4e
	s_delay_alu instid0(VALU_DEP_1) | instskip(NEXT) | instid1(VALU_DEP_1)
	v_fmaak_f32 v1, v0, v1, 0x3e088382
	v_fmaak_f32 v1, v0, v1, 0xbeaaaa99
	s_delay_alu instid0(VALU_DEP_1) | instskip(NEXT) | instid1(VALU_DEP_1)
	v_mul_f32_e64 v1, |v57|, v1
	v_fma_f32 v53, v0, v1, |v57|
.LBB73_29:                              ;   in Loop: Header=BB73_9 Depth=1
	s_or_b32 exec_lo, exec_lo, s24
	v_cmp_ngt_f32_e64 s24, 0x3f200000, |v58|
                                        ; implicit-def: $vgpr54
	s_and_saveexec_b32 s25, s24
	s_delay_alu instid0(SALU_CYCLE_1)
	s_xor_b32 s24, exec_lo, s25
	s_cbranch_execz .LBB73_31
; %bb.30:                               ;   in Loop: Header=BB73_9 Depth=1
	v_add_f32_e64 v0, |v58|, |v58|
	s_delay_alu instid0(VALU_DEP_1) | instskip(SKIP_1) | instid1(VALU_DEP_2)
	v_mul_f32_e32 v1, 0x3fb8aa3b, v0
	v_cmp_ngt_f32_e32 vcc_lo, 0xc2ce8ed0, v0
	v_rndne_f32_e32 v2, v1
	v_fma_f32 v3, 0x3fb8aa3b, v0, -v1
	s_delay_alu instid0(VALU_DEP_2) | instskip(NEXT) | instid1(VALU_DEP_2)
	v_sub_f32_e32 v1, v1, v2
	v_fmac_f32_e32 v3, 0x32a5705f, v0
	v_cvt_i32_f32_e32 v2, v2
	s_delay_alu instid0(VALU_DEP_2) | instskip(NEXT) | instid1(VALU_DEP_1)
	v_add_f32_e32 v1, v1, v3
	v_exp_f32_e32 v1, v1
	v_nop
	s_delay_alu instid0(TRANS32_DEP_1) | instskip(NEXT) | instid1(VALU_DEP_1)
	v_ldexp_f32 v1, v1, v2
	v_cndmask_b32_e32 v1, 0, v1, vcc_lo
	v_cmp_nlt_f32_e32 vcc_lo, 0x42b17218, v0
	s_delay_alu instid0(VALU_DEP_2) | instskip(NEXT) | instid1(VALU_DEP_1)
	v_cndmask_b32_e32 v0, 0x7f800000, v1, vcc_lo
	v_add_f32_e32 v0, 1.0, v0
	s_delay_alu instid0(VALU_DEP_1) | instskip(SKIP_1) | instid1(TRANS32_DEP_1)
	v_rcp_f32_e32 v0, v0
	v_nop
	v_fma_f32 v54, v0, -2.0, 1.0
.LBB73_31:                              ;   in Loop: Header=BB73_9 Depth=1
	s_and_not1_saveexec_b32 s24, s24
	s_cbranch_execz .LBB73_33
; %bb.32:                               ;   in Loop: Header=BB73_9 Depth=1
	v_mul_f32_e32 v0, v58, v58
	s_delay_alu instid0(VALU_DEP_1) | instskip(NEXT) | instid1(VALU_DEP_1)
	v_fmaak_f32 v1, s3, v0, 0x3ca908c9
	v_fmaak_f32 v1, v0, v1, 0xbd5c1c4e
	s_delay_alu instid0(VALU_DEP_1) | instskip(NEXT) | instid1(VALU_DEP_1)
	v_fmaak_f32 v1, v0, v1, 0x3e088382
	v_fmaak_f32 v1, v0, v1, 0xbeaaaa99
	s_delay_alu instid0(VALU_DEP_1) | instskip(NEXT) | instid1(VALU_DEP_1)
	v_mul_f32_e64 v1, |v58|, v1
	v_fma_f32 v54, v0, v1, |v58|
.LBB73_33:                              ;   in Loop: Header=BB73_9 Depth=1
	s_or_b32 exec_lo, exec_lo, s24
	v_cmp_ngt_f32_e64 s24, 0x3f200000, |v59|
                                        ; implicit-def: $vgpr55
	s_and_saveexec_b32 s25, s24
	s_delay_alu instid0(SALU_CYCLE_1)
	s_xor_b32 s24, exec_lo, s25
	s_cbranch_execz .LBB73_35
; %bb.34:                               ;   in Loop: Header=BB73_9 Depth=1
	v_add_f32_e64 v0, |v59|, |v59|
	s_delay_alu instid0(VALU_DEP_1) | instskip(SKIP_1) | instid1(VALU_DEP_2)
	v_mul_f32_e32 v1, 0x3fb8aa3b, v0
	v_cmp_ngt_f32_e32 vcc_lo, 0xc2ce8ed0, v0
	v_rndne_f32_e32 v2, v1
	v_fma_f32 v3, 0x3fb8aa3b, v0, -v1
	s_delay_alu instid0(VALU_DEP_2) | instskip(NEXT) | instid1(VALU_DEP_2)
	v_sub_f32_e32 v1, v1, v2
	v_fmac_f32_e32 v3, 0x32a5705f, v0
	v_cvt_i32_f32_e32 v2, v2
	s_delay_alu instid0(VALU_DEP_2) | instskip(NEXT) | instid1(VALU_DEP_1)
	v_add_f32_e32 v1, v1, v3
	v_exp_f32_e32 v1, v1
	v_nop
	s_delay_alu instid0(TRANS32_DEP_1) | instskip(NEXT) | instid1(VALU_DEP_1)
	v_ldexp_f32 v1, v1, v2
	v_cndmask_b32_e32 v1, 0, v1, vcc_lo
	v_cmp_nlt_f32_e32 vcc_lo, 0x42b17218, v0
	s_delay_alu instid0(VALU_DEP_2) | instskip(NEXT) | instid1(VALU_DEP_1)
	v_cndmask_b32_e32 v0, 0x7f800000, v1, vcc_lo
	v_add_f32_e32 v0, 1.0, v0
	s_delay_alu instid0(VALU_DEP_1) | instskip(SKIP_1) | instid1(TRANS32_DEP_1)
	v_rcp_f32_e32 v0, v0
	v_nop
	v_fma_f32 v55, v0, -2.0, 1.0
.LBB73_35:                              ;   in Loop: Header=BB73_9 Depth=1
	s_and_not1_saveexec_b32 s24, s24
	s_cbranch_execz .LBB73_37
; %bb.36:                               ;   in Loop: Header=BB73_9 Depth=1
	v_mul_f32_e32 v0, v59, v59
	s_delay_alu instid0(VALU_DEP_1) | instskip(NEXT) | instid1(VALU_DEP_1)
	v_fmaak_f32 v1, s3, v0, 0x3ca908c9
	v_fmaak_f32 v1, v0, v1, 0xbd5c1c4e
	s_delay_alu instid0(VALU_DEP_1) | instskip(NEXT) | instid1(VALU_DEP_1)
	v_fmaak_f32 v1, v0, v1, 0x3e088382
	v_fmaak_f32 v1, v0, v1, 0xbeaaaa99
	s_delay_alu instid0(VALU_DEP_1) | instskip(NEXT) | instid1(VALU_DEP_1)
	v_mul_f32_e64 v1, |v59|, v1
	v_fma_f32 v55, v0, v1, |v59|
.LBB73_37:                              ;   in Loop: Header=BB73_9 Depth=1
	s_or_b32 exec_lo, exec_lo, s24
	v_cmp_ngt_f32_e64 s24, 0x3f200000, |v60|
                                        ; implicit-def: $vgpr56
	s_and_saveexec_b32 s25, s24
	s_delay_alu instid0(SALU_CYCLE_1)
	s_xor_b32 s24, exec_lo, s25
	s_cbranch_execz .LBB73_39
; %bb.38:                               ;   in Loop: Header=BB73_9 Depth=1
	v_add_f32_e64 v0, |v60|, |v60|
	s_delay_alu instid0(VALU_DEP_1) | instskip(SKIP_1) | instid1(VALU_DEP_2)
	v_mul_f32_e32 v1, 0x3fb8aa3b, v0
	v_cmp_ngt_f32_e32 vcc_lo, 0xc2ce8ed0, v0
	v_rndne_f32_e32 v2, v1
	v_fma_f32 v3, 0x3fb8aa3b, v0, -v1
	s_delay_alu instid0(VALU_DEP_2) | instskip(NEXT) | instid1(VALU_DEP_2)
	v_sub_f32_e32 v1, v1, v2
	v_fmac_f32_e32 v3, 0x32a5705f, v0
	v_cvt_i32_f32_e32 v2, v2
	s_delay_alu instid0(VALU_DEP_2) | instskip(NEXT) | instid1(VALU_DEP_1)
	v_add_f32_e32 v1, v1, v3
	v_exp_f32_e32 v1, v1
	v_nop
	s_delay_alu instid0(TRANS32_DEP_1) | instskip(NEXT) | instid1(VALU_DEP_1)
	v_ldexp_f32 v1, v1, v2
	v_cndmask_b32_e32 v1, 0, v1, vcc_lo
	v_cmp_nlt_f32_e32 vcc_lo, 0x42b17218, v0
	s_delay_alu instid0(VALU_DEP_2) | instskip(NEXT) | instid1(VALU_DEP_1)
	v_cndmask_b32_e32 v0, 0x7f800000, v1, vcc_lo
	v_add_f32_e32 v0, 1.0, v0
	s_delay_alu instid0(VALU_DEP_1) | instskip(SKIP_1) | instid1(TRANS32_DEP_1)
	v_rcp_f32_e32 v0, v0
	v_nop
	v_fma_f32 v56, v0, -2.0, 1.0
.LBB73_39:                              ;   in Loop: Header=BB73_9 Depth=1
	s_and_not1_saveexec_b32 s24, s24
	s_cbranch_execz .LBB73_41
; %bb.40:                               ;   in Loop: Header=BB73_9 Depth=1
	v_mul_f32_e32 v0, v60, v60
	s_delay_alu instid0(VALU_DEP_1) | instskip(NEXT) | instid1(VALU_DEP_1)
	v_fmaak_f32 v1, s3, v0, 0x3ca908c9
	v_fmaak_f32 v1, v0, v1, 0xbd5c1c4e
	s_delay_alu instid0(VALU_DEP_1) | instskip(NEXT) | instid1(VALU_DEP_1)
	v_fmaak_f32 v1, v0, v1, 0x3e088382
	v_fmaak_f32 v1, v0, v1, 0xbeaaaa99
	s_delay_alu instid0(VALU_DEP_1) | instskip(NEXT) | instid1(VALU_DEP_1)
	v_mul_f32_e64 v1, |v60|, v1
	v_fma_f32 v56, v0, v1, |v60|
.LBB73_41:                              ;   in Loop: Header=BB73_9 Depth=1
	s_or_b32 exec_lo, exec_lo, s24
	s_mul_u64 s[24:25], s[4:5], s[10:11]
	s_wait_dscnt 0x0
	s_lshl_b64 s[24:25], s[24:25], 2
	s_barrier_signal -1
	s_add_nc_u64 s[24:25], s[8:9], s[24:25]
	s_barrier_wait -1
	v_lshl_add_u64 v[0:1], v[88:89], 2, s[24:25]
	v_lshl_add_u64 v[2:3], v[96:97], 2, s[24:25]
	;; [unrolled: 1-line block ×5, first 2 shown]
	v_add_nc_u64_e32 v[44:45], v[0:1], v[86:87]
	v_lshl_add_u64 v[0:1], v[104:105], 2, s[24:25]
	v_add_nc_u64_e32 v[62:63], v[2:3], v[86:87]
	v_lshl_add_u64 v[2:3], v[106:107], 2, s[24:25]
	;; [unrolled: 2-line block ×3, first 2 shown]
	v_add_nc_u64_e32 v[66:67], v[0:1], v[86:87]
	v_add_nc_u64_e32 v[72:73], v[6:7], v[86:87]
	;; [unrolled: 1-line block ×3, first 2 shown]
	s_delay_alu instid0(VALU_DEP_4)
	v_add_nc_u64_e32 v[70:71], v[4:5], v[86:87]
	v_add_nc_u64_e32 v[74:75], v[8:9], v[86:87]
	s_clause 0x7
	global_load_b128 v[0:3], v[44:45], off
	global_load_b128 v[4:7], v[62:63], off
	;; [unrolled: 1-line block ×8, first 2 shown]
	s_wait_xcnt 0x7
	v_cvt_f32_f16_e32 v44, v42
	v_cvt_f32_f16_e32 v45, v43
	v_bfi_b32 v42, 0x7fffffff, v53, v57
	v_bfi_b32 v43, 0x7fffffff, v54, v58
	v_cvt_f32_f16_e32 v46, v46
	v_cvt_f32_f16_e32 v47, v47
	v_bfi_b32 v53, 0x7fffffff, v55, v59
	v_bfi_b32 v54, 0x7fffffff, v56, v60
	v_dual_fmac_f32 v44, s36, v42 :: v_dual_fmac_f32 v45, s36, v43
	s_delay_alu instid0(VALU_DEP_3) | instskip(NEXT) | instid1(VALU_DEP_2)
	v_dual_fmac_f32 v46, s36, v53 :: v_dual_add_nc_u32 v155, 0x1800, v124
	v_dual_fmac_f32 v47, s36, v54 :: v_dual_add_f32 v42, 0x40051340, v44
	s_delay_alu instid0(VALU_DEP_3) | instskip(NEXT) | instid1(VALU_DEP_2)
	v_add_f32_e32 v43, 0x40051340, v45
	v_dual_add_f32 v53, 0x40051340, v46 :: v_dual_add_f32 v54, 0x40051340, v47
	s_delay_alu instid0(VALU_DEP_2) | instskip(NEXT) | instid1(VALU_DEP_1)
	v_max3_num_f32 v42, v34, v42, v43
	v_max3_num_f32 v42, v42, v53, v54
	ds_bpermute_b32 v43, v48, v42
	s_wait_dscnt 0x0
	v_max_num_f32_e32 v43, v43, v43
	s_delay_alu instid0(VALU_DEP_1) | instskip(SKIP_3) | instid1(VALU_DEP_1)
	v_max_num_f32_e32 v42, v42, v43
	ds_bpermute_b32 v43, v49, v42
	s_wait_dscnt 0x0
	v_max_num_f32_e32 v43, v43, v43
	v_dual_max_num_f32 v48, v42, v43 :: v_dual_max_num_f32 v43, v52, v52
	ds_bpermute_b32 v49, v50, v48
	v_max_num_f32_e32 v50, v51, v51
	s_delay_alu instid0(VALU_DEP_1) | instskip(SKIP_3) | instid1(VALU_DEP_4)
	v_max_num_f32_e32 v114, v50, v43
	v_add_nc_u32_e32 v42, v139, v123
	v_add_nc_u32_e32 v154, 0x2000, v124
	;; [unrolled: 1-line block ×3, first 2 shown]
	v_dual_sub_f32 v37, v37, v114 :: v_dual_add_nc_u32 v50, 0x1000, v124
	v_dual_sub_f32 v38, v38, v114 :: v_dual_sub_f32 v40, v40, v114
	v_dual_sub_f32 v41, v41, v114 :: v_dual_sub_f32 v35, v35, v114
	s_delay_alu instid0(VALU_DEP_2) | instskip(NEXT) | instid1(VALU_DEP_2)
	v_dual_mul_f32 v51, 0x3fb8aa3b, v37 :: v_dual_mul_f32 v52, 0x3fb8aa3b, v38
	v_mul_f32_e32 v54, 0x3fb8aa3b, v41
	s_delay_alu instid0(VALU_DEP_3) | instskip(NEXT) | instid1(VALU_DEP_3)
	v_cmp_ngt_f32_e32 vcc_lo, 0xc2ce8ed0, v35
	v_fma_f32 v56, 0x3fb8aa3b, v37, -v51
	s_delay_alu instid0(VALU_DEP_4)
	v_fma_f32 v58, 0x3fb8aa3b, v38, -v52
	s_wait_dscnt 0x0
	v_max_num_f32_e32 v49, v49, v49
	v_rndne_f32_e32 v57, v51
	v_fma_f32 v61, 0x3fb8aa3b, v41, -v54
	s_wait_xcnt 0x6
	v_rndne_f32_e32 v62, v54
	v_fmac_f32_e32 v58, 0x32a5705f, v38
	v_dual_mul_f32 v53, 0x3fb8aa3b, v40 :: v_dual_max_num_f32 v48, v48, v49
	v_rndne_f32_e32 v49, v52
	s_delay_alu instid0(VALU_DEP_4) | instskip(NEXT) | instid1(VALU_DEP_3)
	v_dual_mul_f32 v55, 0x3fb8aa3b, v35 :: v_dual_sub_f32 v54, v54, v62
	v_fma_f32 v59, 0x3fb8aa3b, v40, -v53
	ds_bpermute_b32 v39, v39, v48
	v_rndne_f32_e32 v60, v53
	v_fmac_f32_e32 v56, 0x32a5705f, v37
	v_sub_f32_e32 v51, v51, v57
	v_dual_fmac_f32 v59, 0x32a5705f, v40 :: v_dual_sub_f32 v52, v52, v49
	s_delay_alu instid0(VALU_DEP_4) | instskip(SKIP_1) | instid1(VALU_DEP_4)
	v_sub_f32_e32 v53, v53, v60
	v_fma_f32 v63, 0x3fb8aa3b, v35, -v55
	v_add_f32_e32 v51, v51, v56
	s_wait_xcnt 0x5
	v_rndne_f32_e32 v64, v55
	v_cvt_i32_f32_e32 v57, v57
	v_add_f32_e32 v53, v53, v59
	v_dual_fmac_f32 v63, 0x32a5705f, v35 :: v_dual_add_f32 v52, v52, v58
	s_delay_alu instid0(VALU_DEP_4)
	v_sub_f32_e32 v55, v55, v64
	v_cvt_i32_f32_e32 v64, v64
	v_cvt_i32_f32_e32 v49, v49
	;; [unrolled: 1-line block ×3, first 2 shown]
	s_wait_dscnt 0x0
	v_max_num_f32_e32 v39, v39, v39
	s_delay_alu instid0(VALU_DEP_1) | instskip(SKIP_3) | instid1(TRANS32_DEP_3)
	v_max_num_f32_e32 v39, v48, v39
	v_exp_f32_e32 v48, v51
	v_exp_f32_e32 v51, v52
	;; [unrolled: 1-line block ×3, first 2 shown]
	v_ldexp_f32 v48, v48, v57
	v_fmac_f32_e32 v61, 0x32a5705f, v41
	v_add_f32_e32 v55, v55, v63
	s_delay_alu instid0(TRANS32_DEP_2) | instskip(NEXT) | instid1(TRANS32_DEP_1)
	v_ldexp_f32 v49, v51, v49
	v_ldexp_f32 v51, v52, v60
	s_delay_alu instid0(VALU_DEP_4) | instskip(NEXT) | instid1(VALU_DEP_4)
	v_add_f32_e32 v54, v54, v61
	v_exp_f32_e32 v55, v55
	s_delay_alu instid0(VALU_DEP_1) | instskip(SKIP_2) | instid1(TRANS32_DEP_2)
	v_exp_f32_e32 v53, v54
	v_nop
	v_cvt_i32_f32_e32 v54, v62
	v_ldexp_f32 v55, v55, v64
	s_delay_alu instid0(TRANS32_DEP_1) | instid1(VALU_DEP_2)
	v_ldexp_f32 v52, v53, v54
	s_delay_alu instid0(VALU_DEP_2)
	v_cndmask_b32_e32 v53, 0, v55, vcc_lo
	v_cmp_ngt_f32_e32 vcc_lo, 0xc2ce8ed0, v37
	v_cndmask_b32_e32 v48, 0, v48, vcc_lo
	v_cmp_ngt_f32_e32 vcc_lo, 0xc2ce8ed0, v38
	v_cndmask_b32_e32 v49, 0, v49, vcc_lo
	v_cmp_nlt_f32_e32 vcc_lo, 0x42b17218, v35
	v_cndmask_b32_e32 v116, 0x7f800000, v53, vcc_lo
	ds_bpermute_b32 v36, v36, v39
	v_cmp_ngt_f32_e32 vcc_lo, 0xc2ce8ed0, v40
	v_cndmask_b32_e32 v35, 0, v51, vcc_lo
	v_cmp_ngt_f32_e32 vcc_lo, 0xc2ce8ed0, v41
	v_cndmask_b32_e32 v51, 0, v52, vcc_lo
	v_cmp_nlt_f32_e32 vcc_lo, 0x42b17218, v37
	v_cvt_f16_f32_e32 v52, v116
	s_delay_alu instid0(VALU_DEP_1)
	v_and_b32_e32 v37, 0xffff, v52
	s_wait_dscnt 0x0
	v_max_num_f32_e32 v53, v36, v36
	v_cndmask_b32_e32 v36, 0x7f800000, v48, vcc_lo
	v_cmp_nlt_f32_e32 vcc_lo, 0x42b17218, v38
	v_mul_u32_u24_e32 v184, 0x10001, v37
	s_delay_alu instid0(VALU_DEP_4) | instskip(SKIP_2) | instid1(VALU_DEP_4)
	v_max_num_f32_e32 v115, v39, v53
	v_cndmask_b32_e32 v38, 0x7f800000, v49, vcc_lo
	v_cmp_nlt_f32_e32 vcc_lo, 0x42b17218, v40
	v_pk_mul_f16 v186, v33, v184
	s_delay_alu instid0(VALU_DEP_4) | instskip(NEXT) | instid1(VALU_DEP_1)
	v_dual_sub_f32 v39, v45, v115 :: v_dual_sub_f32 v34, v34, v115
	v_dual_mul_f32 v45, 0x3fb8aa3b, v39 :: v_dual_mul_f32 v48, 0x3fb8aa3b, v34
	s_delay_alu instid0(VALU_DEP_1)
	v_rndne_f32_e32 v53, v45
	v_cndmask_b32_e32 v40, 0x7f800000, v35, vcc_lo
	v_cmp_nlt_f32_e32 vcc_lo, 0x42b17218, v41
	v_dual_sub_f32 v35, v44, v115 :: v_dual_sub_f32 v41, v46, v115
	v_sub_f32_e32 v44, v47, v115
	v_fma_f32 v58, 0x3fb8aa3b, v34, -v48
	v_rndne_f32_e32 v59, v48
	s_delay_alu instid0(VALU_DEP_4) | instskip(SKIP_1) | instid1(VALU_DEP_3)
	v_dual_mul_f32 v37, 0x3fb8aa3b, v35 :: v_dual_mul_f32 v46, 0x3fb8aa3b, v41
	v_cndmask_b32_e32 v118, 0x7f800000, v51, vcc_lo
	v_dual_mul_f32 v47, 0x3fb8aa3b, v44 :: v_dual_sub_f32 v48, v48, v59
	s_delay_alu instid0(VALU_DEP_3)
	v_fma_f32 v49, 0x3fb8aa3b, v35, -v37
	v_rndne_f32_e32 v51, v37
	v_fma_f32 v54, 0x3fb8aa3b, v41, -v46
	v_fma_f32 v52, 0x3fb8aa3b, v39, -v45
	v_rndne_f32_e32 v55, v46
	v_fmac_f32_e32 v49, 0x32a5705f, v35
	s_delay_alu instid0(VALU_DEP_4) | instskip(SKIP_3) | instid1(VALU_DEP_4)
	v_dual_sub_f32 v37, v37, v51 :: v_dual_fmac_f32 v54, 0x32a5705f, v41
	v_fmac_f32_e32 v58, 0x32a5705f, v34
	v_rndne_f32_e32 v57, v47
	v_dual_fmac_f32 v52, 0x32a5705f, v39 :: v_dual_sub_f32 v45, v45, v53
	v_dual_add_f32 v37, v37, v49 :: v_dual_sub_f32 v46, v46, v55
	s_delay_alu instid0(VALU_DEP_4) | instskip(SKIP_1) | instid1(VALU_DEP_4)
	v_add_f32_e32 v48, v48, v58
	v_fma_f32 v56, 0x3fb8aa3b, v44, -v47
	v_dual_sub_f32 v47, v47, v57 :: v_dual_add_f32 v45, v45, v52
	s_delay_alu instid0(VALU_DEP_4) | instskip(NEXT) | instid1(VALU_DEP_4)
	v_add_f32_e32 v46, v46, v54
	v_exp_f32_e32 v48, v48
	v_cvt_i32_f32_e32 v59, v59
	v_exp_f32_e32 v37, v37
	v_cvt_i32_f32_e32 v51, v51
	;; [unrolled: 2-line block ×3, first 2 shown]
	v_cmp_ngt_f32_e32 vcc_lo, 0xc2ce8ed0, v34
	v_ldexp_f32 v48, v48, v59
	v_exp_f32_e32 v45, v45
	v_cvt_i32_f32_e32 v53, v53
	v_ldexp_f32 v37, v37, v51
	v_ldexp_f32 v46, v46, v49
	v_cndmask_b32_e32 v48, 0, v48, vcc_lo
	v_cmp_ngt_f32_e32 vcc_lo, 0xc2ce8ed0, v35
	v_fmac_f32_e32 v56, 0x32a5705f, v44
	v_ldexp_f32 v45, v45, v53
	v_cvt_i32_f32_e32 v52, v57
	v_cndmask_b32_e32 v37, 0, v37, vcc_lo
	v_cmp_ngt_f32_e32 vcc_lo, 0xc2ce8ed0, v39
	s_delay_alu instid0(VALU_DEP_4) | instskip(NEXT) | instid1(VALU_DEP_1)
	v_dual_add_f32 v47, v47, v56 :: v_dual_cndmask_b32 v45, 0, v45, vcc_lo
	v_exp_f32_e32 v47, v47
	v_cmp_ngt_f32_e32 vcc_lo, 0xc2ce8ed0, v41
	v_cndmask_b32_e32 v46, 0, v46, vcc_lo
	s_delay_alu instid0(TRANS32_DEP_1) | instskip(SKIP_1) | instid1(VALU_DEP_2)
	v_ldexp_f32 v47, v47, v52
	v_cmp_ngt_f32_e32 vcc_lo, 0xc2ce8ed0, v44
	v_cndmask_b32_e32 v47, 0, v47, vcc_lo
	v_cmp_nlt_f32_e32 vcc_lo, 0x42b17218, v34
	v_cndmask_b32_e32 v117, 0x7f800000, v48, vcc_lo
	v_cmp_nlt_f32_e32 vcc_lo, 0x42b17218, v35
	s_delay_alu instid0(VALU_DEP_2)
	v_cvt_f16_f32_e32 v34, v117
	v_cndmask_b32_e32 v37, 0x7f800000, v37, vcc_lo
	v_cmp_nlt_f32_e32 vcc_lo, 0x42b17218, v39
	v_cndmask_b32_e32 v39, 0x7f800000, v45, vcc_lo
	v_cmp_nlt_f32_e32 vcc_lo, 0x42b17218, v41
	v_and_b32_e32 v45, 0xffff, v34
	s_delay_alu instid0(VALU_DEP_3)
	v_pk_add_f32 v[34:35], v[36:37], v[38:39]
	v_cndmask_b32_e32 v41, 0x7f800000, v46, vcc_lo
	v_cmp_nlt_f32_e32 vcc_lo, 0x42b17218, v44
	v_cvt_pk_f16_f32 v44, v36, v37
	v_cvt_pk_f16_f32 v46, v38, v39
	v_mul_u32_u24_e32 v185, 0x10001, v45
	v_pk_add_f32 v[120:121], v[40:41], v[34:35]
	v_cndmask_b32_e32 v119, 0x7f800000, v47, vcc_lo
	v_cvt_pk_f16_f32 v47, v40, v41
	s_delay_alu instid0(VALU_DEP_4) | instskip(NEXT) | instid1(VALU_DEP_3)
	v_pk_mul_f16 v187, v32, v185
	v_cvt_pk_f16_f32 v48, v118, v119
	ds_store_2addr_b32 v42, v44, v46 offset1:32
	ds_store_2addr_b32 v42, v47, v48 offset0:64 offset1:96
	s_wait_loadcnt 0x7
	ds_store_b128 v137, v[0:3]
	s_wait_loadcnt 0x6
	ds_store_b128 v140, v[4:7]
	;; [unrolled: 2-line block ×8, first 2 shown]
	s_wait_dscnt 0x0
	s_barrier_signal -1
	s_barrier_wait -1
	ds_load_2addr_b64 v[52:55], v124 offset1:32
	ds_load_2addr_b64 v[36:39], v124 offset0:64 offset1:96
	ds_load_2addr_b64 v[32:35], v124 offset0:128 offset1:160
	ds_load_b128 v[156:159], v139
	ds_load_b128 v[72:75], v139 offset:16
	ds_load_2addr_b64 v[28:31], v124 offset0:192 offset1:224
	ds_load_2addr_b64 v[24:27], v43 offset1:32
	ds_load_2addr_b64 v[20:23], v43 offset0:64 offset1:96
	ds_load_2addr_b64 v[16:19], v43 offset0:128 offset1:160
	ds_load_b128 v[68:71], v139 offset:32
	ds_load_b128 v[64:67], v139 offset:48
	ds_load_2addr_b64 v[12:15], v43 offset0:192 offset1:224
	ds_load_2addr_b64 v[4:7], v50 offset1:32
	ds_load_2addr_b64 v[8:11], v50 offset0:64 offset1:96
	ds_load_2addr_b64 v[0:3], v50 offset0:128 offset1:160
	ds_load_b128 v[160:163], v139 offset:64
	ds_load_b128 v[164:167], v139 offset:80
	ds_load_2addr_b64 v[44:47], v50 offset0:192 offset1:224
	ds_load_2addr_b64 v[40:43], v155 offset1:32
	ds_load_2addr_b64 v[48:51], v155 offset0:64 offset1:96
	ds_load_b128 v[168:171], v139 offset:96
	ds_load_b128 v[172:175], v139 offset:112
	ds_load_2addr_b64 v[56:59], v155 offset0:128 offset1:160
	ds_load_b128 v[60:63], v139 offset:128
	ds_load_2addr_b64 v[176:179], v155 offset0:192 offset1:224
	ds_load_2addr_b64 v[180:183], v154 offset1:32
	s_wait_dscnt 0x16
	v_and_b32_e32 v155, 0xffff, v156
	v_dual_lshrrev_b32 v156, 16, v156 :: v_dual_lshrrev_b32 v188, 16, v157
	v_and_b32_e32 v157, 0xffff, v157
	s_wait_dscnt 0x15
	v_and_b32_e32 v192, 0xffff, v73
	v_mul_u32_u24_e32 v155, 0x10001, v155
	v_mul_u32_u24_e32 v156, 0x10001, v156
	s_wait_dscnt 0x10
	v_dual_lshrrev_b32 v73, 16, v73 :: v_dual_lshrrev_b32 v195, 16, v68
	v_and_b32_e32 v196, 0xffff, v68
	v_pk_mul_f16 v68, v52, v155
	v_pk_mul_f16 v52, v52, v156
	v_dual_lshrrev_b32 v189, 16, v158 :: v_dual_lshrrev_b32 v191, 16, v72
	v_and_b32_e32 v158, 0xffff, v158
	s_delay_alu instid0(VALU_DEP_4) | instskip(NEXT) | instid1(VALU_DEP_4)
	v_pk_fma_f16 v148, v148, v184, v68
	v_pk_fma_f16 v52, v147, v185, v52
	v_mul_u32_u24_e32 v147, 0x10001, v157
	v_pk_fma_f16 v155, v53, v155, v186
	v_mul_u32_u24_e32 v184, 0x10001, v188
	v_pk_fma_f16 v53, v53, v156, v187
	v_lshrrev_b32_e32 v190, 16, v159
	v_and_b32_e32 v159, 0xffff, v159
	v_pk_fma_f16 v155, v55, v147, v155
	v_pk_fma_f16 v147, v54, v147, v148
	;; [unrolled: 1-line block ×3, first 2 shown]
	v_mul_u32_u24_e32 v55, 0x10001, v158
	v_and_b32_e32 v72, 0xffff, v72
	s_wait_dscnt 0x2
	v_dual_lshrrev_b32 v157, 16, v60 :: v_dual_lshrrev_b32 v148, 16, v61
	v_pk_fma_f16 v52, v54, v184, v52
	v_and_b32_e32 v54, 0xffff, v61
	v_mul_u32_u24_e32 v61, 0x10001, v189
	v_mul_u32_u24_e32 v156, 0x10001, v159
	v_pk_fma_f16 v147, v36, v55, v147
	v_mul_u32_u24_e32 v158, 0x10001, v190
	v_mul_u32_u24_e32 v72, 0x10001, v72
	v_pk_fma_f16 v55, v37, v55, v155
	v_pk_fma_f16 v36, v36, v61, v52
	;; [unrolled: 1-line block ×4, first 2 shown]
	v_and_b32_e32 v193, 0xffff, v74
	v_mul_u32_u24_e32 v159, 0x10001, v191
	v_mul_u32_u24_e32 v184, 0x10001, v192
	v_pk_fma_f16 v55, v39, v156, v55
	v_pk_fma_f16 v36, v38, v158, v36
	;; [unrolled: 1-line block ×4, first 2 shown]
	v_dual_lshrrev_b32 v74, 16, v74 :: v_dual_lshrrev_b32 v194, 16, v75
	v_and_b32_e32 v75, 0xffff, v75
	v_mul_u32_u24_e32 v73, 0x10001, v73
	v_mul_u32_u24_e32 v185, 0x10001, v193
	v_pk_fma_f16 v52, v33, v72, v55
	v_pk_fma_f16 v32, v32, v159, v36
	;; [unrolled: 1-line block ×4, first 2 shown]
	v_mul_u32_u24_e32 v74, 0x10001, v74
	v_mul_u32_u24_e32 v75, 0x10001, v75
	v_pk_fma_f16 v38, v35, v184, v52
	v_pk_fma_f16 v32, v34, v73, v32
	v_pk_fma_f16 v33, v35, v73, v33
	v_pk_fma_f16 v34, v28, v185, v36
	v_and_b32_e32 v198, 0xffff, v69
	v_mul_u32_u24_e32 v186, 0x10001, v194
	v_mul_u32_u24_e32 v187, 0x10001, v196
	v_pk_fma_f16 v36, v29, v185, v38
	v_pk_fma_f16 v28, v28, v74, v32
	v_pk_fma_f16 v29, v29, v74, v33
	v_pk_fma_f16 v32, v30, v75, v34
	v_dual_lshrrev_b32 v197, 16, v69 :: v_dual_lshrrev_b32 v199, 16, v70
	v_and_b32_e32 v200, 0xffff, v70
	v_mul_u32_u24_e32 v188, 0x10001, v195
	v_mul_u32_u24_e32 v189, 0x10001, v198
	v_pk_fma_f16 v34, v31, v75, v36
	v_pk_fma_f16 v28, v30, v186, v28
	v_pk_fma_f16 v29, v31, v186, v29
	v_pk_fma_f16 v30, v24, v187, v32
	v_and_b32_e32 v202, 0xffff, v71
	v_mul_u32_u24_e32 v190, 0x10001, v197
	v_mul_u32_u24_e32 v191, 0x10001, v200
	v_pk_fma_f16 v32, v25, v187, v34
	v_pk_fma_f16 v24, v24, v188, v28
	v_pk_fma_f16 v25, v25, v188, v29
	v_pk_fma_f16 v28, v26, v189, v30
	v_dual_lshrrev_b32 v201, 16, v71 :: v_dual_lshrrev_b32 v203, 16, v64
	v_and_b32_e32 v204, 0xffff, v64
	;; [unrolled: 15-line block ×4, first 2 shown]
	v_mul_u32_u24_e32 v200, 0x10001, v207
	v_mul_u32_u24_e32 v201, 0x10001, v210
	v_pk_fma_f16 v22, v19, v197, v24
	v_pk_fma_f16 v16, v18, v198, v16
	;; [unrolled: 1-line block ×4, first 2 shown]
	v_lshrrev_b32_e32 v212, 16, v161
	v_and_b32_e32 v161, 0xffff, v161
	v_mul_u32_u24_e32 v202, 0x10001, v209
	v_mul_u32_u24_e32 v160, 0x10001, v160
	v_pk_fma_f16 v20, v13, v199, v22
	v_pk_fma_f16 v12, v12, v200, v16
	v_pk_fma_f16 v13, v13, v200, v17
	v_pk_fma_f16 v16, v14, v201, v18
	v_dual_lshrrev_b32 v213, 16, v162 :: v_dual_lshrrev_b32 v214, 16, v163
	v_and_b32_e32 v162, 0xffff, v162
	v_mul_u32_u24_e32 v203, 0x10001, v211
	v_mul_u32_u24_e32 v161, 0x10001, v161
	v_pk_fma_f16 v18, v15, v201, v20
	v_pk_fma_f16 v12, v14, v202, v12
	v_pk_fma_f16 v13, v15, v202, v13
	v_pk_fma_f16 v14, v4, v160, v16
	v_and_b32_e32 v163, 0xffff, v163
	v_mul_u32_u24_e32 v204, 0x10001, v212
	v_mul_u32_u24_e32 v162, 0x10001, v162
	v_pk_fma_f16 v16, v5, v160, v18
	v_pk_fma_f16 v4, v4, v203, v12
	v_pk_fma_f16 v5, v5, v203, v13
	v_pk_fma_f16 v12, v6, v161, v14
	v_dual_lshrrev_b32 v215, 16, v164 :: v_dual_lshrrev_b32 v216, 16, v165
	v_and_b32_e32 v164, 0xffff, v164
	v_mul_u32_u24_e32 v205, 0x10001, v213
	v_mul_u32_u24_e32 v53, 0x10001, v163
	v_pk_fma_f16 v14, v7, v161, v16
	v_pk_fma_f16 v4, v6, v204, v4
	v_pk_fma_f16 v5, v7, v204, v5
	v_pk_fma_f16 v6, v8, v162, v12
	;; [unrolled: 15-line block ×7, first 2 shown]
	v_and_b32_e32 v175, 0xffff, v175
	v_mul_u32_u24_e32 v9, 0x10001, v224
	v_mul_u32_u24_e32 v11, 0x10001, v174
	v_pk_fma_f16 v4, v57, v5, v4
	v_pk_fma_f16 v0, v56, v3, v0
	v_pk_fma_f16 v1, v57, v3, v1
	v_pk_fma_f16 v2, v58, v6, v2
	v_and_b32_e32 v60, 0xffff, v60
	v_mul_u32_u24_e32 v12, 0x10001, v225
	v_mul_u32_u24_e32 v7, 0x10001, v175
	v_pk_fma_f16 v4, v59, v6, v4
	v_pk_fma_f16 v0, v58, v9, v0
	;; [unrolled: 1-line block ×3, first 2 shown]
	s_wait_dscnt 0x1
	v_pk_fma_f16 v2, v176, v11, v2
	v_mul_u32_u24_e32 v8, 0x10001, v226
	v_mul_u32_u24_e32 v3, 0x10001, v60
	v_pk_fma_f16 v4, v177, v11, v4
	v_pk_fma_f16 v0, v176, v12, v0
	;; [unrolled: 1-line block ×4, first 2 shown]
	ds_load_2addr_b64 v[64:67], v154 offset0:64 offset1:96
	ds_load_b128 v[68:71], v139 offset:144
	v_mul_u32_u24_e32 v5, 0x10001, v157
	v_mul_u32_u24_e32 v6, 0x10001, v54
	v_pk_fma_f16 v4, v179, v7, v4
	v_pk_fma_f16 v0, v178, v8, v0
	;; [unrolled: 1-line block ×3, first 2 shown]
	s_wait_dscnt 0x2
	v_pk_fma_f16 v2, v180, v3, v2
	v_mul_u32_u24_e32 v7, 0x10001, v148
	v_pk_fma_f16 v3, v181, v3, v4
	v_pk_fma_f16 v0, v180, v5, v0
	v_pk_fma_f16 v1, v181, v5, v1
	v_pk_fma_f16 v4, v182, v6, v2
	v_and_b32_e32 v2, 0xffff, v62
	v_dual_lshrrev_b32 v5, 16, v62 :: v_dual_lshrrev_b32 v11, 16, v63
	v_pk_fma_f16 v8, v182, v7, v0
	v_pk_fma_f16 v6, v183, v6, v3
	v_pk_fma_f16 v7, v183, v7, v1
	v_mul_u32_u24_e32 v9, 0x10001, v2
	ds_load_2addr_b64 v[0:3], v154 offset0:128 offset1:160
	v_mul_u32_u24_e32 v5, 0x10001, v5
	v_and_b32_e32 v10, 0xffff, v63
	s_wait_dscnt 0x1
	v_and_b32_e32 v18, 0xffff, v70
	v_pk_fma_f16 v4, v64, v9, v4
	v_pk_fma_f16 v6, v65, v9, v6
	;; [unrolled: 1-line block ×3, first 2 shown]
	v_mul_u32_u24_e32 v9, 0x10001, v10
	v_mul_u32_u24_e32 v10, 0x10001, v11
	v_pk_fma_f16 v11, v65, v5, v7
	v_and_b32_e32 v5, 0xffff, v68
	v_lshrrev_b32_e32 v7, 16, v68
	v_pk_fma_f16 v12, v66, v9, v4
	v_pk_fma_f16 v8, v66, v10, v8
	;; [unrolled: 1-line block ×3, first 2 shown]
	v_mul_u32_u24_e32 v13, 0x10001, v5
	v_pk_fma_f16 v15, v67, v10, v11
	v_and_b32_e32 v10, 0xffff, v69
	v_lshrrev_b32_e32 v11, 16, v69
	v_mul_u32_u24_e32 v14, 0x10001, v7
	ds_load_2addr_b64 v[4:7], v154 offset0:192 offset1:224
	s_wait_dscnt 0x1
	v_pk_fma_f16 v12, v0, v13, v12
	v_pk_fma_f16 v13, v1, v13, v9
	v_mul_u32_u24_e32 v16, 0x10001, v10
	v_pk_fma_f16 v0, v0, v14, v8
	v_mul_u32_u24_e32 v17, 0x10001, v11
	ds_load_b128 v[8:11], v139 offset:160
	v_pk_fma_f16 v1, v1, v14, v15
	v_add_nc_u32_e32 v20, 0x2800, v124
	v_pk_fma_f16 v12, v2, v16, v12
	v_pk_fma_f16 v14, v2, v17, v0
	v_dual_lshrrev_b32 v0, 16, v70 :: v_dual_lshrrev_b32 v19, 16, v71
	v_mul_u32_u24_e32 v15, 0x10001, v18
	v_pk_fma_f16 v13, v3, v16, v13
	v_pk_fma_f16 v16, v3, v17, v1
	s_delay_alu instid0(VALU_DEP_4)
	v_mul_u32_u24_e32 v17, 0x10001, v0
	ds_load_2addr_b64 v[0:3], v20 offset1:32
	v_mul_u32_u24_e32 v22, 0x10001, v19
	s_wait_dscnt 0x2
	v_pk_fma_f16 v18, v4, v15, v12
	v_and_b32_e32 v12, 0xffff, v71
	v_pk_fma_f16 v4, v4, v17, v14
	v_pk_fma_f16 v21, v5, v15, v13
	;; [unrolled: 1-line block ×3, first 2 shown]
	s_delay_alu instid0(VALU_DEP_4)
	v_mul_u32_u24_e32 v16, 0x10001, v12
	ds_load_b128 v[12:15], v139 offset:176
	s_wait_dscnt 0x2
	v_and_b32_e32 v17, 0xffff, v8
	v_lshrrev_b32_e32 v8, 16, v8
	v_pk_fma_f16 v4, v6, v22, v4
	v_pk_fma_f16 v23, v6, v16, v18
	;; [unrolled: 1-line block ×3, first 2 shown]
	v_mul_u32_u24_e32 v21, 0x10001, v17
	v_and_b32_e32 v24, 0xffff, v9
	ds_load_2addr_b64 v[16:19], v20 offset0:64 offset1:96
	v_pk_fma_f16 v5, v7, v22, v5
	v_lshrrev_b32_e32 v7, 16, v9
	v_mul_u32_u24_e32 v8, 0x10001, v8
	s_wait_dscnt 0x2
	v_pk_fma_f16 v9, v0, v21, v23
	v_mul_u32_u24_e32 v22, 0x10001, v24
	s_delay_alu instid0(VALU_DEP_3)
	v_pk_fma_f16 v0, v0, v8, v4
	v_pk_fma_f16 v4, v1, v21, v6
	v_mul_u32_u24_e32 v6, 0x10001, v7
	v_pk_fma_f16 v1, v1, v8, v5
	v_pk_fma_f16 v5, v2, v22, v9
	v_and_b32_e32 v7, 0xffff, v10
	v_lshrrev_b32_e32 v8, 16, v10
	v_pk_fma_f16 v9, v2, v6, v0
	v_pk_fma_f16 v4, v3, v22, v4
	;; [unrolled: 1-line block ×3, first 2 shown]
	ds_load_2addr_b64 v[0:3], v20 offset0:128 offset1:160
	v_mul_u32_u24_e32 v7, 0x10001, v7
	v_and_b32_e32 v10, 0xffff, v11
	v_lshrrev_b32_e32 v11, 16, v11
	v_mul_u32_u24_e32 v8, 0x10001, v8
	s_wait_dscnt 0x1
	v_pk_fma_f16 v5, v16, v7, v5
	v_pk_fma_f16 v4, v17, v7, v4
	v_mul_u32_u24_e32 v7, 0x10001, v10
	v_pk_fma_f16 v9, v16, v8, v9
	v_mul_u32_u24_e32 v10, 0x10001, v11
	v_pk_fma_f16 v8, v17, v8, v6
	v_and_b32_e32 v6, 0xffff, v12
	v_lshrrev_b32_e32 v11, 16, v12
	v_pk_fma_f16 v12, v18, v7, v5
	v_pk_fma_f16 v9, v18, v10, v9
	;; [unrolled: 1-line block ×3, first 2 shown]
	v_mul_u32_u24_e32 v17, 0x10001, v6
	ds_load_2addr_b64 v[4:7], v20 offset0:192 offset1:224
	v_pk_fma_f16 v19, v19, v10, v8
	v_and_b32_e32 v8, 0xffff, v13
	v_lshrrev_b32_e32 v10, 16, v13
	v_mul_u32_u24_e32 v18, 0x10001, v11
	s_wait_dscnt 0x1
	v_pk_fma_f16 v12, v0, v17, v12
	v_pk_fma_f16 v13, v1, v17, v16
	v_mul_u32_u24_e32 v16, 0x10001, v8
	v_mul_u32_u24_e32 v17, 0x10001, v10
	v_pk_fma_f16 v0, v0, v18, v9
	ds_load_b128 v[8:11], v139 offset:192
	v_and_b32_e32 v20, 0xffff, v14
	v_pk_fma_f16 v1, v1, v18, v19
	v_pk_fma_f16 v12, v2, v16, v12
	;; [unrolled: 1-line block ×3, first 2 shown]
	v_lshrrev_b32_e32 v0, 16, v14
	v_mul_u32_u24_e32 v14, 0x10001, v20
	v_add_nc_u32_e32 v20, 0x3000, v124
	v_pk_fma_f16 v13, v3, v16, v13
	v_pk_fma_f16 v16, v3, v17, v1
	s_wait_dscnt 0x1
	v_pk_fma_f16 v19, v4, v14, v12
	v_and_b32_e32 v12, 0xffff, v15
	v_lshrrev_b32_e32 v15, 16, v15
	v_mul_u32_u24_e32 v17, 0x10001, v0
	ds_load_2addr_b64 v[0:3], v20 offset1:32
	v_mul_u32_u24_e32 v21, 0x10001, v15
	v_pk_fma_f16 v4, v4, v17, v18
	v_pk_fma_f16 v18, v5, v14, v13
	;; [unrolled: 1-line block ×3, first 2 shown]
	v_mul_u32_u24_e32 v16, 0x10001, v12
	ds_load_b128 v[12:15], v139 offset:208
	s_wait_dscnt 0x2
	v_and_b32_e32 v17, 0xffff, v8
	v_lshrrev_b32_e32 v8, 16, v8
	v_pk_fma_f16 v4, v6, v21, v4
	v_pk_fma_f16 v22, v6, v16, v19
	;; [unrolled: 1-line block ×3, first 2 shown]
	v_mul_u32_u24_e32 v23, 0x10001, v17
	ds_load_2addr_b64 v[16:19], v20 offset0:64 offset1:96
	v_and_b32_e32 v24, 0xffff, v9
	v_pk_fma_f16 v5, v7, v21, v5
	v_lshrrev_b32_e32 v7, 16, v9
	v_mul_u32_u24_e32 v8, 0x10001, v8
	s_wait_dscnt 0x2
	v_pk_fma_f16 v9, v0, v23, v22
	v_mul_u32_u24_e32 v21, 0x10001, v24
	s_delay_alu instid0(VALU_DEP_3)
	v_pk_fma_f16 v0, v0, v8, v4
	v_pk_fma_f16 v4, v1, v23, v6
	v_mul_u32_u24_e32 v6, 0x10001, v7
	v_pk_fma_f16 v1, v1, v8, v5
	v_and_b32_e32 v7, 0xffff, v10
	v_lshrrev_b32_e32 v8, 16, v10
	v_pk_fma_f16 v5, v2, v21, v9
	v_pk_fma_f16 v9, v2, v6, v0
	;; [unrolled: 1-line block ×4, first 2 shown]
	v_mul_u32_u24_e32 v7, 0x10001, v7
	ds_load_2addr_b64 v[0:3], v20 offset0:128 offset1:160
	v_and_b32_e32 v10, 0xffff, v11
	v_lshrrev_b32_e32 v11, 16, v11
	v_mul_u32_u24_e32 v8, 0x10001, v8
	s_wait_dscnt 0x1
	v_pk_fma_f16 v5, v16, v7, v5
	v_pk_fma_f16 v4, v17, v7, v4
	v_mul_u32_u24_e32 v7, 0x10001, v10
	v_mul_u32_u24_e32 v10, 0x10001, v11
	v_pk_fma_f16 v9, v16, v8, v9
	v_pk_fma_f16 v8, v17, v8, v6
	v_and_b32_e32 v6, 0xffff, v12
	v_lshrrev_b32_e32 v11, 16, v12
	v_pk_fma_f16 v12, v18, v7, v5
	v_pk_fma_f16 v16, v19, v7, v4
	;; [unrolled: 1-line block ×3, first 2 shown]
	v_mul_u32_u24_e32 v17, 0x10001, v6
	ds_load_2addr_b64 v[4:7], v20 offset0:192 offset1:224
	v_pk_fma_f16 v19, v19, v10, v8
	v_and_b32_e32 v8, 0xffff, v13
	v_lshrrev_b32_e32 v10, 16, v13
	v_mul_u32_u24_e32 v18, 0x10001, v11
	s_wait_dscnt 0x1
	v_pk_fma_f16 v12, v0, v17, v12
	v_pk_fma_f16 v13, v1, v17, v16
	v_mul_u32_u24_e32 v16, 0x10001, v8
	v_mul_u32_u24_e32 v17, 0x10001, v10
	v_pk_fma_f16 v0, v0, v18, v9
	v_and_b32_e32 v20, 0xffff, v14
	ds_load_b128 v[8:11], v139 offset:224
	v_pk_fma_f16 v1, v1, v18, v19
	v_pk_fma_f16 v12, v2, v16, v12
	;; [unrolled: 1-line block ×3, first 2 shown]
	v_lshrrev_b32_e32 v0, 16, v14
	v_mul_u32_u24_e32 v14, 0x10001, v20
	v_add_nc_u32_e32 v20, 0x3800, v124
	v_pk_fma_f16 v13, v3, v16, v13
	v_pk_fma_f16 v16, v3, v17, v1
	s_wait_dscnt 0x1
	v_pk_fma_f16 v19, v4, v14, v12
	v_and_b32_e32 v12, 0xffff, v15
	v_lshrrev_b32_e32 v15, 16, v15
	v_mul_u32_u24_e32 v17, 0x10001, v0
	ds_load_2addr_b64 v[0:3], v20 offset1:32
	v_mul_u32_u24_e32 v21, 0x10001, v15
	v_pk_fma_f16 v4, v4, v17, v18
	v_pk_fma_f16 v18, v5, v14, v13
	;; [unrolled: 1-line block ×3, first 2 shown]
	v_mul_u32_u24_e32 v16, 0x10001, v12
	ds_load_b128 v[12:15], v139 offset:240
	s_wait_dscnt 0x2
	v_and_b32_e32 v17, 0xffff, v8
	v_lshrrev_b32_e32 v8, 16, v8
	v_pk_fma_f16 v4, v6, v21, v4
	v_pk_fma_f16 v22, v6, v16, v19
	;; [unrolled: 1-line block ×3, first 2 shown]
	v_mul_u32_u24_e32 v23, 0x10001, v17
	v_and_b32_e32 v24, 0xffff, v9
	ds_load_2addr_b64 v[16:19], v20 offset0:64 offset1:96
	v_pk_fma_f16 v5, v7, v21, v5
	v_lshrrev_b32_e32 v7, 16, v9
	v_mul_u32_u24_e32 v8, 0x10001, v8
	s_wait_dscnt 0x2
	v_pk_fma_f16 v9, v0, v23, v22
	v_mul_u32_u24_e32 v21, 0x10001, v24
	s_delay_alu instid0(VALU_DEP_3)
	v_pk_fma_f16 v0, v0, v8, v4
	v_pk_fma_f16 v4, v1, v23, v6
	v_mul_u32_u24_e32 v6, 0x10001, v7
	v_pk_fma_f16 v1, v1, v8, v5
	v_pk_fma_f16 v5, v2, v21, v9
	v_and_b32_e32 v7, 0xffff, v10
	v_lshrrev_b32_e32 v8, 16, v10
	v_pk_fma_f16 v9, v2, v6, v0
	v_pk_fma_f16 v4, v3, v21, v4
	;; [unrolled: 1-line block ×3, first 2 shown]
	ds_load_2addr_b64 v[0:3], v20 offset0:128 offset1:160
	v_mul_u32_u24_e32 v7, 0x10001, v7
	v_and_b32_e32 v10, 0xffff, v11
	v_lshrrev_b32_e32 v11, 16, v11
	v_mul_u32_u24_e32 v8, 0x10001, v8
	s_wait_dscnt 0x1
	v_pk_fma_f16 v5, v16, v7, v5
	v_pk_fma_f16 v4, v17, v7, v4
	v_mul_u32_u24_e32 v7, 0x10001, v10
	v_pk_fma_f16 v9, v16, v8, v9
	v_mul_u32_u24_e32 v10, 0x10001, v11
	v_pk_fma_f16 v8, v17, v8, v6
	v_and_b32_e32 v6, 0xffff, v12
	v_lshrrev_b32_e32 v11, 16, v12
	v_pk_fma_f16 v12, v18, v7, v5
	v_pk_fma_f16 v9, v18, v10, v9
	;; [unrolled: 1-line block ×3, first 2 shown]
	v_mul_u32_u24_e32 v17, 0x10001, v6
	ds_load_2addr_b64 v[4:7], v20 offset0:192 offset1:224
	v_pk_fma_f16 v19, v19, v10, v8
	v_and_b32_e32 v8, 0xffff, v13
	v_lshrrev_b32_e32 v10, 16, v13
	v_mul_u32_u24_e32 v18, 0x10001, v11
	s_wait_dscnt 0x1
	v_pk_fma_f16 v12, v0, v17, v12
	v_pk_fma_f16 v13, v1, v17, v16
	v_mul_u32_u24_e32 v16, 0x10001, v8
	v_mul_u32_u24_e32 v17, 0x10001, v10
	v_pk_fma_f16 v0, v0, v18, v9
	ds_load_b128 v[8:11], v139 offset:256
	v_and_b32_e32 v20, 0xffff, v14
	v_pk_fma_f16 v1, v1, v18, v19
	v_pk_fma_f16 v12, v2, v16, v12
	;; [unrolled: 1-line block ×3, first 2 shown]
	v_lshrrev_b32_e32 v0, 16, v14
	v_mul_u32_u24_e32 v14, 0x10001, v20
	v_add_nc_u32_e32 v20, 0x4000, v124
	v_pk_fma_f16 v13, v3, v16, v13
	v_pk_fma_f16 v16, v3, v17, v1
	s_wait_dscnt 0x1
	v_pk_fma_f16 v19, v4, v14, v12
	v_and_b32_e32 v12, 0xffff, v15
	v_lshrrev_b32_e32 v15, 16, v15
	v_mul_u32_u24_e32 v17, 0x10001, v0
	ds_load_2addr_b64 v[0:3], v20 offset1:32
	v_mul_u32_u24_e32 v21, 0x10001, v15
	v_pk_fma_f16 v4, v4, v17, v18
	v_pk_fma_f16 v18, v5, v14, v13
	;; [unrolled: 1-line block ×3, first 2 shown]
	v_mul_u32_u24_e32 v16, 0x10001, v12
	ds_load_b128 v[12:15], v139 offset:272
	s_wait_dscnt 0x2
	v_and_b32_e32 v17, 0xffff, v8
	v_lshrrev_b32_e32 v8, 16, v8
	v_pk_fma_f16 v4, v6, v21, v4
	v_pk_fma_f16 v22, v6, v16, v19
	;; [unrolled: 1-line block ×3, first 2 shown]
	v_mul_u32_u24_e32 v23, 0x10001, v17
	ds_load_2addr_b64 v[16:19], v20 offset0:64 offset1:96
	v_and_b32_e32 v24, 0xffff, v9
	v_pk_fma_f16 v5, v7, v21, v5
	v_lshrrev_b32_e32 v7, 16, v9
	v_mul_u32_u24_e32 v8, 0x10001, v8
	s_wait_dscnt 0x2
	v_pk_fma_f16 v9, v0, v23, v22
	v_mul_u32_u24_e32 v21, 0x10001, v24
	s_delay_alu instid0(VALU_DEP_3)
	v_pk_fma_f16 v0, v0, v8, v4
	v_pk_fma_f16 v4, v1, v23, v6
	v_mul_u32_u24_e32 v6, 0x10001, v7
	v_pk_fma_f16 v1, v1, v8, v5
	v_and_b32_e32 v7, 0xffff, v10
	v_lshrrev_b32_e32 v8, 16, v10
	v_pk_fma_f16 v5, v2, v21, v9
	v_pk_fma_f16 v9, v2, v6, v0
	;; [unrolled: 1-line block ×4, first 2 shown]
	v_mul_u32_u24_e32 v7, 0x10001, v7
	ds_load_2addr_b64 v[0:3], v20 offset0:128 offset1:160
	v_and_b32_e32 v10, 0xffff, v11
	v_lshrrev_b32_e32 v11, 16, v11
	v_mul_u32_u24_e32 v8, 0x10001, v8
	s_wait_dscnt 0x1
	v_pk_fma_f16 v5, v16, v7, v5
	v_pk_fma_f16 v4, v17, v7, v4
	v_mul_u32_u24_e32 v7, 0x10001, v10
	v_mul_u32_u24_e32 v10, 0x10001, v11
	v_pk_fma_f16 v9, v16, v8, v9
	v_pk_fma_f16 v8, v17, v8, v6
	v_and_b32_e32 v6, 0xffff, v12
	v_lshrrev_b32_e32 v11, 16, v12
	v_pk_fma_f16 v12, v18, v7, v5
	v_pk_fma_f16 v16, v19, v7, v4
	;; [unrolled: 1-line block ×3, first 2 shown]
	v_mul_u32_u24_e32 v17, 0x10001, v6
	ds_load_2addr_b64 v[4:7], v20 offset0:192 offset1:224
	v_pk_fma_f16 v19, v19, v10, v8
	v_and_b32_e32 v8, 0xffff, v13
	v_lshrrev_b32_e32 v10, 16, v13
	v_mul_u32_u24_e32 v18, 0x10001, v11
	s_wait_dscnt 0x1
	v_pk_fma_f16 v12, v0, v17, v12
	v_pk_fma_f16 v13, v1, v17, v16
	v_mul_u32_u24_e32 v16, 0x10001, v8
	v_mul_u32_u24_e32 v17, 0x10001, v10
	v_pk_fma_f16 v0, v0, v18, v9
	v_and_b32_e32 v20, 0xffff, v14
	ds_load_b128 v[8:11], v139 offset:288
	v_pk_fma_f16 v1, v1, v18, v19
	v_pk_fma_f16 v12, v2, v16, v12
	;; [unrolled: 1-line block ×3, first 2 shown]
	v_lshrrev_b32_e32 v0, 16, v14
	v_mul_u32_u24_e32 v14, 0x10001, v20
	v_add_nc_u32_e32 v20, 0x4800, v124
	v_pk_fma_f16 v13, v3, v16, v13
	v_pk_fma_f16 v16, v3, v17, v1
	s_wait_dscnt 0x1
	v_pk_fma_f16 v19, v4, v14, v12
	v_and_b32_e32 v12, 0xffff, v15
	v_lshrrev_b32_e32 v15, 16, v15
	v_mul_u32_u24_e32 v17, 0x10001, v0
	ds_load_2addr_b64 v[0:3], v20 offset1:32
	v_mul_u32_u24_e32 v21, 0x10001, v15
	v_pk_fma_f16 v4, v4, v17, v18
	v_pk_fma_f16 v18, v5, v14, v13
	;; [unrolled: 1-line block ×3, first 2 shown]
	v_mul_u32_u24_e32 v16, 0x10001, v12
	ds_load_b128 v[12:15], v139 offset:304
	s_wait_dscnt 0x2
	v_and_b32_e32 v17, 0xffff, v8
	v_lshrrev_b32_e32 v8, 16, v8
	v_pk_fma_f16 v4, v6, v21, v4
	v_pk_fma_f16 v22, v6, v16, v19
	;; [unrolled: 1-line block ×3, first 2 shown]
	v_mul_u32_u24_e32 v23, 0x10001, v17
	v_and_b32_e32 v24, 0xffff, v9
	ds_load_2addr_b64 v[16:19], v20 offset0:64 offset1:96
	v_pk_fma_f16 v5, v7, v21, v5
	v_lshrrev_b32_e32 v7, 16, v9
	v_mul_u32_u24_e32 v8, 0x10001, v8
	s_wait_dscnt 0x2
	v_pk_fma_f16 v9, v0, v23, v22
	v_mul_u32_u24_e32 v21, 0x10001, v24
	s_delay_alu instid0(VALU_DEP_3)
	v_pk_fma_f16 v0, v0, v8, v4
	v_pk_fma_f16 v4, v1, v23, v6
	v_mul_u32_u24_e32 v6, 0x10001, v7
	v_pk_fma_f16 v1, v1, v8, v5
	v_pk_fma_f16 v5, v2, v21, v9
	v_and_b32_e32 v7, 0xffff, v10
	v_lshrrev_b32_e32 v8, 16, v10
	v_pk_fma_f16 v9, v2, v6, v0
	v_pk_fma_f16 v4, v3, v21, v4
	;; [unrolled: 1-line block ×3, first 2 shown]
	ds_load_2addr_b64 v[0:3], v20 offset0:128 offset1:160
	v_mul_u32_u24_e32 v7, 0x10001, v7
	v_and_b32_e32 v10, 0xffff, v11
	v_lshrrev_b32_e32 v11, 16, v11
	v_mul_u32_u24_e32 v8, 0x10001, v8
	s_wait_dscnt 0x1
	v_pk_fma_f16 v5, v16, v7, v5
	v_pk_fma_f16 v4, v17, v7, v4
	v_mul_u32_u24_e32 v7, 0x10001, v10
	v_pk_fma_f16 v9, v16, v8, v9
	v_mul_u32_u24_e32 v10, 0x10001, v11
	v_pk_fma_f16 v8, v17, v8, v6
	v_and_b32_e32 v6, 0xffff, v12
	v_lshrrev_b32_e32 v11, 16, v12
	v_pk_fma_f16 v12, v18, v7, v5
	v_pk_fma_f16 v9, v18, v10, v9
	;; [unrolled: 1-line block ×3, first 2 shown]
	v_mul_u32_u24_e32 v17, 0x10001, v6
	ds_load_2addr_b64 v[4:7], v20 offset0:192 offset1:224
	v_pk_fma_f16 v19, v19, v10, v8
	v_and_b32_e32 v8, 0xffff, v13
	v_lshrrev_b32_e32 v10, 16, v13
	v_mul_u32_u24_e32 v18, 0x10001, v11
	s_wait_dscnt 0x1
	v_pk_fma_f16 v12, v0, v17, v12
	v_pk_fma_f16 v13, v1, v17, v16
	v_mul_u32_u24_e32 v16, 0x10001, v8
	v_mul_u32_u24_e32 v17, 0x10001, v10
	v_pk_fma_f16 v0, v0, v18, v9
	ds_load_b128 v[8:11], v139 offset:320
	v_and_b32_e32 v20, 0xffff, v14
	v_pk_fma_f16 v1, v1, v18, v19
	v_pk_fma_f16 v12, v2, v16, v12
	;; [unrolled: 1-line block ×3, first 2 shown]
	v_lshrrev_b32_e32 v0, 16, v14
	v_mul_u32_u24_e32 v14, 0x10001, v20
	v_add_nc_u32_e32 v20, 0x5000, v124
	v_pk_fma_f16 v13, v3, v16, v13
	v_pk_fma_f16 v16, v3, v17, v1
	s_wait_dscnt 0x1
	v_pk_fma_f16 v19, v4, v14, v12
	v_and_b32_e32 v12, 0xffff, v15
	v_lshrrev_b32_e32 v15, 16, v15
	v_mul_u32_u24_e32 v17, 0x10001, v0
	ds_load_2addr_b64 v[0:3], v20 offset1:32
	v_mul_u32_u24_e32 v21, 0x10001, v15
	v_pk_fma_f16 v4, v4, v17, v18
	v_pk_fma_f16 v18, v5, v14, v13
	;; [unrolled: 1-line block ×3, first 2 shown]
	v_mul_u32_u24_e32 v16, 0x10001, v12
	ds_load_b128 v[12:15], v139 offset:336
	s_wait_dscnt 0x2
	v_and_b32_e32 v17, 0xffff, v8
	v_lshrrev_b32_e32 v8, 16, v8
	v_pk_fma_f16 v4, v6, v21, v4
	v_pk_fma_f16 v22, v6, v16, v19
	;; [unrolled: 1-line block ×3, first 2 shown]
	v_mul_u32_u24_e32 v23, 0x10001, v17
	ds_load_2addr_b64 v[16:19], v20 offset0:64 offset1:96
	v_and_b32_e32 v24, 0xffff, v9
	v_pk_fma_f16 v5, v7, v21, v5
	v_lshrrev_b32_e32 v7, 16, v9
	v_mul_u32_u24_e32 v8, 0x10001, v8
	s_wait_dscnt 0x2
	v_pk_fma_f16 v9, v0, v23, v22
	v_mul_u32_u24_e32 v21, 0x10001, v24
	s_delay_alu instid0(VALU_DEP_3)
	v_pk_fma_f16 v0, v0, v8, v4
	v_pk_fma_f16 v4, v1, v23, v6
	v_mul_u32_u24_e32 v6, 0x10001, v7
	v_pk_fma_f16 v1, v1, v8, v5
	v_and_b32_e32 v7, 0xffff, v10
	v_lshrrev_b32_e32 v8, 16, v10
	v_pk_fma_f16 v5, v2, v21, v9
	v_pk_fma_f16 v9, v2, v6, v0
	;; [unrolled: 1-line block ×4, first 2 shown]
	v_mul_u32_u24_e32 v7, 0x10001, v7
	ds_load_2addr_b64 v[0:3], v20 offset0:128 offset1:160
	v_and_b32_e32 v10, 0xffff, v11
	v_lshrrev_b32_e32 v11, 16, v11
	v_mul_u32_u24_e32 v8, 0x10001, v8
	s_wait_dscnt 0x1
	v_pk_fma_f16 v5, v16, v7, v5
	v_pk_fma_f16 v4, v17, v7, v4
	v_mul_u32_u24_e32 v7, 0x10001, v10
	v_mul_u32_u24_e32 v10, 0x10001, v11
	v_pk_fma_f16 v9, v16, v8, v9
	v_pk_fma_f16 v8, v17, v8, v6
	v_and_b32_e32 v6, 0xffff, v12
	v_lshrrev_b32_e32 v11, 16, v12
	v_pk_fma_f16 v12, v18, v7, v5
	v_pk_fma_f16 v16, v19, v7, v4
	;; [unrolled: 1-line block ×3, first 2 shown]
	v_mul_u32_u24_e32 v17, 0x10001, v6
	ds_load_2addr_b64 v[4:7], v20 offset0:192 offset1:224
	v_pk_fma_f16 v19, v19, v10, v8
	v_and_b32_e32 v8, 0xffff, v13
	v_lshrrev_b32_e32 v10, 16, v13
	v_mul_u32_u24_e32 v18, 0x10001, v11
	s_wait_dscnt 0x1
	v_pk_fma_f16 v12, v0, v17, v12
	v_pk_fma_f16 v13, v1, v17, v16
	v_mul_u32_u24_e32 v16, 0x10001, v8
	v_mul_u32_u24_e32 v17, 0x10001, v10
	v_pk_fma_f16 v0, v0, v18, v9
	v_and_b32_e32 v20, 0xffff, v14
	ds_load_b128 v[8:11], v139 offset:352
	v_pk_fma_f16 v1, v1, v18, v19
	v_pk_fma_f16 v12, v2, v16, v12
	;; [unrolled: 1-line block ×3, first 2 shown]
	v_lshrrev_b32_e32 v0, 16, v14
	v_mul_u32_u24_e32 v14, 0x10001, v20
	v_add_nc_u32_e32 v20, 0x5800, v124
	v_pk_fma_f16 v13, v3, v16, v13
	v_pk_fma_f16 v16, v3, v17, v1
	s_wait_dscnt 0x1
	v_pk_fma_f16 v19, v4, v14, v12
	v_and_b32_e32 v12, 0xffff, v15
	v_lshrrev_b32_e32 v15, 16, v15
	v_mul_u32_u24_e32 v17, 0x10001, v0
	ds_load_2addr_b64 v[0:3], v20 offset1:32
	v_mul_u32_u24_e32 v21, 0x10001, v15
	v_pk_fma_f16 v4, v4, v17, v18
	v_pk_fma_f16 v18, v5, v14, v13
	;; [unrolled: 1-line block ×3, first 2 shown]
	v_mul_u32_u24_e32 v16, 0x10001, v12
	ds_load_b128 v[12:15], v139 offset:368
	s_wait_dscnt 0x2
	v_and_b32_e32 v17, 0xffff, v8
	v_lshrrev_b32_e32 v8, 16, v8
	v_pk_fma_f16 v4, v6, v21, v4
	v_pk_fma_f16 v22, v6, v16, v19
	;; [unrolled: 1-line block ×3, first 2 shown]
	v_mul_u32_u24_e32 v23, 0x10001, v17
	v_and_b32_e32 v24, 0xffff, v9
	ds_load_2addr_b64 v[16:19], v20 offset0:64 offset1:96
	v_pk_fma_f16 v5, v7, v21, v5
	v_lshrrev_b32_e32 v7, 16, v9
	v_mul_u32_u24_e32 v8, 0x10001, v8
	s_wait_dscnt 0x2
	v_pk_fma_f16 v9, v0, v23, v22
	v_mul_u32_u24_e32 v21, 0x10001, v24
	s_delay_alu instid0(VALU_DEP_3)
	v_pk_fma_f16 v0, v0, v8, v4
	v_pk_fma_f16 v4, v1, v23, v6
	v_mul_u32_u24_e32 v6, 0x10001, v7
	v_pk_fma_f16 v1, v1, v8, v5
	v_pk_fma_f16 v5, v2, v21, v9
	v_and_b32_e32 v7, 0xffff, v10
	v_lshrrev_b32_e32 v8, 16, v10
	v_pk_fma_f16 v9, v2, v6, v0
	v_pk_fma_f16 v4, v3, v21, v4
	;; [unrolled: 1-line block ×3, first 2 shown]
	ds_load_2addr_b64 v[0:3], v20 offset0:128 offset1:160
	v_mul_u32_u24_e32 v7, 0x10001, v7
	v_and_b32_e32 v10, 0xffff, v11
	v_lshrrev_b32_e32 v11, 16, v11
	v_mul_u32_u24_e32 v8, 0x10001, v8
	s_wait_dscnt 0x1
	v_pk_fma_f16 v5, v16, v7, v5
	v_pk_fma_f16 v4, v17, v7, v4
	v_mul_u32_u24_e32 v7, 0x10001, v10
	v_pk_fma_f16 v9, v16, v8, v9
	v_mul_u32_u24_e32 v10, 0x10001, v11
	v_pk_fma_f16 v8, v17, v8, v6
	v_and_b32_e32 v6, 0xffff, v12
	v_lshrrev_b32_e32 v11, 16, v12
	v_pk_fma_f16 v12, v18, v7, v5
	v_pk_fma_f16 v9, v18, v10, v9
	;; [unrolled: 1-line block ×3, first 2 shown]
	v_mul_u32_u24_e32 v17, 0x10001, v6
	ds_load_2addr_b64 v[4:7], v20 offset0:192 offset1:224
	v_pk_fma_f16 v19, v19, v10, v8
	v_and_b32_e32 v8, 0xffff, v13
	v_lshrrev_b32_e32 v10, 16, v13
	v_mul_u32_u24_e32 v18, 0x10001, v11
	s_wait_dscnt 0x1
	v_pk_fma_f16 v12, v0, v17, v12
	v_pk_fma_f16 v13, v1, v17, v16
	v_mul_u32_u24_e32 v16, 0x10001, v8
	v_mul_u32_u24_e32 v17, 0x10001, v10
	v_pk_fma_f16 v0, v0, v18, v9
	ds_load_b128 v[8:11], v139 offset:384
	v_and_b32_e32 v20, 0xffff, v14
	v_pk_fma_f16 v1, v1, v18, v19
	v_pk_fma_f16 v12, v2, v16, v12
	;; [unrolled: 1-line block ×3, first 2 shown]
	v_lshrrev_b32_e32 v0, 16, v14
	v_mul_u32_u24_e32 v14, 0x10001, v20
	v_add_nc_u32_e32 v20, 0x6000, v124
	v_pk_fma_f16 v13, v3, v16, v13
	v_pk_fma_f16 v16, v3, v17, v1
	s_wait_dscnt 0x1
	v_pk_fma_f16 v19, v4, v14, v12
	v_and_b32_e32 v12, 0xffff, v15
	v_lshrrev_b32_e32 v15, 16, v15
	v_mul_u32_u24_e32 v17, 0x10001, v0
	ds_load_2addr_b64 v[0:3], v20 offset1:32
	v_mul_u32_u24_e32 v21, 0x10001, v15
	v_pk_fma_f16 v4, v4, v17, v18
	v_pk_fma_f16 v18, v5, v14, v13
	;; [unrolled: 1-line block ×3, first 2 shown]
	v_mul_u32_u24_e32 v16, 0x10001, v12
	ds_load_b128 v[12:15], v139 offset:400
	s_wait_dscnt 0x2
	v_and_b32_e32 v17, 0xffff, v8
	v_lshrrev_b32_e32 v8, 16, v8
	v_pk_fma_f16 v4, v6, v21, v4
	v_pk_fma_f16 v22, v6, v16, v19
	;; [unrolled: 1-line block ×3, first 2 shown]
	v_mul_u32_u24_e32 v23, 0x10001, v17
	ds_load_2addr_b64 v[16:19], v20 offset0:64 offset1:96
	v_and_b32_e32 v24, 0xffff, v9
	v_pk_fma_f16 v5, v7, v21, v5
	v_lshrrev_b32_e32 v7, 16, v9
	v_mul_u32_u24_e32 v8, 0x10001, v8
	s_wait_dscnt 0x2
	v_pk_fma_f16 v9, v0, v23, v22
	v_mul_u32_u24_e32 v21, 0x10001, v24
	s_delay_alu instid0(VALU_DEP_3)
	v_pk_fma_f16 v0, v0, v8, v4
	v_pk_fma_f16 v4, v1, v23, v6
	v_mul_u32_u24_e32 v6, 0x10001, v7
	v_pk_fma_f16 v1, v1, v8, v5
	v_and_b32_e32 v7, 0xffff, v10
	v_lshrrev_b32_e32 v8, 16, v10
	v_pk_fma_f16 v5, v2, v21, v9
	v_pk_fma_f16 v9, v2, v6, v0
	;; [unrolled: 1-line block ×4, first 2 shown]
	v_mul_u32_u24_e32 v7, 0x10001, v7
	ds_load_2addr_b64 v[0:3], v20 offset0:128 offset1:160
	v_and_b32_e32 v10, 0xffff, v11
	v_lshrrev_b32_e32 v11, 16, v11
	v_mul_u32_u24_e32 v8, 0x10001, v8
	s_wait_dscnt 0x1
	v_pk_fma_f16 v5, v16, v7, v5
	v_pk_fma_f16 v4, v17, v7, v4
	v_mul_u32_u24_e32 v7, 0x10001, v10
	v_mul_u32_u24_e32 v10, 0x10001, v11
	v_pk_fma_f16 v9, v16, v8, v9
	v_pk_fma_f16 v8, v17, v8, v6
	v_and_b32_e32 v6, 0xffff, v12
	v_lshrrev_b32_e32 v11, 16, v12
	v_pk_fma_f16 v12, v18, v7, v5
	v_pk_fma_f16 v16, v19, v7, v4
	;; [unrolled: 1-line block ×3, first 2 shown]
	v_mul_u32_u24_e32 v17, 0x10001, v6
	ds_load_2addr_b64 v[4:7], v20 offset0:192 offset1:224
	v_pk_fma_f16 v19, v19, v10, v8
	v_and_b32_e32 v8, 0xffff, v13
	v_lshrrev_b32_e32 v10, 16, v13
	v_mul_u32_u24_e32 v18, 0x10001, v11
	s_wait_dscnt 0x1
	v_pk_fma_f16 v12, v0, v17, v12
	v_pk_fma_f16 v13, v1, v17, v16
	v_mul_u32_u24_e32 v16, 0x10001, v8
	v_mul_u32_u24_e32 v17, 0x10001, v10
	v_pk_fma_f16 v0, v0, v18, v9
	v_and_b32_e32 v20, 0xffff, v14
	ds_load_b128 v[8:11], v139 offset:416
	v_pk_fma_f16 v1, v1, v18, v19
	v_pk_fma_f16 v12, v2, v16, v12
	;; [unrolled: 1-line block ×3, first 2 shown]
	v_lshrrev_b32_e32 v0, 16, v14
	v_mul_u32_u24_e32 v14, 0x10001, v20
	v_add_nc_u32_e32 v20, 0x6800, v124
	v_pk_fma_f16 v13, v3, v16, v13
	v_pk_fma_f16 v16, v3, v17, v1
	s_wait_dscnt 0x1
	v_pk_fma_f16 v19, v4, v14, v12
	v_and_b32_e32 v12, 0xffff, v15
	v_lshrrev_b32_e32 v15, 16, v15
	v_mul_u32_u24_e32 v17, 0x10001, v0
	ds_load_2addr_b64 v[0:3], v20 offset1:32
	v_mul_u32_u24_e32 v21, 0x10001, v15
	v_pk_fma_f16 v4, v4, v17, v18
	v_pk_fma_f16 v18, v5, v14, v13
	;; [unrolled: 1-line block ×3, first 2 shown]
	v_mul_u32_u24_e32 v16, 0x10001, v12
	ds_load_b128 v[12:15], v139 offset:432
	s_wait_dscnt 0x2
	v_and_b32_e32 v17, 0xffff, v8
	v_lshrrev_b32_e32 v8, 16, v8
	v_pk_fma_f16 v4, v6, v21, v4
	v_pk_fma_f16 v22, v6, v16, v19
	;; [unrolled: 1-line block ×3, first 2 shown]
	v_mul_u32_u24_e32 v23, 0x10001, v17
	v_and_b32_e32 v24, 0xffff, v9
	ds_load_2addr_b64 v[16:19], v20 offset0:64 offset1:96
	v_pk_fma_f16 v5, v7, v21, v5
	v_lshrrev_b32_e32 v7, 16, v9
	v_mul_u32_u24_e32 v8, 0x10001, v8
	s_wait_dscnt 0x2
	v_pk_fma_f16 v9, v0, v23, v22
	v_mul_u32_u24_e32 v21, 0x10001, v24
	s_delay_alu instid0(VALU_DEP_3)
	v_pk_fma_f16 v0, v0, v8, v4
	v_pk_fma_f16 v4, v1, v23, v6
	v_mul_u32_u24_e32 v6, 0x10001, v7
	v_pk_fma_f16 v1, v1, v8, v5
	v_pk_fma_f16 v5, v2, v21, v9
	v_and_b32_e32 v7, 0xffff, v10
	v_lshrrev_b32_e32 v8, 16, v10
	v_pk_fma_f16 v9, v2, v6, v0
	v_pk_fma_f16 v4, v3, v21, v4
	v_pk_fma_f16 v6, v3, v6, v1
	ds_load_2addr_b64 v[0:3], v20 offset0:128 offset1:160
	v_mul_u32_u24_e32 v7, 0x10001, v7
	v_and_b32_e32 v10, 0xffff, v11
	v_lshrrev_b32_e32 v11, 16, v11
	v_mul_u32_u24_e32 v8, 0x10001, v8
	s_wait_dscnt 0x1
	v_pk_fma_f16 v5, v16, v7, v5
	v_pk_fma_f16 v4, v17, v7, v4
	v_mul_u32_u24_e32 v7, 0x10001, v10
	v_pk_fma_f16 v9, v16, v8, v9
	v_mul_u32_u24_e32 v10, 0x10001, v11
	v_pk_fma_f16 v8, v17, v8, v6
	v_and_b32_e32 v6, 0xffff, v12
	v_lshrrev_b32_e32 v11, 16, v12
	v_pk_fma_f16 v12, v18, v7, v5
	v_pk_fma_f16 v9, v18, v10, v9
	;; [unrolled: 1-line block ×3, first 2 shown]
	v_mul_u32_u24_e32 v17, 0x10001, v6
	ds_load_2addr_b64 v[4:7], v20 offset0:192 offset1:224
	v_pk_fma_f16 v19, v19, v10, v8
	v_and_b32_e32 v8, 0xffff, v13
	v_lshrrev_b32_e32 v10, 16, v13
	v_mul_u32_u24_e32 v18, 0x10001, v11
	s_wait_dscnt 0x1
	v_pk_fma_f16 v12, v0, v17, v12
	v_pk_fma_f16 v13, v1, v17, v16
	v_mul_u32_u24_e32 v16, 0x10001, v8
	v_mul_u32_u24_e32 v17, 0x10001, v10
	v_pk_fma_f16 v0, v0, v18, v9
	ds_load_b128 v[8:11], v139 offset:448
	v_and_b32_e32 v20, 0xffff, v14
	v_pk_fma_f16 v1, v1, v18, v19
	v_pk_fma_f16 v12, v2, v16, v12
	;; [unrolled: 1-line block ×3, first 2 shown]
	v_lshrrev_b32_e32 v0, 16, v14
	v_mul_u32_u24_e32 v14, 0x10001, v20
	v_add_nc_u32_e32 v20, 0x7000, v124
	v_pk_fma_f16 v13, v3, v16, v13
	v_pk_fma_f16 v16, v3, v17, v1
	s_wait_dscnt 0x1
	v_pk_fma_f16 v19, v4, v14, v12
	v_and_b32_e32 v12, 0xffff, v15
	v_lshrrev_b32_e32 v15, 16, v15
	v_mul_u32_u24_e32 v17, 0x10001, v0
	ds_load_2addr_b64 v[0:3], v20 offset1:32
	v_mul_u32_u24_e32 v21, 0x10001, v15
	v_pk_fma_f16 v4, v4, v17, v18
	v_pk_fma_f16 v18, v5, v14, v13
	;; [unrolled: 1-line block ×3, first 2 shown]
	v_mul_u32_u24_e32 v16, 0x10001, v12
	ds_load_b128 v[12:15], v139 offset:464
	s_wait_dscnt 0x2
	v_and_b32_e32 v17, 0xffff, v8
	v_lshrrev_b32_e32 v8, 16, v8
	v_pk_fma_f16 v4, v6, v21, v4
	v_pk_fma_f16 v22, v6, v16, v19
	;; [unrolled: 1-line block ×3, first 2 shown]
	v_mul_u32_u24_e32 v23, 0x10001, v17
	ds_load_2addr_b64 v[16:19], v20 offset0:64 offset1:96
	v_and_b32_e32 v24, 0xffff, v9
	v_pk_fma_f16 v5, v7, v21, v5
	v_lshrrev_b32_e32 v7, 16, v9
	v_mul_u32_u24_e32 v8, 0x10001, v8
	s_wait_dscnt 0x2
	v_pk_fma_f16 v9, v0, v23, v22
	v_mul_u32_u24_e32 v21, 0x10001, v24
	s_delay_alu instid0(VALU_DEP_3)
	v_pk_fma_f16 v0, v0, v8, v4
	v_pk_fma_f16 v4, v1, v23, v6
	v_mul_u32_u24_e32 v6, 0x10001, v7
	v_pk_fma_f16 v1, v1, v8, v5
	v_and_b32_e32 v7, 0xffff, v10
	v_lshrrev_b32_e32 v8, 16, v10
	v_pk_fma_f16 v5, v2, v21, v9
	v_pk_fma_f16 v9, v2, v6, v0
	;; [unrolled: 1-line block ×4, first 2 shown]
	v_mul_u32_u24_e32 v7, 0x10001, v7
	ds_load_2addr_b64 v[0:3], v20 offset0:128 offset1:160
	v_and_b32_e32 v10, 0xffff, v11
	v_lshrrev_b32_e32 v11, 16, v11
	v_mul_u32_u24_e32 v8, 0x10001, v8
	s_wait_dscnt 0x1
	v_pk_fma_f16 v5, v16, v7, v5
	v_pk_fma_f16 v4, v17, v7, v4
	v_mul_u32_u24_e32 v7, 0x10001, v10
	v_mul_u32_u24_e32 v10, 0x10001, v11
	v_pk_fma_f16 v9, v16, v8, v9
	v_pk_fma_f16 v8, v17, v8, v6
	v_and_b32_e32 v6, 0xffff, v12
	v_lshrrev_b32_e32 v11, 16, v12
	v_pk_fma_f16 v12, v18, v7, v5
	v_pk_fma_f16 v16, v19, v7, v4
	;; [unrolled: 1-line block ×3, first 2 shown]
	v_mul_u32_u24_e32 v17, 0x10001, v6
	ds_load_2addr_b64 v[4:7], v20 offset0:192 offset1:224
	v_pk_fma_f16 v19, v19, v10, v8
	v_and_b32_e32 v8, 0xffff, v13
	v_lshrrev_b32_e32 v10, 16, v13
	v_mul_u32_u24_e32 v18, 0x10001, v11
	s_wait_dscnt 0x1
	v_pk_fma_f16 v12, v0, v17, v12
	v_pk_fma_f16 v13, v1, v17, v16
	v_mul_u32_u24_e32 v16, 0x10001, v8
	v_mul_u32_u24_e32 v17, 0x10001, v10
	v_pk_fma_f16 v0, v0, v18, v9
	v_and_b32_e32 v20, 0xffff, v14
	ds_load_b128 v[8:11], v139 offset:480
	v_pk_fma_f16 v1, v1, v18, v19
	v_pk_fma_f16 v12, v2, v16, v12
	;; [unrolled: 1-line block ×3, first 2 shown]
	v_lshrrev_b32_e32 v0, 16, v14
	v_mul_u32_u24_e32 v14, 0x10001, v20
	v_add_nc_u32_e32 v20, 0x7800, v124
	v_pk_fma_f16 v13, v3, v16, v13
	v_pk_fma_f16 v16, v3, v17, v1
	s_wait_dscnt 0x1
	v_pk_fma_f16 v19, v4, v14, v12
	v_and_b32_e32 v12, 0xffff, v15
	v_lshrrev_b32_e32 v15, 16, v15
	v_mul_u32_u24_e32 v17, 0x10001, v0
	ds_load_2addr_b64 v[0:3], v20 offset1:32
	v_mul_u32_u24_e32 v21, 0x10001, v15
	v_pk_fma_f16 v4, v4, v17, v18
	v_pk_fma_f16 v18, v5, v14, v13
	;; [unrolled: 1-line block ×3, first 2 shown]
	v_mul_u32_u24_e32 v16, 0x10001, v12
	ds_load_b128 v[12:15], v139 offset:496
	s_wait_dscnt 0x2
	v_and_b32_e32 v17, 0xffff, v8
	v_lshrrev_b32_e32 v8, 16, v8
	v_pk_fma_f16 v4, v6, v21, v4
	v_pk_fma_f16 v22, v6, v16, v19
	v_pk_fma_f16 v6, v7, v16, v18
	v_mul_u32_u24_e32 v23, 0x10001, v17
	v_and_b32_e32 v24, 0xffff, v9
	ds_load_2addr_b64 v[16:19], v20 offset0:64 offset1:96
	v_pk_fma_f16 v5, v7, v21, v5
	v_lshrrev_b32_e32 v7, 16, v9
	v_mul_u32_u24_e32 v8, 0x10001, v8
	s_wait_dscnt 0x2
	v_pk_fma_f16 v9, v0, v23, v22
	v_pk_fma_f16 v6, v1, v23, v6
	v_mul_u32_u24_e32 v21, 0x10001, v7
	v_pk_fma_f16 v0, v0, v8, v4
	v_mul_u32_u24_e32 v4, 0x10001, v24
	v_pk_fma_f16 v1, v1, v8, v5
	v_and_b32_e32 v5, 0xffff, v10
	s_delay_alu instid0(VALU_DEP_4) | instskip(NEXT) | instid1(VALU_DEP_4)
	v_pk_fma_f16 v0, v2, v21, v0
	v_pk_fma_f16 v8, v2, v4, v9
	v_lshrrev_b32_e32 v9, 16, v10
	v_pk_fma_f16 v2, v3, v4, v6
	v_mul_u32_u24_e32 v10, 0x10001, v5
	ds_load_2addr_b64 v[4:7], v20 offset0:128 offset1:160
	v_pk_fma_f16 v1, v3, v21, v1
	v_and_b32_e32 v3, 0xffff, v11
	v_lshrrev_b32_e32 v11, 16, v11
	v_mul_u32_u24_e32 v9, 0x10001, v9
	s_wait_dscnt 0x1
	v_pk_fma_f16 v8, v16, v10, v8
	v_pk_fma_f16 v2, v17, v10, v2
	v_mul_u32_u24_e32 v3, 0x10001, v3
	v_mul_u32_u24_e32 v10, 0x10001, v11
	v_pk_fma_f16 v0, v16, v9, v0
	v_and_b32_e32 v11, 0xffff, v12
	v_lshrrev_b32_e32 v12, 16, v12
	v_pk_fma_f16 v1, v17, v9, v1
	v_pk_fma_f16 v16, v18, v3, v8
	;; [unrolled: 1-line block ×3, first 2 shown]
	v_mul_u32_u24_e32 v11, 0x10001, v11
	v_and_b32_e32 v18, 0xffff, v13
	v_lshrrev_b32_e32 v13, 16, v13
	v_mul_u32_u24_e32 v12, 0x10001, v12
	v_pk_fma_f16 v17, v19, v3, v2
	v_pk_fma_f16 v10, v19, v10, v1
	s_wait_dscnt 0x0
	v_pk_fma_f16 v16, v4, v11, v16
	v_pk_add_f32 v[8:9], v[118:119], v[120:121]
	v_pk_fma_f16 v4, v4, v12, v0
	ds_load_2addr_b64 v[0:3], v20 offset0:192 offset1:224
	s_wait_dscnt 0x0
	s_barrier_signal -1
	s_barrier_wait -1
	s_load_b32 s5, s[20:21], 0x4
	v_pk_fma_f16 v11, v5, v11, v17
	v_pk_fma_f16 v5, v5, v12, v10
	v_mul_u32_u24_e32 v10, 0x10001, v18
	v_mul_u32_u24_e32 v12, 0x10001, v13
	v_and_b32_e32 v13, 0xffff, v14
	v_lshrrev_b32_e32 v14, 16, v14
	v_pk_fma_f32 v[94:95], v[94:95], v[116:117], v[8:9]
	v_pk_fma_f16 v16, v6, v10, v16
	v_pk_fma_f16 v4, v6, v12, v4
	;; [unrolled: 1-line block ×3, first 2 shown]
	v_mul_u32_u24_e32 v10, 0x10001, v13
	v_mul_u32_u24_e32 v11, 0x10001, v14
	v_and_b32_e32 v13, 0xffff, v15
	v_lshrrev_b32_e32 v14, 16, v15
	v_pk_fma_f16 v5, v7, v12, v5
	v_pk_fma_f16 v7, v0, v10, v16
	;; [unrolled: 1-line block ×3, first 2 shown]
	v_mul_u32_u24_e32 v4, 0x10001, v13
	v_mul_u32_u24_e32 v12, 0x10001, v14
	v_pk_fma_f16 v6, v1, v10, v6
	v_pk_fma_f16 v1, v1, v11, v5
	s_wait_kmcnt 0x0
	s_lshl_b32 s5, s5, 7
	v_pk_fma_f16 v148, v2, v4, v7
	v_pk_fma_f16 v147, v2, v12, v0
	;; [unrolled: 1-line block ×4, first 2 shown]
	s_add_co_i32 s4, s5, s4
	s_delay_alu instid0(SALU_CYCLE_1)
	s_cmp_ge_i32 s4, s28
	s_cbranch_scc1 .LBB73_43
; %bb.42:                               ;   in Loop: Header=BB73_9 Depth=1
	v_dual_mov_b32 v35, v114 :: v_dual_mov_b32 v34, v115
	s_branch .LBB73_9
.LBB73_43:
	v_mov_b32_e32 v3, v125
.LBB73_44:
	v_cmp_lt_i32_e32 vcc_lo, v153, v126
	s_cmp_lg_u64 s[12:13], 0
	s_cselect_b32 s3, -1, 0
	s_cmp_eq_u32 s29, 0
	v_cndmask_b32_e32 v0, v3, v153, vcc_lo
	v_cmp_lt_i32_e32 vcc_lo, v149, v126
	s_cselect_b32 s4, -1, 0
	s_delay_alu instid0(SALU_CYCLE_1) | instskip(SKIP_2) | instid1(VALU_DEP_2)
	s_and_b32 s3, s4, s3
	v_cndmask_b32_e32 v2, v3, v149, vcc_lo
	v_cmp_lt_i32_e32 vcc_lo, v150, v126
	v_dual_lshlrev_b32 v2, 2, v2 :: v_dual_lshlrev_b32 v1, 2, v0
	ds_bpermute_b32 v0, v1, v94
	ds_bpermute_b32 v1, v1, v95
	s_wait_dscnt 0x0
	v_pk_add_f32 v[0:1], v[94:95], v[0:1]
	ds_bpermute_b32 v4, v2, v0
	ds_bpermute_b32 v5, v2, v1
	v_cndmask_b32_e32 v2, v3, v150, vcc_lo
	v_cmp_lt_i32_e32 vcc_lo, v151, v126
	s_delay_alu instid0(VALU_DEP_2)
	v_lshlrev_b32_e32 v2, 2, v2
	s_wait_dscnt 0x0
	v_pk_add_f32 v[0:1], v[0:1], v[4:5]
	ds_bpermute_b32 v4, v2, v0
	ds_bpermute_b32 v5, v2, v1
	v_cndmask_b32_e32 v2, v3, v151, vcc_lo
	v_cmp_lt_i32_e32 vcc_lo, v152, v126
	s_delay_alu instid0(VALU_DEP_2)
	v_lshlrev_b32_e32 v2, 2, v2
	s_wait_dscnt 0x0
	v_pk_add_f32 v[0:1], v[0:1], v[4:5]
	ds_bpermute_b32 v4, v2, v0
	ds_bpermute_b32 v5, v2, v1
	v_cndmask_b32_e32 v2, v3, v152, vcc_lo
	s_and_b32 vcc_lo, exec_lo, s3
	s_delay_alu instid0(VALU_DEP_1)
	v_lshlrev_b32_e32 v3, 2, v2
	s_wait_dscnt 0x0
	v_pk_add_f32 v[0:1], v[0:1], v[4:5]
	ds_bpermute_b32 v2, v3, v0
	ds_bpermute_b32 v3, v3, v1
	s_wait_dscnt 0x0
	v_pk_add_f32 v[0:1], v[0:1], v[2:3]
	v_add_nc_u32_e32 v2, s33, v76
	s_cbranch_vccz .LBB73_46
; %bb.45:
	s_delay_alu instid0(VALU_DEP_1) | instskip(NEXT) | instid1(VALU_DEP_1)
	v_dual_ashrrev_i32 v3, 31, v2 :: v_dual_max_num_f32 v7, v115, v115
	v_lshl_add_u64 v[4:5], v[2:3], 2, s[12:13]
	v_max_num_f32_e32 v3, v114, v114
	global_load_b64 v[4:5], v[4:5], off
	s_wait_loadcnt 0x0
	v_dual_max_num_f32 v6, v4, v4 :: v_dual_max_num_f32 v8, v5, v5
	s_delay_alu instid0(VALU_DEP_1) | instskip(NEXT) | instid1(VALU_DEP_1)
	v_max_num_f32_e32 v6, v3, v6
	v_dual_max_num_f32 v7, v7, v8 :: v_dual_sub_f32 v3, v114, v6
	s_delay_alu instid0(VALU_DEP_1) | instskip(SKIP_2) | instid1(VALU_DEP_3)
	v_dual_sub_f32 v8, v4, v6 :: v_dual_sub_f32 v9, v115, v7
	v_sub_f32_e32 v10, v5, v7
	v_mov_b64_e32 v[114:115], v[6:7]
	v_dual_mul_f32 v4, 0x3fb8aa3b, v3 :: v_dual_mul_f32 v5, 0x3fb8aa3b, v8
	s_delay_alu instid0(VALU_DEP_4) | instskip(SKIP_1) | instid1(VALU_DEP_3)
	v_mul_f32_e32 v11, 0x3fb8aa3b, v9
	v_cmp_ngt_f32_e32 vcc_lo, 0xc2ce8ed0, v3
	v_fma_f32 v13, 0x3fb8aa3b, v3, -v4
	v_rndne_f32_e32 v14, v4
	s_delay_alu instid0(VALU_DEP_4) | instskip(SKIP_2) | instid1(VALU_DEP_4)
	v_rndne_f32_e32 v18, v11
	v_fma_f32 v17, 0x3fb8aa3b, v9, -v11
	v_rndne_f32_e32 v16, v5
	v_dual_fmac_f32 v13, 0x32a5705f, v3 :: v_dual_sub_f32 v4, v4, v14
	s_delay_alu instid0(VALU_DEP_4) | instskip(SKIP_4) | instid1(VALU_DEP_4)
	v_sub_f32_e32 v11, v11, v18
	v_mul_f32_e32 v12, 0x3fb8aa3b, v10
	v_fma_f32 v15, 0x3fb8aa3b, v8, -v5
	v_cvt_i32_f32_e32 v14, v14
	v_dual_add_f32 v4, v4, v13 :: v_dual_sub_f32 v5, v5, v16
	v_fma_f32 v19, 0x3fb8aa3b, v10, -v12
	v_rndne_f32_e32 v20, v12
	v_fmac_f32_e32 v17, 0x32a5705f, v9
	s_delay_alu instid0(VALU_DEP_4) | instskip(SKIP_1) | instid1(VALU_DEP_3)
	v_exp_f32_e32 v4, v4
	v_cvt_i32_f32_e32 v13, v16
	v_sub_f32_e32 v12, v12, v20
	v_cvt_i32_f32_e32 v16, v20
	s_delay_alu instid0(TRANS32_DEP_1) | instskip(NEXT) | instid1(VALU_DEP_1)
	v_ldexp_f32 v4, v4, v14
	v_dual_fmac_f32 v19, 0x32a5705f, v10 :: v_dual_cndmask_b32 v4, 0, v4
	s_delay_alu instid0(VALU_DEP_1) | instskip(SKIP_2) | instid1(VALU_DEP_3)
	v_dual_fmac_f32 v15, 0x32a5705f, v8 :: v_dual_add_f32 v12, v12, v19
	v_add_f32_e32 v11, v11, v17
	v_cmp_ngt_f32_e32 vcc_lo, 0xc2ce8ed0, v9
	v_add_f32_e32 v5, v5, v15
	v_cvt_i32_f32_e32 v15, v18
	s_delay_alu instid0(VALU_DEP_4) | instskip(SKIP_1) | instid1(VALU_DEP_2)
	v_exp_f32_e32 v11, v11
	v_exp_f32_e32 v12, v12
	;; [unrolled: 1-line block ×3, first 2 shown]
	s_delay_alu instid0(TRANS32_DEP_3) | instskip(NEXT) | instid1(VALU_DEP_1)
	v_ldexp_f32 v11, v11, v15
	v_cndmask_b32_e32 v11, 0, v11, vcc_lo
	v_cmp_nlt_f32_e32 vcc_lo, 0x42b17218, v3
	s_delay_alu instid0(TRANS32_DEP_1)
	v_ldexp_f32 v3, v5, v13
	v_cndmask_b32_e32 v4, 0x7f800000, v4, vcc_lo
	v_cmp_nlt_f32_e32 vcc_lo, 0x42b17218, v9
	v_ldexp_f32 v9, v12, v16
	v_cndmask_b32_e32 v5, 0x7f800000, v11, vcc_lo
	v_cmp_ngt_f32_e32 vcc_lo, 0xc2ce8ed0, v8
	v_cvt_f16_f32_e32 v11, v4
	s_delay_alu instid0(VALU_DEP_3) | instskip(SKIP_2) | instid1(VALU_DEP_4)
	v_cvt_f16_f32_e32 v12, v5
	v_cndmask_b32_e32 v3, 0, v3, vcc_lo
	v_cmp_ngt_f32_e32 vcc_lo, 0xc2ce8ed0, v10
	v_and_b32_e32 v11, 0xffff, v11
	v_cndmask_b32_e32 v9, 0, v9, vcc_lo
	v_cmp_nlt_f32_e32 vcc_lo, 0x42b17218, v8
	v_cndmask_b32_e32 v8, 0x7f800000, v3, vcc_lo
	v_and_b32_e32 v3, 0xffff, v12
	v_cmp_nlt_f32_e32 vcc_lo, 0x42b17218, v10
	v_mul_u32_u24_e32 v10, 0x10001, v11
	s_delay_alu instid0(VALU_DEP_3) | instskip(SKIP_1) | instid1(VALU_DEP_3)
	v_mul_u32_u24_e32 v3, 0x10001, v3
	v_cndmask_b32_e32 v9, 0x7f800000, v9, vcc_lo
	v_pk_mul_f16 v148, v148, v10
	v_pk_mul_f16 v33, v33, v10
	s_delay_alu instid0(VALU_DEP_4) | instskip(NEXT) | instid1(VALU_DEP_4)
	v_pk_mul_f16 v147, v147, v3
	v_pk_fma_f32 v[0:1], v[0:1], v[4:5], v[8:9]
	v_pk_mul_f16 v32, v32, v3
.LBB73_46:
	s_mov_b32 s3, exec_lo
	v_cmpx_gt_i32_e64 s22, v122
	s_cbranch_execz .LBB73_55
; %bb.47:
	s_load_b32 s0, s[0:1], 0xd4
	v_mov_b32_e32 v4, 1.0
	s_wait_kmcnt 0x0
	s_cmp_lg_u32 s0, 1
	s_cselect_b32 s3, -1, 0
	s_cmp_eq_u32 s0, 1
	s_cselect_b32 s1, -1, 0
	s_and_b32 vcc_lo, exec_lo, s3
	s_cbranch_vccnz .LBB73_49
; %bb.48:
	v_div_scale_f32 v3, null, v0, v0, 1.0
	s_delay_alu instid0(VALU_DEP_1) | instskip(SKIP_1) | instid1(TRANS32_DEP_1)
	v_rcp_f32_e32 v4, v3
	v_nop
	v_fma_f32 v5, -v3, v4, 1.0
	s_delay_alu instid0(VALU_DEP_1) | instskip(SKIP_1) | instid1(VALU_DEP_1)
	v_fmac_f32_e32 v4, v5, v4
	v_div_scale_f32 v5, vcc_lo, 1.0, v0, 1.0
	v_mul_f32_e32 v6, v5, v4
	s_delay_alu instid0(VALU_DEP_1) | instskip(NEXT) | instid1(VALU_DEP_1)
	v_fma_f32 v7, -v3, v6, v5
	v_fmac_f32_e32 v6, v7, v4
	s_delay_alu instid0(VALU_DEP_1) | instskip(NEXT) | instid1(VALU_DEP_1)
	v_fma_f32 v3, -v3, v6, v5
	v_div_fmas_f32 v3, v3, v4, v6
	s_delay_alu instid0(VALU_DEP_1)
	v_div_fixup_f32 v4, v3, v0, 1.0
.LBB73_49:
	v_mad_u32 v3, s2, s22, v122
	v_lshrrev_b32_e32 v5, 16, v33
	v_cvt_f32_f16_e64 v6, v148
	v_cvt_f32_f16_e32 v10, v33
	v_cmp_eq_u32_e32 vcc_lo, 0, v77
	v_mov_b32_e32 v9, 0
	v_cvt_f32_f16_e32 v11, v5
	s_and_b32 s2, vcc_lo, s3
	v_mad_u32 v2, v3, s23, v2
	v_lshrrev_b32_e32 v3, 16, v148
	s_delay_alu instid0(VALU_DEP_1) | instskip(NEXT) | instid1(VALU_DEP_1)
	v_cvt_f32_f16_e32 v7, v3
	v_pk_mul_f32 v[6:7], v[4:5], v[6:7] op_sel_hi:[0,1]
	s_delay_alu instid0(VALU_DEP_4) | instskip(NEXT) | instid1(VALU_DEP_1)
	v_mad_u32 v2, s0, v2, s29
	v_lshl_add_u32 v8, v2, 7, v123
	s_delay_alu instid0(VALU_DEP_1)
	v_lshl_add_u64 v[12:13], v[8:9], 2, s[16:17]
	v_pk_mul_f32 v[8:9], v[4:5], v[10:11] op_sel_hi:[0,1]
	global_store_b128 v[12:13], v[6:9], off
	s_wait_xcnt 0x0
	s_and_saveexec_b32 s3, s2
	s_cbranch_execz .LBB73_51
; %bb.50:
	v_dual_mov_b32 v4, v114 :: v_dual_mov_b32 v5, v0
	global_store_b64 v2, v[4:5], s[18:19] scale_offset
.LBB73_51:
	s_wait_xcnt 0x0
	s_or_b32 exec_lo, exec_lo, s3
	v_mov_b32_e32 v0, 1.0
	s_and_not1_b32 vcc_lo, exec_lo, s1
	s_cbranch_vccnz .LBB73_53
; %bb.52:
	v_div_scale_f32 v0, null, v1, v1, 1.0
	s_delay_alu instid0(VALU_DEP_1) | instskip(SKIP_1) | instid1(TRANS32_DEP_1)
	v_rcp_f32_e32 v3, v0
	v_nop
	v_fma_f32 v4, -v0, v3, 1.0
	s_delay_alu instid0(VALU_DEP_1) | instskip(SKIP_1) | instid1(VALU_DEP_1)
	v_fmac_f32_e32 v3, v4, v3
	v_div_scale_f32 v4, vcc_lo, 1.0, v1, 1.0
	v_mul_f32_e32 v5, v4, v3
	s_delay_alu instid0(VALU_DEP_1) | instskip(NEXT) | instid1(VALU_DEP_1)
	v_fma_f32 v6, -v0, v5, v4
	v_fmac_f32_e32 v5, v6, v3
	s_delay_alu instid0(VALU_DEP_1) | instskip(NEXT) | instid1(VALU_DEP_1)
	v_fma_f32 v0, -v0, v5, v4
	v_div_fmas_f32 v0, v0, v3, v5
	s_delay_alu instid0(VALU_DEP_1)
	v_div_fixup_f32 v0, v0, v1, 1.0
.LBB73_53:
	v_dual_add_nc_u32 v2, s0, v2 :: v_dual_lshrrev_b32 v3, 16, v147
	v_dual_mov_b32 v5, 0 :: v_dual_lshrrev_b32 v9, 16, v32
	v_cvt_f32_f16_e64 v6, v147
	s_delay_alu instid0(VALU_DEP_3) | instskip(NEXT) | instid1(VALU_DEP_4)
	v_lshl_add_u32 v4, v2, 7, v123
	v_cvt_f32_f16_e32 v7, v3
	v_cvt_f32_f16_e32 v8, v32
	;; [unrolled: 1-line block ×3, first 2 shown]
	s_delay_alu instid0(VALU_DEP_4) | instskip(NEXT) | instid1(VALU_DEP_4)
	v_lshl_add_u64 v[10:11], v[4:5], 2, s[16:17]
	v_pk_mul_f32 v[4:5], v[0:1], v[6:7] op_sel_hi:[0,1]
	s_delay_alu instid0(VALU_DEP_3)
	v_pk_mul_f32 v[6:7], v[0:1], v[8:9] op_sel_hi:[0,1]
	global_store_b128 v[10:11], v[4:7], off
	s_wait_xcnt 0x0
	s_and_b32 exec_lo, exec_lo, s2
	s_cbranch_execz .LBB73_55
; %bb.54:
	v_mov_b32_e32 v0, v115
	global_store_b64 v2, v[0:1], s[18:19] scale_offset
.LBB73_55:
	s_sendmsg sendmsg(MSG_DEALLOC_VGPRS)
	s_endpgm
	.section	.rodata,"a",@progbits
	.p2align	6, 0x0
	.amdhsa_kernel _ZL15flash_attn_tileILi128ELi128ELi2ELi8ELb1EEvPKcS1_S1_S1_S1_PKiPfP15HIP_vector_typeIfLj2EEffffjfiS5_IjLj3EEiiiiiiiiiiiliiliiiiil
		.amdhsa_group_segment_fixed_size 43008
		.amdhsa_private_segment_fixed_size 0
		.amdhsa_kernarg_size 464
		.amdhsa_user_sgpr_count 2
		.amdhsa_user_sgpr_dispatch_ptr 0
		.amdhsa_user_sgpr_queue_ptr 0
		.amdhsa_user_sgpr_kernarg_segment_ptr 1
		.amdhsa_user_sgpr_dispatch_id 0
		.amdhsa_user_sgpr_kernarg_preload_length 0
		.amdhsa_user_sgpr_kernarg_preload_offset 0
		.amdhsa_user_sgpr_private_segment_size 0
		.amdhsa_wavefront_size32 1
		.amdhsa_uses_dynamic_stack 0
		.amdhsa_enable_private_segment 0
		.amdhsa_system_sgpr_workgroup_id_x 1
		.amdhsa_system_sgpr_workgroup_id_y 1
		.amdhsa_system_sgpr_workgroup_id_z 1
		.amdhsa_system_sgpr_workgroup_info 0
		.amdhsa_system_vgpr_workitem_id 1
		.amdhsa_next_free_vgpr 227
		.amdhsa_next_free_sgpr 42
		.amdhsa_named_barrier_count 0
		.amdhsa_reserve_vcc 1
		.amdhsa_float_round_mode_32 0
		.amdhsa_float_round_mode_16_64 0
		.amdhsa_float_denorm_mode_32 3
		.amdhsa_float_denorm_mode_16_64 3
		.amdhsa_fp16_overflow 0
		.amdhsa_memory_ordered 1
		.amdhsa_forward_progress 1
		.amdhsa_inst_pref_size 141
		.amdhsa_round_robin_scheduling 0
		.amdhsa_exception_fp_ieee_invalid_op 0
		.amdhsa_exception_fp_denorm_src 0
		.amdhsa_exception_fp_ieee_div_zero 0
		.amdhsa_exception_fp_ieee_overflow 0
		.amdhsa_exception_fp_ieee_underflow 0
		.amdhsa_exception_fp_ieee_inexact 0
		.amdhsa_exception_int_div_zero 0
	.end_amdhsa_kernel
	.section	.text._ZL15flash_attn_tileILi128ELi128ELi2ELi8ELb1EEvPKcS1_S1_S1_S1_PKiPfP15HIP_vector_typeIfLj2EEffffjfiS5_IjLj3EEiiiiiiiiiiiliiliiiiil,"axG",@progbits,_ZL15flash_attn_tileILi128ELi128ELi2ELi8ELb1EEvPKcS1_S1_S1_S1_PKiPfP15HIP_vector_typeIfLj2EEffffjfiS5_IjLj3EEiiiiiiiiiiiliiliiiiil,comdat
.Lfunc_end73:
	.size	_ZL15flash_attn_tileILi128ELi128ELi2ELi8ELb1EEvPKcS1_S1_S1_S1_PKiPfP15HIP_vector_typeIfLj2EEffffjfiS5_IjLj3EEiiiiiiiiiiiliiliiiiil, .Lfunc_end73-_ZL15flash_attn_tileILi128ELi128ELi2ELi8ELb1EEvPKcS1_S1_S1_S1_PKiPfP15HIP_vector_typeIfLj2EEffffjfiS5_IjLj3EEiiiiiiiiiiiliiliiiiil
                                        ; -- End function
	.set _ZL15flash_attn_tileILi128ELi128ELi2ELi8ELb1EEvPKcS1_S1_S1_S1_PKiPfP15HIP_vector_typeIfLj2EEffffjfiS5_IjLj3EEiiiiiiiiiiiliiliiiiil.num_vgpr, 227
	.set _ZL15flash_attn_tileILi128ELi128ELi2ELi8ELb1EEvPKcS1_S1_S1_S1_PKiPfP15HIP_vector_typeIfLj2EEffffjfiS5_IjLj3EEiiiiiiiiiiiliiliiiiil.num_agpr, 0
	.set _ZL15flash_attn_tileILi128ELi128ELi2ELi8ELb1EEvPKcS1_S1_S1_S1_PKiPfP15HIP_vector_typeIfLj2EEffffjfiS5_IjLj3EEiiiiiiiiiiiliiliiiiil.numbered_sgpr, 42
	.set _ZL15flash_attn_tileILi128ELi128ELi2ELi8ELb1EEvPKcS1_S1_S1_S1_PKiPfP15HIP_vector_typeIfLj2EEffffjfiS5_IjLj3EEiiiiiiiiiiiliiliiiiil.num_named_barrier, 0
	.set _ZL15flash_attn_tileILi128ELi128ELi2ELi8ELb1EEvPKcS1_S1_S1_S1_PKiPfP15HIP_vector_typeIfLj2EEffffjfiS5_IjLj3EEiiiiiiiiiiiliiliiiiil.private_seg_size, 0
	.set _ZL15flash_attn_tileILi128ELi128ELi2ELi8ELb1EEvPKcS1_S1_S1_S1_PKiPfP15HIP_vector_typeIfLj2EEffffjfiS5_IjLj3EEiiiiiiiiiiiliiliiiiil.uses_vcc, 1
	.set _ZL15flash_attn_tileILi128ELi128ELi2ELi8ELb1EEvPKcS1_S1_S1_S1_PKiPfP15HIP_vector_typeIfLj2EEffffjfiS5_IjLj3EEiiiiiiiiiiiliiliiiiil.uses_flat_scratch, 0
	.set _ZL15flash_attn_tileILi128ELi128ELi2ELi8ELb1EEvPKcS1_S1_S1_S1_PKiPfP15HIP_vector_typeIfLj2EEffffjfiS5_IjLj3EEiiiiiiiiiiiliiliiiiil.has_dyn_sized_stack, 0
	.set _ZL15flash_attn_tileILi128ELi128ELi2ELi8ELb1EEvPKcS1_S1_S1_S1_PKiPfP15HIP_vector_typeIfLj2EEffffjfiS5_IjLj3EEiiiiiiiiiiiliiliiiiil.has_recursion, 0
	.set _ZL15flash_attn_tileILi128ELi128ELi2ELi8ELb1EEvPKcS1_S1_S1_S1_PKiPfP15HIP_vector_typeIfLj2EEffffjfiS5_IjLj3EEiiiiiiiiiiiliiliiiiil.has_indirect_call, 0
	.section	.AMDGPU.csdata,"",@progbits
; Kernel info:
; codeLenInByte = 17940
; TotalNumSgprs: 44
; NumVgprs: 227
; ScratchSize: 0
; MemoryBound: 0
; FloatMode: 240
; IeeeMode: 1
; LDSByteSize: 43008 bytes/workgroup (compile time only)
; SGPRBlocks: 0
; VGPRBlocks: 14
; NumSGPRsForWavesPerEU: 44
; NumVGPRsForWavesPerEU: 227
; NamedBarCnt: 0
; Occupancy: 4
; WaveLimiterHint : 1
; COMPUTE_PGM_RSRC2:SCRATCH_EN: 0
; COMPUTE_PGM_RSRC2:USER_SGPR: 2
; COMPUTE_PGM_RSRC2:TRAP_HANDLER: 0
; COMPUTE_PGM_RSRC2:TGID_X_EN: 1
; COMPUTE_PGM_RSRC2:TGID_Y_EN: 1
; COMPUTE_PGM_RSRC2:TGID_Z_EN: 1
; COMPUTE_PGM_RSRC2:TIDIG_COMP_CNT: 1
	.section	.text._ZL15flash_attn_tileILi128ELi128ELi1ELi8ELb1EEvPKcS1_S1_S1_S1_PKiPfP15HIP_vector_typeIfLj2EEffffjfiS5_IjLj3EEiiiiiiiiiiiliiliiiiil,"axG",@progbits,_ZL15flash_attn_tileILi128ELi128ELi1ELi8ELb1EEvPKcS1_S1_S1_S1_PKiPfP15HIP_vector_typeIfLj2EEffffjfiS5_IjLj3EEiiiiiiiiiiiliiliiiiil,comdat
	.globl	_ZL15flash_attn_tileILi128ELi128ELi1ELi8ELb1EEvPKcS1_S1_S1_S1_PKiPfP15HIP_vector_typeIfLj2EEffffjfiS5_IjLj3EEiiiiiiiiiiiliiliiiiil ; -- Begin function _ZL15flash_attn_tileILi128ELi128ELi1ELi8ELb1EEvPKcS1_S1_S1_S1_PKiPfP15HIP_vector_typeIfLj2EEffffjfiS5_IjLj3EEiiiiiiiiiiiliiliiiiil
	.p2align	8
	.type	_ZL15flash_attn_tileILi128ELi128ELi1ELi8ELb1EEvPKcS1_S1_S1_S1_PKiPfP15HIP_vector_typeIfLj2EEffffjfiS5_IjLj3EEiiiiiiiiiiiliiliiiiil,@function
_ZL15flash_attn_tileILi128ELi128ELi1ELi8ELb1EEvPKcS1_S1_S1_S1_PKiPfP15HIP_vector_typeIfLj2EEffffjfiS5_IjLj3EEiiiiiiiiiiiliiliiiiil: ; @_ZL15flash_attn_tileILi128ELi128ELi1ELi8ELb1EEvPKcS1_S1_S1_S1_PKiPfP15HIP_vector_typeIfLj2EEffffjfiS5_IjLj3EEiiiiiiiiiiiliiliiiiil
; %bb.0:
	s_clause 0x1
	s_load_b128 s[20:23], s[0:1], 0x5c
	s_load_b64 s[30:31], s[0:1], 0x80
	s_bfe_u32 s5, ttmp6, 0x40014
	s_lshr_b32 s4, ttmp7, 16
	s_add_co_i32 s5, s5, 1
	s_bfe_u32 s6, ttmp6, 0x40008
	s_mul_i32 s5, s4, s5
	s_load_b64 s[36:37], s[0:1], 0xb8
	s_add_co_i32 s6, s6, s5
	s_mov_b64 s[34:35], 0
	s_wait_kmcnt 0x0
	s_ashr_i32 s2, s23, 31
	s_delay_alu instid0(SALU_CYCLE_1) | instskip(NEXT) | instid1(SALU_CYCLE_1)
	s_lshr_b32 s2, s2, 29
	s_add_co_i32 s2, s23, s2
	s_delay_alu instid0(SALU_CYCLE_1) | instskip(NEXT) | instid1(SALU_CYCLE_1)
	s_ashr_i32 s3, s2, 3
	s_cvt_f32_u32 s2, s3
	s_sub_co_i32 s8, 0, s3
	s_delay_alu instid0(SALU_CYCLE_2) | instskip(SKIP_1) | instid1(TRANS32_DEP_1)
	v_rcp_iflag_f32_e32 v1, s2
	v_nop
	v_readfirstlane_b32 s2, v1
	s_mul_f32 s2, s2, 0x4f7ffffe
	s_delay_alu instid0(SALU_CYCLE_3) | instskip(SKIP_1) | instid1(SALU_CYCLE_2)
	s_cvt_u32_f32 s7, s2
	s_getreg_b32 s2, hwreg(HW_REG_IB_STS2, 6, 4)
	s_mul_i32 s8, s8, s7
	s_delay_alu instid0(SALU_CYCLE_1) | instskip(NEXT) | instid1(SALU_CYCLE_1)
	s_mul_hi_u32 s8, s7, s8
	s_add_co_i32 s7, s7, s8
	s_cmp_eq_u32 s2, 0
	s_cselect_b32 s4, s4, s6
	s_delay_alu instid0(SALU_CYCLE_1) | instskip(NEXT) | instid1(SALU_CYCLE_1)
	s_mul_hi_u32 s5, s4, s7
	s_mul_i32 s6, s5, s3
	s_add_co_i32 s7, s5, 1
	s_sub_co_i32 s6, s4, s6
	s_delay_alu instid0(SALU_CYCLE_1)
	s_sub_co_i32 s8, s6, s3
	s_cmp_ge_u32 s6, s3
	s_cselect_b32 s5, s7, s5
	s_cselect_b32 s6, s8, s6
	s_add_co_i32 s7, s5, 1
	s_cmp_ge_u32 s6, s3
	s_cselect_b32 s28, s7, s5
	s_abs_i32 s3, s31
	s_lshl_b32 s4, s4, 3
	s_cvt_f32_u32 s5, s3
	s_sub_co_i32 s6, 0, s3
	s_mul_i32 s7, s28, s23
	s_abs_i32 s8, s23
	v_rcp_iflag_f32_e32 v1, s5
	s_sub_co_i32 s33, s4, s7
	v_nop
	s_delay_alu instid0(TRANS32_DEP_1) | instskip(SKIP_1) | instid1(SALU_CYCLE_3)
	v_readfirstlane_b32 s5, v1
	s_mul_f32 s5, s5, 0x4f7ffffe
	s_cvt_u32_f32 s5, s5
	s_delay_alu instid0(SALU_CYCLE_3) | instskip(NEXT) | instid1(SALU_CYCLE_1)
	s_mul_i32 s6, s6, s5
	s_mul_hi_u32 s6, s5, s6
	s_delay_alu instid0(SALU_CYCLE_1) | instskip(NEXT) | instid1(SALU_CYCLE_1)
	s_add_co_i32 s5, s5, s6
	s_mul_hi_u32 s4, s8, s5
	s_xor_b32 s5, s23, s31
	s_mul_i32 s6, s4, s3
	s_ashr_i32 s24, s5, 31
	s_sub_co_i32 s5, s8, s6
	s_add_co_i32 s6, s4, 1
	s_sub_co_i32 s7, s5, s3
	s_cmp_ge_u32 s5, s3
	s_cselect_b32 s4, s6, s4
	s_cselect_b32 s5, s7, s5
	s_add_co_i32 s6, s4, 1
	s_cmp_ge_u32 s5, s3
	s_cselect_b32 s3, s6, s4
	s_load_b512 s[4:19], s[0:1], 0x0
	s_xor_b32 s3, s3, s24
	s_delay_alu instid0(SALU_CYCLE_1) | instskip(NEXT) | instid1(SALU_CYCLE_1)
	s_sub_co_i32 s29, s3, s24
	s_abs_i32 s38, s29
	s_delay_alu instid0(SALU_CYCLE_1) | instskip(NEXT) | instid1(SALU_CYCLE_3)
	s_cvt_f32_u32 s3, s38
	v_rcp_iflag_f32_e32 v1, s3
	s_mov_b32 s3, 0
	v_nop
	s_delay_alu instid0(TRANS32_DEP_1)
	v_readfirstlane_b32 s27, v1
	s_wait_kmcnt 0x0
	s_cmp_eq_u64 s[10:11], 0
	s_cbranch_scc1 .LBB74_2
; %bb.1:
	s_abs_i32 s26, s36
	s_abs_i32 s31, s28
	s_cvt_f32_u32 s24, s26
	s_sub_co_i32 s25, 0, s26
	s_delay_alu instid0(SALU_CYCLE_2) | instskip(SKIP_1) | instid1(TRANS32_DEP_1)
	v_rcp_iflag_f32_e32 v1, s24
	v_nop
	v_readfirstlane_b32 s24, v1
	s_mul_f32 s24, s24, 0x4f7ffffe
	s_delay_alu instid0(SALU_CYCLE_3) | instskip(NEXT) | instid1(SALU_CYCLE_3)
	s_cvt_u32_f32 s24, s24
	s_mul_i32 s25, s25, s24
	s_delay_alu instid0(SALU_CYCLE_1) | instskip(NEXT) | instid1(SALU_CYCLE_1)
	s_mul_hi_u32 s25, s24, s25
	s_add_co_i32 s24, s24, s25
	s_delay_alu instid0(SALU_CYCLE_1) | instskip(SKIP_2) | instid1(SALU_CYCLE_1)
	s_mul_hi_u32 s34, s31, s24
	s_load_b64 s[24:25], s[0:1], 0xc8
	s_mul_i32 s34, s34, s26
	s_sub_co_i32 s31, s31, s34
	s_ashr_i32 s34, s28, 31
	s_sub_co_i32 s35, s31, s26
	s_cmp_ge_u32 s31, s26
	s_cselect_b32 s31, s35, s31
	s_delay_alu instid0(SALU_CYCLE_1) | instskip(SKIP_2) | instid1(SALU_CYCLE_1)
	s_sub_co_i32 s35, s31, s26
	s_cmp_ge_u32 s31, s26
	s_cselect_b32 s26, s35, s31
	s_xor_b32 s26, s26, s34
	s_delay_alu instid0(SALU_CYCLE_1) | instskip(NEXT) | instid1(SALU_CYCLE_1)
	s_sub_co_i32 s34, s26, s34
	s_ashr_i32 s35, s34, 31
	s_wait_kmcnt 0x0
	s_mul_u64 s[24:25], s[24:25], s[34:35]
	s_delay_alu instid0(SALU_CYCLE_1)
	s_add_nc_u64 s[34:35], s[10:11], s[24:25]
.LBB74_2:
	s_bfe_u32 s10, ttmp6, 0x4000c
	v_dual_lshrrev_b32 v1, 10, v0 :: v_dual_mov_b32 v3, 0
	s_add_co_i32 s10, s10, 1
	s_and_b32 s11, ttmp6, 15
	s_mul_i32 s10, ttmp9, s10
	s_delay_alu instid0(VALU_DEP_1) | instskip(SKIP_4) | instid1(SALU_CYCLE_1)
	v_bfe_u32 v1, v1, 2, 8
	s_add_co_i32 s11, s11, s10
	s_cmp_eq_u32 s2, 0
	s_load_b96 s[24:26], s[0:1], 0x70
	s_cselect_b32 s10, ttmp9, s11
	v_dual_mov_b32 v53, v3 :: v_dual_add_nc_u32 v78, s10, v1
	v_dual_mov_b32 v9, v3 :: v_dual_mov_b32 v13, v3
	s_delay_alu instid0(VALU_DEP_2) | instskip(NEXT) | instid1(VALU_DEP_1)
	v_mul_hi_u32 v1, s20, v78
	v_add_nc_u32_e32 v1, v78, v1
	s_wait_kmcnt 0x0
	s_mul_i32 s20, s33, s25
	s_ashr_i32 s41, s25, 31
	s_mov_b32 s40, s25
	s_ashr_i32 s25, s24, 31
	v_lshrrev_b32_e32 v1, s21, v1
	s_lshr_b64 s[24:25], s[24:25], 2
	s_ashr_i32 s21, s20, 31
	s_delay_alu instid0(VALU_DEP_1) | instskip(NEXT) | instid1(VALU_DEP_1)
	v_mul_lo_u32 v1, v1, s22
	v_sub_nc_u32_e32 v2, v78, v1
	v_bfe_u32 v1, v0, 10, 10
	s_delay_alu instid0(VALU_DEP_1) | instskip(NEXT) | instid1(VALU_DEP_3)
	v_lshlrev_b32_e32 v4, 1, v1
	v_mul_u64_e32 v[6:7], s[24:25], v[2:3]
	s_lshr_b64 s[24:25], s[40:41], 2
	s_delay_alu instid0(VALU_DEP_2) | instskip(SKIP_2) | instid1(VALU_DEP_3)
	v_and_b32_e32 v52, 6, v4
	v_bitop3_b32 v8, v4, 7, 1 bitop3:0xc8
	v_or_b32_e32 v5, 1, v4
	v_mul_u64_e32 v[10:11], s[24:25], v[52:53]
	s_delay_alu instid0(VALU_DEP_3)
	v_mul_u64_e32 v[8:9], s[24:25], v[8:9]
	s_mul_i32 s24, s28, s26
	v_and_b32_e32 v53, 0x3ff, v0
	s_ashr_i32 s25, s24, 31
	s_cmp_eq_u64 s[14:15], 0
	s_add_nc_u64 s[4:5], s[4:5], s[24:25]
	s_delay_alu instid0(SALU_CYCLE_1) | instskip(SKIP_1) | instid1(VALU_DEP_1)
	s_add_nc_u64 s[4:5], s[4:5], s[20:21]
	v_dual_lshlrev_b32 v12, 4, v53 :: v_dual_lshlrev_b32 v80, 3, v53
	v_add_nc_u32_e32 v3, 0x2400, v80
	v_lshl_add_u64 v[6:7], v[6:7], 2, s[4:5]
	s_load_b32 s4, s[0:1], 0x40
	s_delay_alu instid0(VALU_DEP_1) | instskip(NEXT) | instid1(VALU_DEP_1)
	v_add_nc_u64_e32 v[6:7], v[6:7], v[12:13]
	v_lshl_add_u64 v[14:15], v[10:11], 2, v[6:7]
	v_lshl_add_u64 v[16:17], v[8:9], 2, v[6:7]
	s_clause 0x1
	global_load_b128 v[6:9], v[14:15], off
	global_load_b128 v[10:13], v[16:17], off
	s_wait_loadcnt 0x1
	s_wait_kmcnt 0x0
	v_fma_mixlo_f16 v6, s4, v6, 0
	v_fma_mixlo_f16 v7, s4, v7, 0
	s_wait_loadcnt 0x0
	v_fma_mixlo_f16 v10, s4, v10, 0
	v_fma_mixlo_f16 v11, s4, v11, 0
	v_lshlrev_b32_e32 v0, 9, v1
	v_fma_mixlo_f16 v8, s4, v8, 0
	v_fma_mixlo_f16 v9, s4, v9, 0
	v_lshlrev_b32_e32 v7, 16, v7
	v_and_b32_e32 v6, 0xffff, v6
	v_fma_mixlo_f16 v12, s4, v12, 0
	v_fma_mixlo_f16 v13, s4, v13, 0
	v_lshlrev_b32_e32 v11, 16, v11
	v_and_b32_e32 v10, 0xffff, v10
	v_dual_add_nc_u32 v14, v3, v0 :: v_dual_lshlrev_b32 v9, 16, v9
	v_and_b32_e32 v8, 0xffff, v8
	v_dual_lshlrev_b32 v13, 16, v13 :: v_dual_bitop2_b32 v6, v7, v6 bitop3:0x54
	v_and_b32_e32 v12, 0xffff, v12
	v_or_b32_e32 v10, v11, v10
	s_delay_alu instid0(VALU_DEP_4) | instskip(NEXT) | instid1(VALU_DEP_4)
	v_or3_b32 v7, v9, v8, 0
	v_or3_b32 v6, 0, 0, v6
	v_lshl_add_u32 v3, v5, 8, v3
	v_or3_b32 v9, v13, v12, 0
	v_or3_b32 v8, 0, 0, v10
	ds_store_b64 v14, v[6:7]
	ds_store_b64 v3, v[8:9]
	s_wait_dscnt 0x0
	s_barrier_signal -1
	s_barrier_wait -1
	s_cbranch_scc1 .LBB74_4
; %bb.3:
	s_load_b32 s4, s[0:1], 0xd0
	s_wait_kmcnt 0x0
	s_mul_i32 s4, s4, s28
	s_delay_alu instid0(SALU_CYCLE_1)
	s_add_co_i32 s4, s4, s10
	s_load_b32 s30, s[14:15], s4 offset:0x0 scale_offset
.LBB74_4:
	s_wait_xcnt 0x0
	s_bfe_u32 s4, ttmp6, 0x40010
	s_and_b32 s5, ttmp7, 0xffff
	s_add_co_i32 s4, s4, 1
	s_bfe_u32 s10, ttmp6, 0x40004
	s_mul_i32 s4, s5, s4
	v_mbcnt_lo_u32_b32 v81, -1, 0
	s_add_co_i32 s10, s10, s4
	s_cmp_eq_u32 s2, 0
	s_mov_b32 s2, 0
	s_cselect_b32 s31, s5, s10
	s_delay_alu instid0(SALU_CYCLE_1)
	s_lshl_b32 s10, s31, 6
	s_wait_kmcnt 0x0
	s_cmp_lt_i32 s10, s30
	s_cbranch_scc1 .LBB74_7
; %bb.5:
	v_mbcnt_lo_u32_b32 v3, -1, 0
	s_delay_alu instid0(VALU_DEP_1)
	v_dual_mov_b32 v82, 32 :: v_dual_bitop2_b32 v99, 16, v3 bitop3:0x14
	v_xor_b32_e32 v95, 8, v3
	v_xor_b32_e32 v96, 4, v3
	;; [unrolled: 1-line block ×3, first 2 shown]
	v_dual_lshlrev_b32 v79, 2, v53 :: v_dual_bitop2_b32 v98, 1, v3 bitop3:0x14
	s_and_not1_b32 vcc_lo, exec_lo, s2
	s_cbranch_vccz .LBB74_8
; %bb.6:
	v_dual_mov_b32 v57, 0 :: v_dual_mov_b32 v24, 0
	v_dual_mov_b32 v77, 0xfeffffff :: v_dual_mov_b32 v76, 0xfeffffff
	s_delay_alu instid0(VALU_DEP_2)
	v_dual_mov_b32 v25, 0 :: v_dual_mov_b32 v56, v57
	v_dual_mov_b32 v22, 0 :: v_dual_mov_b32 v23, 0
	s_branch .LBB74_28
.LBB74_7:
                                        ; implicit-def: $vgpr3
                                        ; implicit-def: $vgpr82
                                        ; implicit-def: $vgpr99
                                        ; implicit-def: $vgpr95
                                        ; implicit-def: $vgpr96
                                        ; implicit-def: $vgpr97
                                        ; implicit-def: $vgpr98
	v_lshlrev_b32_e32 v79, 2, v53
.LBB74_8:
	s_mul_f32 s2, s27, 0x4f7ffffe
	s_clause 0x1
	s_load_b128 s[24:27], s[0:1], 0x98
	s_load_b64 s[4:5], s[0:1], 0x8c
	s_sub_co_i32 s11, 0, s38
	s_mov_b32 s15, s3
	s_cvt_u32_f32 s14, s2
	s_abs_i32 s2, s33
	s_ashr_i32 s20, s33, 31
	s_ashr_i32 s21, s29, 31
	s_mul_i32 s11, s11, s14
	s_ashr_i32 s39, s37, 1
	s_mul_hi_u32 s11, s14, s11
	s_load_b64 s[36:37], s[0:1], 0xa8
	s_add_co_i32 s14, s14, s11
	s_ashr_i32 s29, s28, 31
	s_mul_u64 s[14:15], s[2:3], s[14:15]
	s_xor_b32 s11, s20, s21
	s_mul_i32 s3, s15, s38
	v_dual_lshrrev_b32 v3, 3, v53 :: v_dual_bitop2_b32 v6, 28, v79 bitop3:0x40
	s_sub_co_i32 s2, s2, s3
	s_wait_kmcnt 0x0
	s_ashr_i32 s14, s26, 2
	s_ashr_i32 s20, s4, 2
	s_add_co_i32 s3, s15, 1
	s_sub_co_i32 s4, s2, s38
	s_cmp_ge_u32 s2, s38
	v_lshl_add_u32 v3, v1, 2, v3
	s_cselect_b32 s3, s3, s15
	s_cselect_b32 s2, s4, s2
	s_add_co_i32 s4, s3, 1
	s_cmp_ge_u32 s2, s38
	v_mul_lo_u32 v54, s20, v3
	s_cselect_b32 s2, s4, s3
	v_dual_lshrrev_b32 v5, 4, v53 :: v_dual_lshlrev_b32 v7, 2, v6
	s_xor_b32 s2, s2, s11
	v_mov_b32_e32 v61, 0
	s_sub_co_i32 s11, s2, s11
	s_mul_u64 s[2:3], s[24:25], s[28:29]
	s_mul_i32 s4, s11, s5
	s_add_nc_u64 s[2:3], s[6:7], s[2:3]
	s_ashr_i32 s5, s4, 31
	s_load_b32 s7, s[0:1], 0x54
	s_add_nc_u64 s[24:25], s[2:3], s[4:5]
	s_mul_u64 s[2:3], s[36:37], s[28:29]
	s_mul_i32 s4, s11, s27
	s_add_nc_u64 s[2:3], s[8:9], s[2:3]
	s_ashr_i32 s5, s4, 31
	v_mad_u32_u24 v83, 0x90, v3, v7
	s_add_nc_u64 s[8:9], s[2:3], s[4:5]
	s_lshl_b32 s2, s20, 4
	s_delay_alu instid0(SALU_CYCLE_1) | instskip(SKIP_2) | instid1(VALU_DEP_3)
	v_dual_add_nc_u32 v5, v5, v4 :: v_dual_add_nc_u32 v58, s2, v54
	v_ashrrev_i32_e32 v55, 31, v54
	v_dual_mov_b32 v22, v61 :: v_dual_add_nc_u32 v87, 0x2400, v0
	v_mul_lo_u32 v4, s14, v5
	s_delay_alu instid0(VALU_DEP_4) | instskip(SKIP_3) | instid1(VALU_DEP_4)
	v_dual_add_nc_u32 v62, s2, v58 :: v_dual_ashrrev_i32 v59, 31, v58
	v_and_b32_e32 v8, 60, v79
	v_mad_u32 v90, v2, s39, v53
	v_lshl_add_u32 v91, v1, 8, 0x2c00
	v_dual_ashrrev_i32 v63, 31, v62 :: v_dual_add_nc_u32 v64, s2, v62
	s_delay_alu instid0(VALU_DEP_4) | instskip(SKIP_3) | instid1(VALU_DEP_3)
	v_lshlrev_b32_e32 v3, 2, v8
	s_lshl_b32 s2, s14, 3
	v_dual_mov_b32 v67, v61 :: v_dual_add_nc_u32 v84, 0x900, v83
	v_add_nc_u32_e32 v10, s2, v4
	v_lshl_or_b32 v89, v5, 8, v3
	v_ashrrev_i32_e32 v5, 31, v4
	v_ashrrev_i32_e32 v65, 31, v64
	v_dual_mov_b32 v82, 32 :: v_dual_add_nc_u32 v85, 0x1200, v83
	v_dual_add_nc_u32 v0, s2, v10 :: v_dual_ashrrev_i32 v11, 31, v10
	s_delay_alu instid0(VALU_DEP_4) | instskip(SKIP_1) | instid1(VALU_DEP_3)
	v_lshlrev_b64_e32 v[68:69], 2, v[4:5]
	v_dual_mov_b32 v23, v61 :: v_dual_add_nc_u32 v86, 0x1b00, v83
	v_dual_add_nc_u32 v2, s2, v0 :: v_dual_ashrrev_i32 v1, 31, v0
	s_delay_alu instid0(VALU_DEP_4) | instskip(SKIP_2) | instid1(VALU_DEP_4)
	v_lshlrev_b64_e32 v[70:71], 2, v[10:11]
	v_mul_u32_u24_e32 v88, 0x90, v53
	v_dual_mov_b32 v25, v61 :: v_dual_add_nc_u32 v92, 0x800, v89
	v_ashrrev_i32_e32 v3, 31, v2
	v_lshlrev_b64_e32 v[72:73], 2, v[0:1]
	v_dual_mov_b32 v24, v61 :: v_dual_add_nc_u32 v93, 0x1000, v89
	v_dual_mov_b32 v57, v61 :: v_dual_add_nc_u32 v94, 0x1800, v89
	s_delay_alu instid0(VALU_DEP_4)
	v_lshlrev_b64_e32 v[74:75], 2, v[2:3]
	v_dual_mov_b32 v17, 0xfeffffff :: v_dual_lshlrev_b32 v66, 2, v6
	v_dual_lshlrev_b32 v60, 2, v8 :: v_dual_mov_b32 v56, v61
	v_mov_b32_e32 v16, 0xfeffffff
	s_ashr_i32 s21, s20, 31
	s_ashr_i32 s15, s14, 31
	s_add_nc_u64 s[26:27], s[0:1], 0xd0
	s_mov_b32 s29, 0xbbbac73d
.LBB74_9:                               ; =>This Inner Loop Header: Depth=1
	s_ashr_i32 s11, s10, 31
	v_mov_b32_e32 v36, 0
	s_mul_u64 s[2:3], s[10:11], s[20:21]
	v_mov_b32_e32 v37, 0
	s_lshl_b64 s[2:3], s[2:3], 2
	s_delay_alu instid0(SALU_CYCLE_1) | instskip(NEXT) | instid1(SALU_CYCLE_1)
	s_add_nc_u64 s[2:3], s[24:25], s[2:3]
	v_lshl_add_u64 v[0:1], v[54:55], 2, s[2:3]
	v_lshl_add_u64 v[2:3], v[58:59], 2, s[2:3]
	;; [unrolled: 1-line block ×4, first 2 shown]
	s_delay_alu instid0(VALU_DEP_4) | instskip(NEXT) | instid1(VALU_DEP_4)
	v_add_nc_u64_e32 v[6:7], v[0:1], v[66:67]
	v_add_nc_u64_e32 v[4:5], v[2:3], v[66:67]
	s_delay_alu instid0(VALU_DEP_4) | instskip(NEXT) | instid1(VALU_DEP_4)
	v_add_nc_u64_e32 v[2:3], v[8:9], v[66:67]
	v_add_nc_u64_e32 v[0:1], v[10:11], v[66:67]
	s_clause 0x3
	global_load_b128 v[8:11], v[6:7], off
	global_load_b128 v[12:15], v[4:5], off
	;; [unrolled: 1-line block ×4, first 2 shown]
	s_wait_loadcnt 0x3
	ds_store_b128 v83, v[8:11]
	s_wait_loadcnt 0x2
	ds_store_b128 v84, v[12:15]
	;; [unrolled: 2-line block ×4, first 2 shown]
	s_wait_dscnt 0x0
	s_barrier_signal -1
	s_barrier_wait -1
	ds_load_b128 v[10:13], v88
	ds_load_b128 v[18:21], v87
	ds_load_b128 v[26:29], v87 offset:256
	ds_load_b128 v[30:33], v88 offset:4608
	v_dual_mov_b32 v8, 0 :: v_dual_mov_b32 v9, 0
	s_wait_dscnt 0x2
	;;#ASMSTART
	v_dot2_f32_f16 v8, v10, v18, v8
	;;#ASMEND
	;;#ASMSTART
	v_dot2_f32_f16 v8, v11, v19, v8
	;;#ASMEND
	;;#ASMSTART
	v_dot2_f32_f16 v8, v12, v20, v8
	;;#ASMEND
	;;#ASMSTART
	v_dot2_f32_f16 v8, v13, v21, v8
	;;#ASMEND
	s_wait_dscnt 0x1
	;;#ASMSTART
	v_dot2_f32_f16 v36, v10, v26, v36
	;;#ASMEND
	;;#ASMSTART
	v_dot2_f32_f16 v36, v11, v27, v36
	;;#ASMEND
	;;#ASMSTART
	v_dot2_f32_f16 v36, v12, v28, v36
	;;#ASMEND
	;;#ASMSTART
	v_dot2_f32_f16 v36, v13, v29, v36
	;;#ASMEND
	s_wait_dscnt 0x0
	;;#ASMSTART
	v_dot2_f32_f16 v9, v30, v18, v9
	;;#ASMEND
	;;#ASMSTART
	v_dot2_f32_f16 v9, v31, v19, v9
	;;#ASMEND
	;;#ASMSTART
	v_dot2_f32_f16 v9, v32, v20, v9
	;;#ASMEND
	;;#ASMSTART
	v_dot2_f32_f16 v9, v33, v21, v9
	;;#ASMEND
	;;#ASMSTART
	v_dot2_f32_f16 v37, v30, v26, v37
	;;#ASMEND
	;;#ASMSTART
	v_dot2_f32_f16 v37, v31, v27, v37
	;;#ASMEND
	;;#ASMSTART
	v_dot2_f32_f16 v37, v32, v28, v37
	;;#ASMEND
	;;#ASMSTART
	v_dot2_f32_f16 v37, v33, v29, v37
	;;#ASMEND
	ds_load_b128 v[10:13], v88 offset:16
	ds_load_b128 v[18:21], v87 offset:16
	ds_load_b128 v[26:29], v87 offset:272
	ds_load_b128 v[30:33], v88 offset:4624
	s_wait_dscnt 0x2
	;;#ASMSTART
	v_dot2_f32_f16 v8, v10, v18, v8
	;;#ASMEND
	;;#ASMSTART
	v_dot2_f32_f16 v8, v11, v19, v8
	;;#ASMEND
	;;#ASMSTART
	v_dot2_f32_f16 v8, v12, v20, v8
	;;#ASMEND
	;;#ASMSTART
	v_dot2_f32_f16 v8, v13, v21, v8
	;;#ASMEND
	s_wait_dscnt 0x1
	;;#ASMSTART
	v_dot2_f32_f16 v36, v10, v26, v36
	;;#ASMEND
	;;#ASMSTART
	v_dot2_f32_f16 v36, v11, v27, v36
	;;#ASMEND
	;;#ASMSTART
	v_dot2_f32_f16 v36, v12, v28, v36
	;;#ASMEND
	;;#ASMSTART
	v_dot2_f32_f16 v36, v13, v29, v36
	;;#ASMEND
	s_wait_dscnt 0x0
	;;#ASMSTART
	v_dot2_f32_f16 v9, v30, v18, v9
	;;#ASMEND
	;;#ASMSTART
	v_dot2_f32_f16 v9, v31, v19, v9
	;;#ASMEND
	;;#ASMSTART
	v_dot2_f32_f16 v9, v32, v20, v9
	;;#ASMEND
	;;#ASMSTART
	v_dot2_f32_f16 v9, v33, v21, v9
	;;#ASMEND
	;;#ASMSTART
	v_dot2_f32_f16 v37, v30, v26, v37
	;;#ASMEND
	;;#ASMSTART
	v_dot2_f32_f16 v37, v31, v27, v37
	;;#ASMEND
	;;#ASMSTART
	v_dot2_f32_f16 v37, v32, v28, v37
	;;#ASMEND
	;;#ASMSTART
	v_dot2_f32_f16 v37, v33, v29, v37
	;;#ASMEND
	ds_load_b128 v[10:13], v88 offset:32
	ds_load_b128 v[18:21], v87 offset:32
	ds_load_b128 v[26:29], v87 offset:288
	ds_load_b128 v[30:33], v88 offset:4640
	;; [unrolled: 55-line block ×7, first 2 shown]
	s_wait_dscnt 0x2
	;;#ASMSTART
	v_dot2_f32_f16 v8, v10, v18, v8
	;;#ASMEND
	;;#ASMSTART
	v_dot2_f32_f16 v8, v11, v19, v8
	;;#ASMEND
	;;#ASMSTART
	v_dot2_f32_f16 v8, v12, v20, v8
	;;#ASMEND
	;;#ASMSTART
	v_dot2_f32_f16 v8, v13, v21, v8
	;;#ASMEND
	s_wait_dscnt 0x1
	;;#ASMSTART
	v_dot2_f32_f16 v36, v10, v26, v36
	;;#ASMEND
	;;#ASMSTART
	v_dot2_f32_f16 v36, v11, v27, v36
	;;#ASMEND
	;;#ASMSTART
	v_dot2_f32_f16 v36, v12, v28, v36
	;;#ASMEND
	;;#ASMSTART
	v_dot2_f32_f16 v36, v13, v29, v36
	;;#ASMEND
	;; [unrolled: 13-line block ×3, first 2 shown]
	;;#ASMSTART
	v_dot2_f32_f16 v37, v30, v26, v37
	;;#ASMEND
	;;#ASMSTART
	v_dot2_f32_f16 v37, v31, v27, v37
	;;#ASMEND
	;;#ASMSTART
	v_dot2_f32_f16 v37, v32, v28, v37
	;;#ASMEND
	;;#ASMSTART
	v_dot2_f32_f16 v37, v33, v29, v37
	;;#ASMEND
	s_barrier_signal -1
	s_barrier_wait -1
	s_clause 0x3
	global_load_b128 v[10:13], v[6:7], off offset:128
	global_load_b128 v[4:7], v[4:5], off offset:128
	;; [unrolled: 1-line block ×4, first 2 shown]
	s_wait_loadcnt 0x3
	ds_store_b128 v83, v[10:13]
	s_wait_loadcnt 0x2
	ds_store_b128 v84, v[4:7]
	;; [unrolled: 2-line block ×4, first 2 shown]
	s_wait_dscnt 0x0
	s_barrier_signal -1
	s_barrier_wait -1
	ds_load_b128 v[0:3], v88
	ds_load_b128 v[4:7], v87 offset:128
	ds_load_b128 v[10:13], v87 offset:384
	ds_load_b128 v[18:21], v88 offset:4608
	s_wait_dscnt 0x2
	;;#ASMSTART
	v_dot2_f32_f16 v8, v0, v4, v8
	;;#ASMEND
	;;#ASMSTART
	v_dot2_f32_f16 v8, v1, v5, v8
	;;#ASMEND
	;;#ASMSTART
	v_dot2_f32_f16 v8, v2, v6, v8
	;;#ASMEND
	;;#ASMSTART
	v_dot2_f32_f16 v8, v3, v7, v8
	;;#ASMEND
	s_wait_dscnt 0x1
	;;#ASMSTART
	v_dot2_f32_f16 v36, v0, v10, v36
	;;#ASMEND
	;;#ASMSTART
	v_dot2_f32_f16 v36, v1, v11, v36
	;;#ASMEND
	;;#ASMSTART
	v_dot2_f32_f16 v36, v2, v12, v36
	;;#ASMEND
	;;#ASMSTART
	v_dot2_f32_f16 v36, v3, v13, v36
	;;#ASMEND
	s_wait_dscnt 0x0
	;;#ASMSTART
	v_dot2_f32_f16 v9, v18, v4, v9
	;;#ASMEND
	;;#ASMSTART
	v_dot2_f32_f16 v9, v19, v5, v9
	;;#ASMEND
	;;#ASMSTART
	v_dot2_f32_f16 v9, v20, v6, v9
	;;#ASMEND
	;;#ASMSTART
	v_dot2_f32_f16 v9, v21, v7, v9
	;;#ASMEND
	;;#ASMSTART
	v_dot2_f32_f16 v37, v18, v10, v37
	;;#ASMEND
	;;#ASMSTART
	v_dot2_f32_f16 v37, v19, v11, v37
	;;#ASMEND
	;;#ASMSTART
	v_dot2_f32_f16 v37, v20, v12, v37
	;;#ASMEND
	;;#ASMSTART
	v_dot2_f32_f16 v37, v21, v13, v37
	;;#ASMEND
	ds_load_b128 v[0:3], v88 offset:16
	ds_load_b128 v[4:7], v87 offset:144
	ds_load_b128 v[10:13], v87 offset:400
	ds_load_b128 v[18:21], v88 offset:4624
	s_wait_dscnt 0x2
	;;#ASMSTART
	v_dot2_f32_f16 v8, v0, v4, v8
	;;#ASMEND
	;;#ASMSTART
	v_dot2_f32_f16 v8, v1, v5, v8
	;;#ASMEND
	;;#ASMSTART
	v_dot2_f32_f16 v8, v2, v6, v8
	;;#ASMEND
	;;#ASMSTART
	v_dot2_f32_f16 v8, v3, v7, v8
	;;#ASMEND
	s_wait_dscnt 0x1
	;;#ASMSTART
	v_dot2_f32_f16 v36, v0, v10, v36
	;;#ASMEND
	;;#ASMSTART
	v_dot2_f32_f16 v36, v1, v11, v36
	;;#ASMEND
	;;#ASMSTART
	v_dot2_f32_f16 v36, v2, v12, v36
	;;#ASMEND
	;;#ASMSTART
	v_dot2_f32_f16 v36, v3, v13, v36
	;;#ASMEND
	s_wait_dscnt 0x0
	;;#ASMSTART
	v_dot2_f32_f16 v9, v18, v4, v9
	;;#ASMEND
	;;#ASMSTART
	v_dot2_f32_f16 v9, v19, v5, v9
	;;#ASMEND
	;;#ASMSTART
	v_dot2_f32_f16 v9, v20, v6, v9
	;;#ASMEND
	;;#ASMSTART
	v_dot2_f32_f16 v9, v21, v7, v9
	;;#ASMEND
	;;#ASMSTART
	v_dot2_f32_f16 v37, v18, v10, v37
	;;#ASMEND
	;;#ASMSTART
	v_dot2_f32_f16 v37, v19, v11, v37
	;;#ASMEND
	;;#ASMSTART
	v_dot2_f32_f16 v37, v20, v12, v37
	;;#ASMEND
	;;#ASMSTART
	v_dot2_f32_f16 v37, v21, v13, v37
	;;#ASMEND
	ds_load_b128 v[0:3], v88 offset:32
	;; [unrolled: 55-line block ×7, first 2 shown]
	ds_load_b128 v[4:7], v87 offset:240
	ds_load_b128 v[10:13], v87 offset:496
	;; [unrolled: 1-line block ×3, first 2 shown]
	s_wait_dscnt 0x2
	;;#ASMSTART
	v_dot2_f32_f16 v8, v0, v4, v8
	;;#ASMEND
	;;#ASMSTART
	v_dot2_f32_f16 v8, v1, v5, v8
	;;#ASMEND
	;; [unrolled: 3-line block ×4, first 2 shown]
	s_wait_dscnt 0x1
	;;#ASMSTART
	v_dot2_f32_f16 v36, v0, v10, v36
	;;#ASMEND
	;;#ASMSTART
	v_dot2_f32_f16 v36, v1, v11, v36
	;;#ASMEND
	;; [unrolled: 3-line block ×4, first 2 shown]
	s_wait_dscnt 0x0
	;;#ASMSTART
	v_dot2_f32_f16 v9, v18, v4, v9
	;;#ASMEND
	v_cmp_ngt_f32_e64 s2, 0x3f200000, |v8|
	;;#ASMSTART
	v_dot2_f32_f16 v9, v19, v5, v9
	;;#ASMEND
	;;#ASMSTART
	v_dot2_f32_f16 v9, v20, v6, v9
	;;#ASMEND
	;; [unrolled: 3-line block ×7, first 2 shown]
                                        ; implicit-def: $vgpr2
	s_and_saveexec_b32 s3, s2
	s_delay_alu instid0(SALU_CYCLE_1)
	s_xor_b32 s2, exec_lo, s3
	s_cbranch_execz .LBB74_11
; %bb.10:                               ;   in Loop: Header=BB74_9 Depth=1
	v_add_f32_e64 v0, |v8|, |v8|
	s_delay_alu instid0(VALU_DEP_1) | instskip(SKIP_1) | instid1(VALU_DEP_2)
	v_mul_f32_e32 v1, 0x3fb8aa3b, v0
	v_cmp_ngt_f32_e32 vcc_lo, 0xc2ce8ed0, v0
	v_rndne_f32_e32 v2, v1
	v_fma_f32 v3, 0x3fb8aa3b, v0, -v1
	s_delay_alu instid0(VALU_DEP_2) | instskip(NEXT) | instid1(VALU_DEP_2)
	v_sub_f32_e32 v1, v1, v2
	v_fmac_f32_e32 v3, 0x32a5705f, v0
	v_cvt_i32_f32_e32 v2, v2
	s_delay_alu instid0(VALU_DEP_2) | instskip(NEXT) | instid1(VALU_DEP_1)
	v_add_f32_e32 v1, v1, v3
	v_exp_f32_e32 v1, v1
	v_nop
	s_delay_alu instid0(TRANS32_DEP_1) | instskip(NEXT) | instid1(VALU_DEP_1)
	v_ldexp_f32 v1, v1, v2
	v_cndmask_b32_e32 v1, 0, v1, vcc_lo
	v_cmp_nlt_f32_e32 vcc_lo, 0x42b17218, v0
	s_delay_alu instid0(VALU_DEP_2) | instskip(NEXT) | instid1(VALU_DEP_1)
	v_cndmask_b32_e32 v0, 0x7f800000, v1, vcc_lo
	v_add_f32_e32 v0, 1.0, v0
	s_delay_alu instid0(VALU_DEP_1) | instskip(SKIP_1) | instid1(TRANS32_DEP_1)
	v_rcp_f32_e32 v0, v0
	v_nop
	v_fma_f32 v2, v0, -2.0, 1.0
.LBB74_11:                              ;   in Loop: Header=BB74_9 Depth=1
	s_and_not1_saveexec_b32 s2, s2
	s_cbranch_execz .LBB74_13
; %bb.12:                               ;   in Loop: Header=BB74_9 Depth=1
	v_mul_f32_e32 v0, v8, v8
	s_delay_alu instid0(VALU_DEP_1) | instskip(NEXT) | instid1(VALU_DEP_1)
	v_fmaak_f32 v1, s29, v0, 0x3ca908c9
	v_fmaak_f32 v1, v0, v1, 0xbd5c1c4e
	s_delay_alu instid0(VALU_DEP_1) | instskip(NEXT) | instid1(VALU_DEP_1)
	v_fmaak_f32 v1, v0, v1, 0x3e088382
	v_fmaak_f32 v1, v0, v1, 0xbeaaaa99
	s_delay_alu instid0(VALU_DEP_1) | instskip(NEXT) | instid1(VALU_DEP_1)
	v_mul_f32_e64 v1, |v8|, v1
	v_fma_f32 v2, v0, v1, |v8|
.LBB74_13:                              ;   in Loop: Header=BB74_9 Depth=1
	s_or_b32 exec_lo, exec_lo, s2
	v_add_nc_u32_e32 v0, s10, v90
	v_cmp_ngt_f32_e64 s2, 0x3f200000, |v9|
                                        ; implicit-def: $vgpr3
	global_load_u16 v19, v0, s[34:35] scale_offset
	s_wait_xcnt 0x0
	s_and_saveexec_b32 s3, s2
	s_delay_alu instid0(SALU_CYCLE_1)
	s_xor_b32 s2, exec_lo, s3
	s_cbranch_execz .LBB74_15
; %bb.14:                               ;   in Loop: Header=BB74_9 Depth=1
	v_add_f32_e64 v1, |v9|, |v9|
	s_delay_alu instid0(VALU_DEP_1) | instskip(SKIP_1) | instid1(VALU_DEP_2)
	v_mul_f32_e32 v3, 0x3fb8aa3b, v1
	v_cmp_ngt_f32_e32 vcc_lo, 0xc2ce8ed0, v1
	v_rndne_f32_e32 v4, v3
	v_fma_f32 v5, 0x3fb8aa3b, v1, -v3
	s_delay_alu instid0(VALU_DEP_2) | instskip(NEXT) | instid1(VALU_DEP_2)
	v_sub_f32_e32 v3, v3, v4
	v_fmac_f32_e32 v5, 0x32a5705f, v1
	v_cvt_i32_f32_e32 v4, v4
	s_delay_alu instid0(VALU_DEP_2) | instskip(NEXT) | instid1(VALU_DEP_1)
	v_add_f32_e32 v3, v3, v5
	v_exp_f32_e32 v3, v3
	v_nop
	s_delay_alu instid0(TRANS32_DEP_1) | instskip(NEXT) | instid1(VALU_DEP_1)
	v_ldexp_f32 v3, v3, v4
	v_cndmask_b32_e32 v3, 0, v3, vcc_lo
	v_cmp_nlt_f32_e32 vcc_lo, 0x42b17218, v1
	s_delay_alu instid0(VALU_DEP_2) | instskip(NEXT) | instid1(VALU_DEP_1)
	v_cndmask_b32_e32 v1, 0x7f800000, v3, vcc_lo
	v_add_f32_e32 v1, 1.0, v1
	s_delay_alu instid0(VALU_DEP_1) | instskip(SKIP_1) | instid1(TRANS32_DEP_1)
	v_rcp_f32_e32 v1, v1
	v_nop
	v_fma_f32 v3, v1, -2.0, 1.0
.LBB74_15:                              ;   in Loop: Header=BB74_9 Depth=1
	s_and_not1_saveexec_b32 s2, s2
	s_cbranch_execz .LBB74_17
; %bb.16:                               ;   in Loop: Header=BB74_9 Depth=1
	v_mul_f32_e32 v1, v9, v9
	s_delay_alu instid0(VALU_DEP_1) | instskip(NEXT) | instid1(VALU_DEP_1)
	v_fmaak_f32 v3, s29, v1, 0x3ca908c9
	v_fmaak_f32 v3, v1, v3, 0xbd5c1c4e
	s_delay_alu instid0(VALU_DEP_1) | instskip(NEXT) | instid1(VALU_DEP_1)
	v_fmaak_f32 v3, v1, v3, 0x3e088382
	v_fmaak_f32 v3, v1, v3, 0xbeaaaa99
	s_delay_alu instid0(VALU_DEP_1) | instskip(NEXT) | instid1(VALU_DEP_1)
	v_mul_f32_e64 v3, |v9|, v3
	v_fma_f32 v3, v1, v3, |v9|
.LBB74_17:                              ;   in Loop: Header=BB74_9 Depth=1
	s_or_b32 exec_lo, exec_lo, s2
	v_dual_ashrrev_i32 v1, 31, v0 :: v_dual_bitop2_b32 v99, 16, v81 bitop3:0x14
	v_xor_b32_e32 v95, 8, v81
	v_xor_b32_e32 v96, 4, v81
	v_xor_b32_e32 v98, 1, v81
	s_delay_alu instid0(VALU_DEP_4)
	v_lshl_add_u64 v[0:1], v[0:1], 1, s[34:35]
	v_cmp_gt_i32_e32 vcc_lo, 32, v99
	v_xor_b32_e32 v97, 2, v81
	v_cmp_ngt_f32_e64 s2, 0x3f200000, |v36|
                                        ; implicit-def: $vgpr34
	global_load_u16 v26, v[0:1], off offset:64
	s_wait_xcnt 0x0
	v_bfi_b32 v0, 0x7fffffff, v2, v8
	v_bfi_b32 v1, 0x7fffffff, v3, v9
	s_wait_loadcnt 0x1
	s_wait_kmcnt 0x0
	s_delay_alu instid0(VALU_DEP_2) | instskip(NEXT) | instid1(VALU_DEP_1)
	v_fma_mix_f32 v21, s7, v0, v19 op_sel_hi:[0,0,1]
	v_add_f32_e32 v0, 0x40051340, v21
	s_wait_loadcnt 0x0
	v_fma_mix_f32 v29, s7, v1, v26 op_sel_hi:[0,0,1]
	v_cndmask_b32_e32 v1, v81, v99, vcc_lo
	v_cmp_gt_i32_e32 vcc_lo, 32, v95
	s_delay_alu instid0(VALU_DEP_3) | instskip(NEXT) | instid1(VALU_DEP_3)
	v_add_f32_e32 v2, 0x40051340, v29
	v_lshlrev_b32_e32 v27, 2, v1
	s_delay_alu instid0(VALU_DEP_2)
	v_max3_num_f32 v0, v17, v0, v2
	v_cndmask_b32_e32 v2, v81, v95, vcc_lo
	v_cmp_gt_i32_e32 vcc_lo, 32, v96
	ds_bpermute_b32 v1, v27, v0
	v_dual_lshlrev_b32 v28, 2, v2 :: v_dual_cndmask_b32 v2, v81, v96, vcc_lo
	v_cmp_gt_i32_e32 vcc_lo, 32, v97
	s_delay_alu instid0(VALU_DEP_2) | instskip(SKIP_1) | instid1(VALU_DEP_2)
	v_dual_lshlrev_b32 v30, 2, v2 :: v_dual_cndmask_b32 v2, v81, v97, vcc_lo
	v_cmp_gt_i32_e32 vcc_lo, 32, v98
	v_lshlrev_b32_e32 v31, 2, v2
	v_cndmask_b32_e32 v2, v81, v98, vcc_lo
	s_wait_dscnt 0x0
	s_delay_alu instid0(VALU_DEP_1) | instskip(NEXT) | instid1(VALU_DEP_1)
	v_dual_max_num_f32 v1, v1, v1 :: v_dual_lshlrev_b32 v18, 2, v2
	v_max_num_f32_e32 v0, v0, v1
	ds_bpermute_b32 v1, v28, v0
	s_wait_dscnt 0x0
	v_max_num_f32_e32 v1, v1, v1
	s_delay_alu instid0(VALU_DEP_1) | instskip(SKIP_3) | instid1(VALU_DEP_1)
	v_max_num_f32_e32 v0, v0, v1
	ds_bpermute_b32 v1, v30, v0
	s_wait_dscnt 0x0
	v_max_num_f32_e32 v1, v1, v1
	v_max_num_f32_e32 v0, v0, v1
	ds_bpermute_b32 v1, v31, v0
	s_wait_dscnt 0x0
	v_max_num_f32_e32 v1, v1, v1
	s_delay_alu instid0(VALU_DEP_1) | instskip(SKIP_2) | instid1(SALU_CYCLE_1)
	v_max_num_f32_e32 v32, v0, v1
	ds_bpermute_b32 v33, v18, v32
	s_and_saveexec_b32 s3, s2
	s_xor_b32 s2, exec_lo, s3
	s_cbranch_execz .LBB74_19
; %bb.18:                               ;   in Loop: Header=BB74_9 Depth=1
	v_add_f32_e64 v0, |v36|, |v36|
	s_delay_alu instid0(VALU_DEP_1) | instskip(SKIP_1) | instid1(VALU_DEP_2)
	v_mul_f32_e32 v1, 0x3fb8aa3b, v0
	v_cmp_ngt_f32_e32 vcc_lo, 0xc2ce8ed0, v0
	v_rndne_f32_e32 v2, v1
	v_fma_f32 v3, 0x3fb8aa3b, v0, -v1
	s_delay_alu instid0(VALU_DEP_2) | instskip(NEXT) | instid1(VALU_DEP_2)
	v_sub_f32_e32 v1, v1, v2
	v_fmac_f32_e32 v3, 0x32a5705f, v0
	v_cvt_i32_f32_e32 v2, v2
	s_delay_alu instid0(VALU_DEP_2) | instskip(NEXT) | instid1(VALU_DEP_1)
	v_add_f32_e32 v1, v1, v3
	v_exp_f32_e32 v1, v1
	v_nop
	s_delay_alu instid0(TRANS32_DEP_1) | instskip(NEXT) | instid1(VALU_DEP_1)
	v_ldexp_f32 v1, v1, v2
	v_cndmask_b32_e32 v1, 0, v1, vcc_lo
	v_cmp_nlt_f32_e32 vcc_lo, 0x42b17218, v0
	s_delay_alu instid0(VALU_DEP_2) | instskip(NEXT) | instid1(VALU_DEP_1)
	v_cndmask_b32_e32 v0, 0x7f800000, v1, vcc_lo
	v_add_f32_e32 v0, 1.0, v0
	s_delay_alu instid0(VALU_DEP_1) | instskip(SKIP_1) | instid1(TRANS32_DEP_1)
	v_rcp_f32_e32 v0, v0
	v_nop
	v_fma_f32 v34, v0, -2.0, 1.0
.LBB74_19:                              ;   in Loop: Header=BB74_9 Depth=1
	s_and_not1_saveexec_b32 s2, s2
	s_cbranch_execz .LBB74_21
; %bb.20:                               ;   in Loop: Header=BB74_9 Depth=1
	v_mul_f32_e32 v0, v36, v36
	s_delay_alu instid0(VALU_DEP_1) | instskip(NEXT) | instid1(VALU_DEP_1)
	v_fmaak_f32 v1, s29, v0, 0x3ca908c9
	v_fmaak_f32 v1, v0, v1, 0xbd5c1c4e
	s_delay_alu instid0(VALU_DEP_1) | instskip(NEXT) | instid1(VALU_DEP_1)
	v_fmaak_f32 v1, v0, v1, 0x3e088382
	v_fmaak_f32 v1, v0, v1, 0xbeaaaa99
	s_delay_alu instid0(VALU_DEP_1) | instskip(NEXT) | instid1(VALU_DEP_1)
	v_mul_f32_e64 v1, |v36|, v1
	v_fma_f32 v34, v0, v1, |v36|
.LBB74_21:                              ;   in Loop: Header=BB74_9 Depth=1
	s_or_b32 exec_lo, exec_lo, s2
	v_cmp_ngt_f32_e64 s2, 0x3f200000, |v37|
                                        ; implicit-def: $vgpr35
	s_and_saveexec_b32 s3, s2
	s_delay_alu instid0(SALU_CYCLE_1)
	s_xor_b32 s2, exec_lo, s3
	s_cbranch_execz .LBB74_23
; %bb.22:                               ;   in Loop: Header=BB74_9 Depth=1
	v_add_f32_e64 v0, |v37|, |v37|
	s_delay_alu instid0(VALU_DEP_1) | instskip(SKIP_1) | instid1(VALU_DEP_2)
	v_mul_f32_e32 v1, 0x3fb8aa3b, v0
	v_cmp_ngt_f32_e32 vcc_lo, 0xc2ce8ed0, v0
	v_rndne_f32_e32 v2, v1
	v_fma_f32 v3, 0x3fb8aa3b, v0, -v1
	s_delay_alu instid0(VALU_DEP_2) | instskip(NEXT) | instid1(VALU_DEP_2)
	v_sub_f32_e32 v1, v1, v2
	v_fmac_f32_e32 v3, 0x32a5705f, v0
	v_cvt_i32_f32_e32 v2, v2
	s_delay_alu instid0(VALU_DEP_2) | instskip(NEXT) | instid1(VALU_DEP_1)
	v_add_f32_e32 v1, v1, v3
	v_exp_f32_e32 v1, v1
	v_nop
	s_delay_alu instid0(TRANS32_DEP_1) | instskip(NEXT) | instid1(VALU_DEP_1)
	v_ldexp_f32 v1, v1, v2
	v_cndmask_b32_e32 v1, 0, v1, vcc_lo
	v_cmp_nlt_f32_e32 vcc_lo, 0x42b17218, v0
	s_delay_alu instid0(VALU_DEP_2) | instskip(NEXT) | instid1(VALU_DEP_1)
	v_cndmask_b32_e32 v0, 0x7f800000, v1, vcc_lo
	v_add_f32_e32 v0, 1.0, v0
	s_delay_alu instid0(VALU_DEP_1) | instskip(SKIP_1) | instid1(TRANS32_DEP_1)
	v_rcp_f32_e32 v0, v0
	v_nop
	v_fma_f32 v35, v0, -2.0, 1.0
.LBB74_23:                              ;   in Loop: Header=BB74_9 Depth=1
	s_and_not1_saveexec_b32 s2, s2
	s_cbranch_execz .LBB74_25
; %bb.24:                               ;   in Loop: Header=BB74_9 Depth=1
	v_mul_f32_e32 v0, v37, v37
	s_delay_alu instid0(VALU_DEP_1) | instskip(NEXT) | instid1(VALU_DEP_1)
	v_fmaak_f32 v1, s29, v0, 0x3ca908c9
	v_fmaak_f32 v1, v0, v1, 0xbd5c1c4e
	s_delay_alu instid0(VALU_DEP_1) | instskip(NEXT) | instid1(VALU_DEP_1)
	v_fmaak_f32 v1, v0, v1, 0x3e088382
	v_fmaak_f32 v1, v0, v1, 0xbeaaaa99
	s_delay_alu instid0(VALU_DEP_1) | instskip(NEXT) | instid1(VALU_DEP_1)
	v_mul_f32_e64 v1, |v37|, v1
	v_fma_f32 v35, v0, v1, |v37|
.LBB74_25:                              ;   in Loop: Header=BB74_9 Depth=1
	s_or_b32 exec_lo, exec_lo, s2
	s_mul_u64 s[2:3], s[10:11], s[14:15]
	s_wait_dscnt 0x0
	s_lshl_b64 s[2:3], s[2:3], 2
	s_barrier_signal -1
	s_add_nc_u64 s[2:3], s[8:9], s[2:3]
	s_barrier_wait -1
	v_add_nc_u64_e32 v[0:1], s[2:3], v[68:69]
	v_add_nc_u64_e32 v[2:3], s[2:3], v[70:71]
	;; [unrolled: 1-line block ×4, first 2 shown]
	v_cvt_f32_f16_e32 v20, v19
	v_cvt_f32_f16_e32 v19, v26
	v_add_nc_u64_e32 v[0:1], v[0:1], v[60:61]
	v_add_nc_u64_e32 v[8:9], v[2:3], v[60:61]
	;; [unrolled: 1-line block ×4, first 2 shown]
	v_bfi_b32 v26, 0x7fffffff, v34, v36
	v_bfi_b32 v34, 0x7fffffff, v35, v37
	v_add_nc_u32_e32 v44, 0x800, v80
	s_clause 0x3
	global_load_b128 v[0:3], v[0:1], off
	global_load_b128 v[4:7], v[8:9], off
	;; [unrolled: 1-line block ×4, first 2 shown]
	v_add_nc_u32_e32 v100, 0x1000, v80
	v_fmac_f32_e32 v20, s7, v26
	s_delay_alu instid0(VALU_DEP_1) | instskip(NEXT) | instid1(VALU_DEP_1)
	v_dual_fmac_f32 v19, s7, v34 :: v_dual_add_f32 v26, 0x40051340, v20
	v_add_f32_e32 v34, 0x40051340, v19
	s_delay_alu instid0(VALU_DEP_1) | instskip(SKIP_3) | instid1(VALU_DEP_1)
	v_max3_num_f32 v26, v16, v26, v34
	ds_bpermute_b32 v27, v27, v26
	s_wait_dscnt 0x0
	v_max_num_f32_e32 v27, v27, v27
	v_max_num_f32_e32 v26, v26, v27
	ds_bpermute_b32 v27, v28, v26
	s_wait_dscnt 0x0
	v_dual_max_num_f32 v28, v33, v33 :: v_dual_max_num_f32 v27, v27, v27
	s_delay_alu instid0(VALU_DEP_1) | instskip(SKIP_3) | instid1(VALU_DEP_1)
	v_max_num_f32_e32 v26, v26, v27
	ds_bpermute_b32 v27, v30, v26
	s_wait_dscnt 0x0
	v_max_num_f32_e32 v27, v27, v27
	v_max_num_f32_e32 v27, v26, v27
	ds_bpermute_b32 v26, v31, v27
	v_max_num_f32_e32 v30, v32, v32
	s_delay_alu instid0(VALU_DEP_1) | instskip(SKIP_1) | instid1(VALU_DEP_1)
	v_max_num_f32_e32 v76, v30, v28
	s_wait_dscnt 0x0
	v_dual_max_num_f32 v28, v26, v26 :: v_dual_sub_f32 v26, v21, v76
	v_dual_sub_f32 v21, v29, v76 :: v_dual_add_nc_u32 v29, v91, v79
	v_sub_f32_e32 v17, v17, v76
	s_delay_alu instid0(VALU_DEP_2) | instskip(SKIP_1) | instid1(VALU_DEP_3)
	v_dual_max_num_f32 v27, v27, v28 :: v_dual_mul_f32 v30, 0x3fb8aa3b, v21
	v_cmp_ngt_f32_e64 s2, 0xc2ce8ed0, v21
	v_mul_f32_e32 v31, 0x3fb8aa3b, v17
	ds_bpermute_b32 v18, v18, v27
	v_mul_f32_e32 v28, 0x3fb8aa3b, v26
	v_fma_f32 v34, 0x3fb8aa3b, v21, -v30
	v_rndne_f32_e32 v35, v30
	v_cmp_nlt_f32_e64 s5, 0x42b17218, v21
	v_cmp_ngt_f32_e32 vcc_lo, 0xc2ce8ed0, v26
	v_fma_f32 v32, 0x3fb8aa3b, v26, -v28
	v_rndne_f32_e32 v33, v28
	v_cmp_nlt_f32_e64 s4, 0x42b17218, v26
	v_rndne_f32_e32 v37, v31
	v_fma_f32 v36, 0x3fb8aa3b, v17, -v31
	v_fmac_f32_e32 v32, 0x32a5705f, v26
	v_cmp_ngt_f32_e64 s3, 0xc2ce8ed0, v17
	v_cmp_nlt_f32_e64 s6, 0x42b17218, v17
	s_wait_dscnt 0x0
	v_max_num_f32_e32 v18, v18, v18
	v_dual_fmac_f32 v34, 0x32a5705f, v21 :: v_dual_sub_f32 v21, v30, v35
	v_cvt_i32_f32_e32 v30, v33
	s_delay_alu instid0(VALU_DEP_3) | instskip(NEXT) | instid1(VALU_DEP_3)
	v_dual_max_num_f32 v77, v27, v18 :: v_dual_sub_f32 v26, v28, v33
	v_dual_add_f32 v21, v21, v34 :: v_dual_sub_f32 v28, v31, v37
	v_cvt_i32_f32_e32 v31, v35
	s_delay_alu instid0(VALU_DEP_3) | instskip(NEXT) | instid1(VALU_DEP_3)
	v_dual_sub_f32 v20, v20, v77 :: v_dual_sub_f32 v19, v19, v77
	v_exp_f32_e32 v21, v21
	s_delay_alu instid0(VALU_DEP_1) | instskip(NEXT) | instid1(VALU_DEP_1)
	v_dual_add_f32 v26, v26, v32 :: v_dual_mul_f32 v27, 0x3fb8aa3b, v19
	v_exp_f32_e32 v26, v26
	s_delay_alu instid0(TRANS32_DEP_2) | instskip(NEXT) | instid1(VALU_DEP_2)
	v_ldexp_f32 v21, v21, v31
	v_fma_f32 v31, 0x3fb8aa3b, v19, -v27
	v_fmac_f32_e32 v36, 0x32a5705f, v17
	v_cvt_i32_f32_e32 v17, v37
	s_delay_alu instid0(VALU_DEP_4) | instskip(NEXT) | instid1(TRANS32_DEP_1)
	v_cndmask_b32_e64 v21, 0, v21, s2
	v_ldexp_f32 v26, v26, v30
	s_delay_alu instid0(VALU_DEP_4) | instskip(SKIP_1) | instid1(VALU_DEP_2)
	v_dual_fmac_f32 v31, 0x32a5705f, v19 :: v_dual_add_f32 v28, v28, v36
	v_cmp_ngt_f32_e64 s2, 0xc2ce8ed0, v19
	v_exp_f32_e32 v18, v28
	v_nop
	v_sub_f32_e32 v28, v16, v77
	v_rndne_f32_e32 v32, v27
	s_delay_alu instid0(VALU_DEP_1) | instskip(NEXT) | instid1(VALU_DEP_3)
	v_sub_f32_e32 v27, v27, v32
	v_mul_f32_e32 v33, 0x3fb8aa3b, v28
	s_delay_alu instid0(TRANS32_DEP_1) | instskip(SKIP_2) | instid1(VALU_DEP_4)
	v_ldexp_f32 v17, v18, v17
	v_cndmask_b32_e32 v18, 0, v26, vcc_lo
	v_cmp_ngt_f32_e32 vcc_lo, 0xc2ce8ed0, v20
	v_rndne_f32_e32 v35, v33
	v_mul_f32_e32 v26, 0x3fb8aa3b, v20
	s_delay_alu instid0(VALU_DEP_4) | instskip(SKIP_1) | instid1(VALU_DEP_4)
	v_cndmask_b32_e64 v18, 0x7f800000, v18, s4
	v_cmp_nlt_f32_e64 s4, 0x42b17218, v19
	v_cvt_i32_f32_e32 v19, v35
	s_delay_alu instid0(VALU_DEP_4) | instskip(SKIP_3) | instid1(VALU_DEP_4)
	v_fma_f32 v16, 0x3fb8aa3b, v20, -v26
	v_rndne_f32_e32 v30, v26
	v_cndmask_b32_e64 v17, 0, v17, s3
	v_cmp_nlt_f32_e64 s3, 0x42b17218, v20
	v_fmac_f32_e32 v16, 0x32a5705f, v20
	s_delay_alu instid0(VALU_DEP_4) | instskip(SKIP_1) | instid1(VALU_DEP_2)
	v_sub_f32_e32 v26, v26, v30
	v_cvt_i32_f32_e32 v30, v30
	v_dual_add_f32 v16, v26, v16 :: v_dual_add_f32 v26, v27, v31
	v_fma_f32 v34, 0x3fb8aa3b, v28, -v33
	v_sub_f32_e32 v27, v33, v35
	v_cvt_i32_f32_e32 v31, v32
	s_delay_alu instid0(VALU_DEP_4) | instskip(SKIP_2) | instid1(VALU_DEP_1)
	v_exp_f32_e32 v16, v16
	v_exp_f32_e32 v26, v26
	v_fmac_f32_e32 v34, 0x32a5705f, v28
	v_add_f32_e32 v27, v27, v34
	s_delay_alu instid0(TRANS32_DEP_1) | instskip(NEXT) | instid1(TRANS32_DEP_2)
	v_ldexp_f32 v20, v26, v31
	v_ldexp_f32 v16, v16, v30
	s_delay_alu instid0(VALU_DEP_3) | instskip(SKIP_1) | instid1(VALU_DEP_3)
	v_exp_f32_e32 v26, v27
	v_nop
	v_cndmask_b32_e64 v27, 0, v20, s2
	s_delay_alu instid0(VALU_DEP_3)
	v_cndmask_b32_e32 v16, 0, v16, vcc_lo
	v_cmp_ngt_f32_e32 vcc_lo, 0xc2ce8ed0, v28
	v_cndmask_b32_e64 v20, 0x7f800000, v21, s5
	v_cmp_nlt_f32_e64 s2, 0x42b17218, v28
	v_cndmask_b32_e64 v21, 0x7f800000, v27, s4
	v_ldexp_f32 v26, v26, v19
	v_cndmask_b32_e64 v19, 0x7f800000, v16, s3
	v_cndmask_b32_e64 v16, 0x7f800000, v17, s6
	s_or_b32 s4, s10, 32
	v_cvt_pk_f16_f32 v27, v20, v21
	v_cndmask_b32_e32 v17, 0, v26, vcc_lo
	v_cvt_pk_f16_f32 v26, v18, v19
	v_cvt_f16_f32_e32 v28, v16
	s_ashr_i32 s5, s4, 31
	ds_store_2addr_b32 v29, v26, v27 offset1:32
	s_wait_loadcnt 0x3
	ds_store_b128 v89, v[0:3]
	s_wait_loadcnt 0x2
	ds_store_b128 v92, v[4:7]
	;; [unrolled: 2-line block ×4, first 2 shown]
	v_cndmask_b32_e64 v17, 0x7f800000, v17, s2
	s_wait_dscnt 0x0
	s_barrier_signal -1
	s_barrier_wait -1
	ds_load_b128 v[4:7], v91
	ds_load_b128 v[8:11], v91 offset:16
	v_and_b32_e32 v0, 0xffff, v28
	v_cvt_f16_f32_e32 v2, v17
	s_mul_u64 s[2:3], s[4:5], s[14:15]
	s_delay_alu instid0(SALU_CYCLE_1) | instskip(NEXT) | instid1(VALU_DEP_2)
	s_lshl_b64 s[2:3], s[2:3], 2
	v_mul_u32_u24_e32 v101, 0x10001, v0
	v_pk_add_f32 v[0:1], v[18:19], v[20:21]
	v_and_b32_e32 v2, 0xffff, v2
	s_add_nc_u64 s[2:3], s[8:9], s[2:3]
	s_delay_alu instid0(VALU_DEP_3) | instskip(NEXT) | instid1(VALU_DEP_3)
	v_pk_mul_f16 v109, v25, v101
	v_pk_fma_f32 v[56:57], v[56:57], v[16:17], v[0:1]
	s_delay_alu instid0(VALU_DEP_3)
	v_mul_u32_u24_e32 v41, 0x10001, v2
	ds_load_2addr_b64 v[0:3], v80 offset1:32
	ds_load_b128 v[12:15], v91 offset:32
	ds_load_b128 v[36:39], v91 offset:48
	;; [unrolled: 1-line block ×4, first 2 shown]
	s_wait_dscnt 0x6
	v_and_b32_e32 v45, 0xffff, v4
	s_wait_dscnt 0x5
	v_dual_lshrrev_b32 v4, 16, v4 :: v_dual_lshrrev_b32 v26, 16, v10
	v_and_b32_e32 v43, 0xffff, v5
	v_lshrrev_b32_e32 v42, 16, v5
	v_mul_u32_u24_e32 v114, 0x10001, v45
	v_and_b32_e32 v35, 0xffff, v6
	v_dual_lshrrev_b32 v33, 16, v6 :: v_dual_lshrrev_b32 v32, 16, v7
	v_and_b32_e32 v34, 0xffff, v7
	v_mul_u32_u24_e32 v43, 0x10001, v43
	s_wait_dscnt 0x4
	v_pk_mul_f16 v5, v0, v114
	v_pk_fma_f16 v109, v1, v114, v109
	v_dual_lshrrev_b32 v31, 16, v8 :: v_dual_lshrrev_b32 v25, 16, v11
	s_wait_dscnt 0x0
	v_lshrrev_b32_e32 v50, 16, v110
	v_and_b32_e32 v102, 0xffff, v110
	v_mul_u32_u24_e32 v110, 0x10001, v4
	v_dual_lshrrev_b32 v105, 16, v48 :: v_dual_lshrrev_b32 v103, 16, v49
	v_and_b32_e32 v104, 0xffff, v49
	v_lshrrev_b32_e32 v49, 16, v111
	v_and_b32_e32 v51, 0xffff, v111
	v_pk_fma_f16 v24, v24, v101, v5
	ds_load_2addr_b64 v[4:7], v80 offset0:64 offset1:96
	v_pk_mul_f16 v0, v0, v110
	v_pk_mul_f16 v111, v23, v41
	v_and_b32_e32 v40, 0xffff, v8
	v_and_b32_e32 v108, 0xffff, v9
	v_lshrrev_b32_e32 v30, 16, v9
	v_pk_fma_f16 v0, v22, v41, v0
	v_mul_u32_u24_e32 v41, 0x10001, v42
	v_pk_fma_f16 v1, v1, v110, v111
	v_and_b32_e32 v29, 0xffff, v10
	v_dual_lshrrev_b32 v17, 16, v12 :: v_dual_lshrrev_b32 v16, 16, v13
	v_and_b32_e32 v19, 0xffff, v12
	v_and_b32_e32 v18, 0xffff, v13
	v_dual_lshrrev_b32 v21, 16, v14 :: v_dual_lshrrev_b32 v20, 16, v15
	v_and_b32_e32 v28, 0xffff, v14
	v_dual_lshrrev_b32 v13, 16, v36 :: v_dual_lshrrev_b32 v12, 16, v37
	;; [unrolled: 2-line block ×3, first 2 shown]
	v_and_b32_e32 v10, 0xffff, v39
	v_lshrrev_b32_e32 v37, 16, v46
	v_and_b32_e32 v39, 0xffff, v46
	v_and_b32_e32 v106, 0xffff, v48
	v_dual_lshrrev_b32 v46, 16, v112 :: v_dual_lshrrev_b32 v45, 16, v113
	v_and_b32_e32 v48, 0xffff, v112
	v_pk_fma_f16 v109, v3, v43, v109
	v_pk_fma_f16 v24, v2, v43, v24
	;; [unrolled: 1-line block ×4, first 2 shown]
	ds_load_2addr_b64 v[0:3], v80 offset0:128 offset1:160
	v_mul_u32_u24_e32 v35, 0x10001, v35
	v_mul_u32_u24_e32 v33, 0x10001, v33
	v_add_nc_u64_e32 v[22:23], s[2:3], v[68:69]
	v_mul_u32_u24_e32 v34, 0x10001, v34
	v_mul_u32_u24_e32 v114, 0x10001, v32
	s_wait_dscnt 0x1
	v_pk_fma_f16 v109, v5, v35, v109
	v_pk_fma_f16 v24, v4, v35, v24
	;; [unrolled: 1-line block ×4, first 2 shown]
	v_add_nc_u64_e32 v[42:43], s[2:3], v[70:71]
	v_pk_fma_f16 v109, v7, v34, v109
	v_pk_fma_f16 v24, v6, v34, v24
	v_add_nc_u64_e32 v[34:35], v[22:23], v[60:61]
	v_pk_fma_f16 v22, v7, v114, v5
	v_pk_fma_f16 v23, v6, v114, v4
	ds_load_2addr_b64 v[4:7], v80 offset0:192 offset1:224
	v_mul_u32_u24_e32 v114, 0x10001, v40
	v_add_nc_u64_e32 v[110:111], s[2:3], v[72:73]
	v_mul_u32_u24_e32 v31, 0x10001, v31
	v_mul_u32_u24_e32 v108, 0x10001, v108
	v_add_nc_u64_e32 v[32:33], v[42:43], v[60:61]
	s_wait_dscnt 0x1
	v_pk_fma_f16 v109, v1, v114, v109
	v_pk_fma_f16 v24, v0, v114, v24
	v_mul_u32_u24_e32 v30, 0x10001, v30
	v_add_nc_u64_e32 v[42:43], v[110:111], v[60:61]
	v_pk_fma_f16 v1, v1, v31, v22
	v_pk_fma_f16 v0, v0, v31, v23
	;; [unrolled: 1-line block ×4, first 2 shown]
	ds_load_2addr_b64 v[108:111], v44 offset1:32
	v_and_b32_e32 v27, 0xffff, v11
	v_mul_u32_u24_e32 v24, 0x10001, v29
	v_pk_fma_f16 v29, v3, v30, v1
	v_pk_fma_f16 v30, v2, v30, v0
	v_mul_u32_u24_e32 v26, 0x10001, v26
	ds_load_2addr_b64 v[0:3], v44 offset0:64 offset1:96
	v_mul_u32_u24_e32 v27, 0x10001, v27
	s_wait_dscnt 0x2
	v_pk_fma_f16 v22, v5, v24, v22
	v_pk_fma_f16 v23, v4, v24, v23
	v_mul_u32_u24_e32 v24, 0x10001, v25
	v_pk_fma_f16 v5, v5, v26, v29
	v_pk_fma_f16 v4, v4, v26, v30
	v_and_b32_e32 v107, 0xffff, v15
	v_and_b32_e32 v15, 0xffff, v36
	;; [unrolled: 1-line block ×3, first 2 shown]
	v_lshrrev_b32_e32 v36, 16, v47
	v_and_b32_e32 v38, 0xffff, v47
	v_and_b32_e32 v47, 0xffff, v113
	v_add_nc_u64_e32 v[112:113], s[2:3], v[74:75]
	v_pk_fma_f16 v22, v7, v27, v22
	v_pk_fma_f16 v23, v6, v27, v23
	v_mul_u32_u24_e32 v19, 0x10001, v19
	v_pk_fma_f16 v5, v7, v24, v5
	v_pk_fma_f16 v4, v6, v24, v4
	v_mul_u32_u24_e32 v6, 0x10001, v17
	v_add_nc_u64_e32 v[40:41], v[112:113], v[60:61]
	ds_load_2addr_b64 v[112:115], v44 offset0:128 offset1:160
	v_mul_u32_u24_e32 v7, 0x10001, v18
	s_wait_dscnt 0x2
	v_pk_fma_f16 v17, v109, v19, v22
	v_pk_fma_f16 v18, v108, v19, v23
	v_mul_u32_u24_e32 v22, 0x10001, v16
	v_pk_fma_f16 v5, v109, v6, v5
	v_pk_fma_f16 v4, v108, v6, v4
	;; [unrolled: 1-line block ×4, first 2 shown]
	v_mul_u32_u24_e32 v23, 0x10001, v28
	v_pk_fma_f16 v5, v111, v22, v5
	v_pk_fma_f16 v4, v110, v22, v4
	v_mul_u32_u24_e32 v21, 0x10001, v21
	ds_load_2addr_b64 v[24:27], v44 offset0:192 offset1:224
	v_mul_u32_u24_e32 v22, 0x10001, v107
	s_wait_dscnt 0x2
	v_pk_fma_f16 v6, v1, v23, v6
	v_pk_fma_f16 v7, v0, v23, v7
	v_mul_u32_u24_e32 v107, 0x10001, v20
	v_pk_fma_f16 v1, v1, v21, v5
	v_pk_fma_f16 v0, v0, v21, v4
	;; [unrolled: 1-line block ×4, first 2 shown]
	v_mul_u32_u24_e32 v6, 0x10001, v15
	v_pk_fma_f16 v7, v3, v107, v1
	v_pk_fma_f16 v15, v2, v107, v0
	v_mul_u32_u24_e32 v13, 0x10001, v13
	ds_load_2addr_b64 v[16:19], v100 offset1:32
	v_mul_u32_u24_e32 v14, 0x10001, v14
	s_wait_dscnt 0x2
	v_pk_fma_f16 v4, v113, v6, v4
	v_pk_fma_f16 v5, v112, v6, v5
	v_mul_u32_u24_e32 v12, 0x10001, v12
	v_pk_fma_f16 v107, v113, v13, v7
	v_pk_fma_f16 v13, v112, v13, v15
	;; [unrolled: 1-line block ×4, first 2 shown]
	v_mul_u32_u24_e32 v11, 0x10001, v11
	v_pk_fma_f16 v107, v115, v12, v107
	v_pk_fma_f16 v110, v114, v12, v13
	v_mul_u32_u24_e32 v9, 0x10001, v9
	ds_load_2addr_b64 v[28:31], v100 offset0:64 offset1:96
	v_mul_u32_u24_e32 v10, 0x10001, v10
	s_wait_dscnt 0x2
	v_pk_fma_f16 v108, v25, v11, v108
	v_pk_fma_f16 v11, v24, v11, v109
	v_mul_u32_u24_e32 v109, 0x10001, v8
	v_pk_fma_f16 v25, v25, v9, v107
	v_pk_fma_f16 v24, v24, v9, v110
	;; [unrolled: 1-line block ×4, first 2 shown]
	v_mul_u32_u24_e32 v39, 0x10001, v39
	v_pk_fma_f16 v25, v27, v109, v25
	v_pk_fma_f16 v24, v26, v109, v24
	v_mul_u32_u24_e32 v26, 0x10001, v37
	ds_load_2addr_b64 v[20:23], v100 offset0:128 offset1:160
	v_mul_u32_u24_e32 v27, 0x10001, v38
	s_wait_dscnt 0x2
	v_pk_fma_f16 v37, v17, v39, v107
	v_pk_fma_f16 v38, v16, v39, v112
	v_mul_u32_u24_e32 v107, 0x10001, v36
	v_pk_fma_f16 v17, v17, v26, v25
	v_pk_fma_f16 v16, v16, v26, v24
	v_add_nc_u32_e32 v101, 0x1800, v80
	v_pk_fma_f16 v24, v19, v27, v37
	v_pk_fma_f16 v25, v18, v27, v38
	;; [unrolled: 1-line block ×4, first 2 shown]
	v_mul_u32_u24_e32 v26, 0x10001, v106
	v_mul_u32_u24_e32 v105, 0x10001, v105
	ds_load_2addr_b64 v[0:3], v100 offset0:192 offset1:224
	ds_load_2addr_b64 v[4:7], v101 offset1:32
	ds_load_2addr_b64 v[12:15], v101 offset0:64 offset1:96
	ds_load_2addr_b64 v[8:11], v101 offset0:128 offset1:160
	ds_load_b128 v[108:111], v91 offset:96
	ds_load_b128 v[36:39], v91 offset:112
	ds_load_2addr_b64 v[16:19], v101 offset0:192 offset1:224
	s_wait_dscnt 0x0
	s_barrier_signal -1
	s_barrier_wait -1
	v_pk_fma_f16 v106, v29, v26, v24
	v_pk_fma_f16 v113, v28, v26, v25
	global_load_b128 v[24:27], v[34:35], off
	s_wait_xcnt 0x0
	v_mul_u32_u24_e32 v34, 0x10001, v104
	v_mul_u32_u24_e32 v35, 0x10001, v103
	v_pk_fma_f16 v29, v29, v105, v112
	v_pk_fma_f16 v28, v28, v105, v107
	v_mul_u32_u24_e32 v50, 0x10001, v50
	v_pk_fma_f16 v104, v31, v34, v106
	v_pk_fma_f16 v34, v30, v34, v113
	;; [unrolled: 1-line block ×4, first 2 shown]
	v_mul_u32_u24_e32 v35, 0x10001, v102
	global_load_b128 v[28:31], v[32:33], off
	v_lshrrev_b32_e32 v103, 16, v108
	v_and_b32_e32 v105, 0xffff, v108
	v_mul_u32_u24_e32 v45, 0x10001, v45
	v_pk_fma_f16 v104, v21, v35, v104
	v_pk_fma_f16 v113, v20, v35, v34
	global_load_b128 v[32:35], v[42:43], off
	s_wait_xcnt 0x0
	v_mul_u32_u24_e32 v42, 0x10001, v51
	v_mul_u32_u24_e32 v43, 0x10001, v49
	v_pk_fma_f16 v21, v21, v50, v106
	v_pk_fma_f16 v20, v20, v50, v107
	v_lshrrev_b32_e32 v108, 16, v109
	v_pk_fma_f16 v50, v23, v42, v104
	v_pk_fma_f16 v42, v22, v42, v113
	;; [unrolled: 1-line block ×4, first 2 shown]
	global_load_b128 v[20:23], v[40:41], off
	s_wait_xcnt 0x0
	v_mul_u32_u24_e32 v40, 0x10001, v48
	v_mul_u32_u24_e32 v41, 0x10001, v46
	v_mul_u32_u24_e32 v46, 0x10001, v47
	v_and_b32_e32 v109, 0xffff, v109
	v_mul_u32_u24_e32 v47, 0x10001, v105
	v_pk_fma_f16 v50, v1, v40, v50
	v_pk_fma_f16 v1, v1, v41, v51
	;; [unrolled: 1-line block ×4, first 2 shown]
	v_mul_u32_u24_e32 v48, 0x10001, v103
	v_pk_fma_f16 v41, v3, v46, v50
	v_pk_fma_f16 v1, v3, v45, v1
	v_pk_fma_f16 v3, v2, v46, v40
	v_pk_fma_f16 v0, v2, v45, v0
	v_dual_lshrrev_b32 v112, 16, v110 :: v_dual_lshrrev_b32 v102, 16, v111
	v_and_b32_e32 v110, 0xffff, v110
	v_mul_u32_u24_e32 v103, 0x10001, v109
	v_mul_u32_u24_e32 v105, 0x10001, v108
	v_pk_fma_f16 v2, v5, v47, v41
	v_pk_fma_f16 v1, v5, v48, v1
	v_pk_fma_f16 v3, v4, v47, v3
	v_pk_fma_f16 v0, v4, v48, v0
	v_and_b32_e32 v111, 0xffff, v111
	v_mul_u32_u24_e32 v108, 0x10001, v110
	v_mul_u32_u24_e32 v109, 0x10001, v112
	v_pk_fma_f16 v2, v7, v103, v2
	v_pk_fma_f16 v1, v7, v105, v1
	v_pk_fma_f16 v3, v6, v103, v3
	v_pk_fma_f16 v0, v6, v105, v0
	v_dual_lshrrev_b32 v49, 16, v36 :: v_dual_lshrrev_b32 v104, 16, v37
	v_and_b32_e32 v36, 0xffff, v36
	v_mul_u32_u24_e32 v110, 0x10001, v111
	v_mul_u32_u24_e32 v102, 0x10001, v102
	v_pk_fma_f16 v2, v13, v108, v2
	v_pk_fma_f16 v1, v13, v109, v1
	v_pk_fma_f16 v3, v12, v108, v3
	v_pk_fma_f16 v0, v12, v109, v0
	v_and_b32_e32 v37, 0xffff, v37
	v_mul_u32_u24_e32 v36, 0x10001, v36
	;; [unrolled: 15-line block ×3, first 2 shown]
	v_mul_u32_u24_e32 v7, 0x10001, v106
	v_pk_fma_f16 v2, v11, v5, v2
	v_pk_fma_f16 v1, v11, v4, v1
	;; [unrolled: 1-line block ×4, first 2 shown]
	v_mul_u32_u24_e32 v9, 0x10001, v39
	v_pk_fma_f16 v2, v17, v6, v2
	v_mul_u32_u24_e32 v4, 0x10001, v107
	v_pk_fma_f16 v1, v17, v7, v1
	v_pk_fma_f16 v3, v16, v6, v3
	;; [unrolled: 1-line block ×4, first 2 shown]
	s_wait_loadcnt 0x3
	ds_store_b128 v89, v[24:27]
	s_wait_loadcnt 0x2
	ds_store_b128 v92, v[28:31]
	;; [unrolled: 2-line block ×4, first 2 shown]
	s_wait_dscnt 0x0
	s_barrier_signal -1
	s_barrier_wait -1
	ds_load_b128 v[24:27], v91 offset:128
	ds_load_b128 v[36:39], v91 offset:144
	v_pk_fma_f16 v48, v19, v4, v1
	v_pk_fma_f16 v49, v18, v9, v3
	;; [unrolled: 1-line block ×3, first 2 shown]
	ds_load_2addr_b64 v[28:31], v80 offset1:32
	ds_load_b128 v[32:35], v91 offset:160
	ds_load_b128 v[0:3], v91 offset:176
	ds_load_2addr_b64 v[20:23], v80 offset0:64 offset1:96
	ds_load_2addr_b64 v[12:15], v80 offset0:128 offset1:160
	;; [unrolled: 1-line block ×3, first 2 shown]
	ds_load_2addr_b64 v[8:11], v44 offset1:32
	ds_load_2addr_b64 v[4:7], v44 offset0:64 offset1:96
	s_wait_dscnt 0x6
	v_dual_lshrrev_b32 v108, 16, v32 :: v_dual_lshrrev_b32 v106, 16, v33
	v_dual_lshrrev_b32 v51, 16, v24 :: v_dual_lshrrev_b32 v113, 16, v25
	v_and_b32_e32 v24, 0xffff, v24
	v_and_b32_e32 v114, 0xffff, v25
	v_and_b32_e32 v109, 0xffff, v32
	v_and_b32_e32 v107, 0xffff, v33
	v_mul_u32_u24_e32 v33, 0x10001, v51
	v_mul_u32_u24_e32 v32, 0x10001, v24
	v_dual_lshrrev_b32 v115, 16, v26 :: v_dual_lshrrev_b32 v46, 16, v27
	v_and_b32_e32 v116, 0xffff, v26
	v_dual_lshrrev_b32 v41, 16, v36 :: v_dual_lshrrev_b32 v42, 16, v37
	v_and_b32_e32 v45, 0xffff, v36
	;; [unrolled: 2-line block ×3, first 2 shown]
	v_and_b32_e32 v104, 0xffff, v35
	v_mul_u32_u24_e32 v34, 0x10001, v114
	v_pk_fma_f16 v35, v28, v32, v49
	v_pk_fma_f16 v32, v29, v32, v47
	v_mul_u32_u24_e32 v36, 0x10001, v113
	v_pk_fma_f16 v28, v28, v33, v50
	v_pk_fma_f16 v29, v29, v33, v48
	v_and_b32_e32 v117, 0xffff, v27
	v_pk_fma_f16 v47, v30, v34, v35
	v_pk_fma_f16 v48, v31, v34, v32
	v_mul_u32_u24_e32 v49, 0x10001, v116
	v_pk_fma_f16 v28, v30, v36, v28
	v_pk_fma_f16 v29, v31, v36, v29
	v_mul_u32_u24_e32 v30, 0x10001, v115
	v_mul_u32_u24_e32 v31, 0x10001, v117
	s_wait_dscnt 0x4
	v_pk_fma_f16 v47, v20, v49, v47
	v_pk_fma_f16 v48, v21, v49, v48
	v_mul_u32_u24_e32 v46, 0x10001, v46
	v_pk_fma_f16 v20, v20, v30, v28
	v_pk_fma_f16 v21, v21, v30, v29
	v_and_b32_e32 v43, 0xffff, v37
	v_pk_fma_f16 v47, v22, v31, v47
	v_pk_fma_f16 v113, v23, v31, v48
	v_mul_u32_u24_e32 v45, 0x10001, v45
	v_pk_fma_f16 v20, v22, v46, v20
	v_pk_fma_f16 v21, v23, v46, v21
	v_mul_u32_u24_e32 v22, 0x10001, v41
	v_dual_lshrrev_b32 v110, 16, v38 :: v_dual_lshrrev_b32 v111, 16, v39
	v_and_b32_e32 v40, 0xffff, v38
	v_mul_u32_u24_e32 v23, 0x10001, v43
	v_mul_u32_u24_e32 v41, 0x10001, v42
	s_wait_dscnt 0x3
	v_pk_fma_f16 v42, v12, v45, v47
	v_pk_fma_f16 v43, v13, v45, v113
	;; [unrolled: 1-line block ×4, first 2 shown]
	v_and_b32_e32 v112, 0xffff, v39
	v_mul_u32_u24_e32 v20, 0x10001, v40
	v_pk_fma_f16 v21, v14, v23, v42
	v_pk_fma_f16 v22, v15, v23, v43
	;; [unrolled: 1-line block ×4, first 2 shown]
	v_mul_u32_u24_e32 v14, 0x10001, v110
	v_mul_u32_u24_e32 v15, 0x10001, v112
	;; [unrolled: 1-line block ×3, first 2 shown]
	s_wait_dscnt 0x2
	v_pk_fma_f16 v111, v16, v20, v21
	v_pk_fma_f16 v112, v17, v20, v22
	;; [unrolled: 1-line block ×4, first 2 shown]
	ds_load_b128 v[24:27], v91 offset:192
	ds_load_b128 v[32:35], v91 offset:208
	v_mul_u32_u24_e32 v14, 0x10001, v109
	v_pk_fma_f16 v109, v18, v15, v111
	v_pk_fma_f16 v15, v19, v15, v112
	;; [unrolled: 1-line block ×4, first 2 shown]
	v_mul_u32_u24_e32 v108, 0x10001, v108
	ds_load_2addr_b64 v[48:51], v44 offset0:128 offset1:160
	ds_load_2addr_b64 v[40:43], v100 offset1:32
	ds_load_2addr_b64 v[20:23], v100 offset0:64 offset1:96
	ds_load_2addr_b64 v[16:19], v100 offset0:128 offset1:160
	s_wait_dscnt 0x7
	v_pk_fma_f16 v109, v8, v14, v109
	v_pk_fma_f16 v112, v9, v14, v15
	ds_load_2addr_b64 v[12:15], v100 offset0:192 offset1:224
	v_mul_u32_u24_e32 v100, 0x10001, v107
	v_mul_u32_u24_e32 v106, 0x10001, v106
	v_pk_fma_f16 v8, v8, v108, v111
	v_pk_fma_f16 v9, v9, v108, v110
	v_lshrrev_b32_e32 v107, 16, v0
	v_pk_fma_f16 v108, v10, v100, v109
	v_pk_fma_f16 v100, v11, v100, v112
	v_and_b32_e32 v109, 0xffff, v0
	v_pk_fma_f16 v8, v10, v106, v8
	v_pk_fma_f16 v9, v11, v106, v9
	v_mul_u32_u24_e32 v0, 0x10001, v105
	v_mul_u32_u24_e32 v103, 0x10001, v103
	ds_load_2addr_b64 v[44:47], v44 offset0:192 offset1:224
	v_mul_u32_u24_e32 v104, 0x10001, v104
	v_mul_u32_u24_e32 v102, 0x10001, v102
	s_wait_dscnt 0x8
	v_pk_fma_f16 v108, v4, v0, v108
	v_pk_fma_f16 v100, v5, v0, v100
	;; [unrolled: 1-line block ×4, first 2 shown]
	v_lshrrev_b32_e32 v10, 16, v1
	v_and_b32_e32 v11, 0xffff, v1
	s_wait_dscnt 0x7
	v_lshrrev_b32_e32 v103, 16, v24
	v_pk_fma_f16 v8, v6, v104, v108
	v_pk_fma_f16 v9, v7, v104, v100
	v_and_b32_e32 v100, 0xffff, v24
	v_pk_fma_f16 v24, v6, v102, v4
	v_pk_fma_f16 v102, v7, v102, v5
	v_lshrrev_b32_e32 v104, 16, v25
	v_and_b32_e32 v108, 0xffff, v25
	v_mul_u32_u24_e32 v4, 0x10001, v109
	v_mul_u32_u24_e32 v25, 0x10001, v107
	v_dual_lshrrev_b32 v106, 16, v2 :: v_dual_lshrrev_b32 v110, 16, v3
	v_and_b32_e32 v105, 0xffff, v2
	s_wait_dscnt 0x5
	v_pk_fma_f16 v8, v48, v4, v8
	v_pk_fma_f16 v9, v49, v4, v9
	v_mul_u32_u24_e32 v11, 0x10001, v11
	v_mul_u32_u24_e32 v10, 0x10001, v10
	v_pk_fma_f16 v24, v48, v25, v24
	v_pk_fma_f16 v25, v49, v25, v102
	v_and_b32_e32 v111, 0xffff, v3
	v_dual_lshrrev_b32 v112, 16, v26 :: v_dual_lshrrev_b32 v113, 16, v27
	v_and_b32_e32 v109, 0xffff, v26
	v_pk_fma_f16 v8, v50, v11, v8
	v_pk_fma_f16 v9, v51, v11, v9
	;; [unrolled: 1-line block ×4, first 2 shown]
	v_mul_u32_u24_e32 v10, 0x10001, v105
	v_mul_u32_u24_e32 v26, 0x10001, v106
	v_and_b32_e32 v114, 0xffff, v27
	v_mul_u32_u24_e32 v105, 0x10001, v111
	v_mul_u32_u24_e32 v106, 0x10001, v110
	s_wait_dscnt 0x0
	v_pk_fma_f16 v27, v44, v10, v8
	v_pk_fma_f16 v102, v45, v10, v9
	v_pk_fma_f16 v24, v44, v26, v24
	v_pk_fma_f16 v25, v45, v26, v25
	ds_load_2addr_b64 v[0:3], v101 offset1:32
	ds_load_2addr_b64 v[4:7], v101 offset0:64 offset1:96
	ds_load_2addr_b64 v[8:11], v101 offset0:128 offset1:160
	v_pk_fma_f16 v45, v46, v105, v27
	v_pk_fma_f16 v102, v47, v105, v102
	;; [unrolled: 1-line block ×4, first 2 shown]
	ds_load_2addr_b64 v[24:27], v101 offset0:192 offset1:224
	v_mul_u32_u24_e32 v100, 0x10001, v100
	v_mul_u32_u24_e32 v101, 0x10001, v103
	;; [unrolled: 1-line block ×4, first 2 shown]
	ds_load_b128 v[36:39], v91 offset:224
	ds_load_b128 v[28:31], v91 offset:240
	v_pk_fma_f16 v45, v40, v100, v45
	v_pk_fma_f16 v100, v41, v100, v102
	;; [unrolled: 1-line block ×4, first 2 shown]
	v_mul_u32_u24_e32 v101, 0x10001, v112
	v_pk_fma_f16 v45, v42, v103, v45
	v_pk_fma_f16 v46, v43, v103, v100
	;; [unrolled: 1-line block ×4, first 2 shown]
	v_mul_u32_u24_e32 v100, 0x10001, v109
	v_dual_lshrrev_b32 v48, 16, v32 :: v_dual_lshrrev_b32 v49, 16, v33
	v_and_b32_e32 v32, 0xffff, v32
	v_mul_u32_u24_e32 v103, 0x10001, v114
	v_mul_u32_u24_e32 v104, 0x10001, v113
	v_pk_fma_f16 v45, v20, v100, v45
	v_pk_fma_f16 v20, v20, v101, v40
	;; [unrolled: 1-line block ×4, first 2 shown]
	v_and_b32_e32 v33, 0xffff, v33
	v_mul_u32_u24_e32 v32, 0x10001, v32
	v_mul_u32_u24_e32 v48, 0x10001, v48
	v_pk_fma_f16 v41, v22, v103, v45
	v_pk_fma_f16 v20, v22, v104, v20
	;; [unrolled: 1-line block ×4, first 2 shown]
	v_dual_lshrrev_b32 v50, 16, v34 :: v_dual_lshrrev_b32 v51, 16, v35
	v_and_b32_e32 v34, 0xffff, v34
	v_mul_u32_u24_e32 v33, 0x10001, v33
	v_mul_u32_u24_e32 v49, 0x10001, v49
	v_pk_fma_f16 v40, v16, v32, v41
	v_pk_fma_f16 v16, v16, v48, v20
	;; [unrolled: 1-line block ×4, first 2 shown]
	v_and_b32_e32 v35, 0xffff, v35
	v_mul_u32_u24_e32 v34, 0x10001, v34
	v_mul_u32_u24_e32 v50, 0x10001, v50
	v_pk_fma_f16 v22, v18, v33, v40
	v_pk_fma_f16 v16, v18, v49, v16
	;; [unrolled: 1-line block ×4, first 2 shown]
	s_wait_dscnt 0x1
	v_dual_lshrrev_b32 v44, 16, v36 :: v_dual_lshrrev_b32 v105, 16, v37
	v_and_b32_e32 v36, 0xffff, v36
	v_mul_u32_u24_e32 v35, 0x10001, v35
	v_mul_u32_u24_e32 v51, 0x10001, v51
	v_pk_fma_f16 v20, v12, v34, v22
	v_pk_fma_f16 v12, v12, v50, v16
	;; [unrolled: 1-line block ×4, first 2 shown]
	v_and_b32_e32 v37, 0xffff, v37
	v_mul_u32_u24_e32 v36, 0x10001, v36
	v_mul_u32_u24_e32 v44, 0x10001, v44
	v_pk_fma_f16 v18, v14, v35, v20
	v_pk_fma_f16 v12, v14, v51, v12
	;; [unrolled: 1-line block ×4, first 2 shown]
	v_dual_lshrrev_b32 v106, 16, v38 :: v_dual_lshrrev_b32 v107, 16, v39
	v_and_b32_e32 v38, 0xffff, v38
	v_mul_u32_u24_e32 v37, 0x10001, v37
	v_mul_u32_u24_e32 v105, 0x10001, v105
	v_pk_fma_f16 v16, v0, v36, v18
	v_pk_fma_f16 v0, v0, v44, v12
	;; [unrolled: 1-line block ×4, first 2 shown]
	v_and_b32_e32 v39, 0xffff, v39
	v_mul_u32_u24_e32 v38, 0x10001, v38
	v_mul_u32_u24_e32 v23, 0x10001, v106
	v_pk_fma_f16 v14, v2, v37, v16
	v_pk_fma_f16 v0, v2, v105, v0
	;; [unrolled: 1-line block ×4, first 2 shown]
	s_wait_dscnt 0x0
	v_dual_lshrrev_b32 v102, 16, v28 :: v_dual_lshrrev_b32 v47, 16, v29
	v_and_b32_e32 v28, 0xffff, v28
	v_mul_u32_u24_e32 v21, 0x10001, v39
	v_mul_u32_u24_e32 v19, 0x10001, v107
	v_pk_fma_f16 v12, v4, v38, v14
	v_pk_fma_f16 v0, v4, v23, v0
	;; [unrolled: 1-line block ×4, first 2 shown]
	s_barrier_signal -1
	s_barrier_wait -1
	s_load_b32 s2, s[26:27], 0x4
	v_and_b32_e32 v29, 0xffff, v29
	v_mul_u32_u24_e32 v17, 0x10001, v28
	v_mul_u32_u24_e32 v15, 0x10001, v102
	v_pk_fma_f16 v5, v6, v21, v12
	v_pk_fma_f16 v0, v6, v19, v0
	;; [unrolled: 1-line block ×4, first 2 shown]
	v_dual_lshrrev_b32 v42, 16, v30 :: v_dual_lshrrev_b32 v43, 16, v31
	v_and_b32_e32 v30, 0xffff, v30
	v_mul_u32_u24_e32 v13, 0x10001, v29
	v_mul_u32_u24_e32 v3, 0x10001, v47
	v_pk_fma_f16 v5, v8, v17, v5
	v_pk_fma_f16 v0, v8, v15, v0
	;; [unrolled: 1-line block ×4, first 2 shown]
	v_and_b32_e32 v31, 0xffff, v31
	v_mul_u32_u24_e32 v4, 0x10001, v30
	v_mul_u32_u24_e32 v6, 0x10001, v42
	v_pk_fma_f16 v5, v10, v13, v5
	v_pk_fma_f16 v0, v10, v3, v0
	;; [unrolled: 1-line block ×4, first 2 shown]
	v_mul_u32_u24_e32 v7, 0x10001, v31
	v_mul_u32_u24_e32 v3, 0x10001, v43
	v_pk_fma_f16 v5, v24, v4, v5
	v_pk_fma_f16 v0, v24, v6, v0
	;; [unrolled: 1-line block ×4, first 2 shown]
	s_wait_kmcnt 0x0
	s_lshl_b32 s2, s2, 6
	v_pk_fma_f16 v24, v26, v7, v5
	v_pk_fma_f16 v22, v26, v3, v0
	;; [unrolled: 1-line block ×4, first 2 shown]
	s_add_co_i32 s10, s2, s10
	s_delay_alu instid0(SALU_CYCLE_1)
	s_cmp_ge_i32 s10, s30
	s_cbranch_scc1 .LBB74_27
; %bb.26:                               ;   in Loop: Header=BB74_9 Depth=1
	v_dual_mov_b32 v17, v76 :: v_dual_mov_b32 v16, v77
	s_branch .LBB74_9
.LBB74_27:
	v_mov_b32_e32 v3, v81
.LBB74_28:
	v_cmp_lt_i32_e32 vcc_lo, v99, v82
	s_cmp_lg_u64 s[12:13], 0
	s_cselect_b32 s2, -1, 0
	s_cmp_eq_u32 s31, 0
	v_cndmask_b32_e32 v0, v3, v99, vcc_lo
	v_cmp_lt_i32_e32 vcc_lo, v95, v82
	s_cselect_b32 s3, -1, 0
	s_delay_alu instid0(SALU_CYCLE_1) | instskip(SKIP_2) | instid1(VALU_DEP_2)
	s_and_b32 s2, s3, s2
	v_cndmask_b32_e32 v2, v3, v95, vcc_lo
	v_cmp_lt_i32_e32 vcc_lo, v96, v82
	v_dual_lshlrev_b32 v2, 2, v2 :: v_dual_lshlrev_b32 v1, 2, v0
	ds_bpermute_b32 v0, v1, v56
	ds_bpermute_b32 v1, v1, v57
	s_wait_dscnt 0x0
	v_pk_add_f32 v[0:1], v[56:57], v[0:1]
	ds_bpermute_b32 v4, v2, v0
	ds_bpermute_b32 v5, v2, v1
	v_cndmask_b32_e32 v2, v3, v96, vcc_lo
	v_cmp_lt_i32_e32 vcc_lo, v97, v82
	s_delay_alu instid0(VALU_DEP_2)
	v_lshlrev_b32_e32 v2, 2, v2
	s_wait_dscnt 0x0
	v_pk_add_f32 v[0:1], v[0:1], v[4:5]
	ds_bpermute_b32 v4, v2, v0
	ds_bpermute_b32 v5, v2, v1
	v_cndmask_b32_e32 v2, v3, v97, vcc_lo
	v_cmp_lt_i32_e32 vcc_lo, v98, v82
	s_delay_alu instid0(VALU_DEP_2)
	v_lshlrev_b32_e32 v2, 2, v2
	s_wait_dscnt 0x0
	v_pk_add_f32 v[0:1], v[0:1], v[4:5]
	ds_bpermute_b32 v4, v2, v0
	ds_bpermute_b32 v5, v2, v1
	v_cndmask_b32_e32 v2, v3, v98, vcc_lo
	s_and_b32 vcc_lo, exec_lo, s2
	s_mov_b32 s2, 0
	s_delay_alu instid0(VALU_DEP_1)
	v_lshlrev_b32_e32 v2, 2, v2
	s_wait_dscnt 0x0
	v_pk_add_f32 v[0:1], v[0:1], v[4:5]
	ds_bpermute_b32 v4, v2, v0
	ds_bpermute_b32 v5, v2, v1
	v_add_nc_u32_e32 v2, s33, v52
	s_cbranch_vccnz .LBB74_31
; %bb.29:
	v_add_nc_u32_e32 v3, s33, v52
	s_wait_dscnt 0x0
	v_pk_add_f32 v[0:1], v[0:1], v[4:5]
	s_and_not1_b32 vcc_lo, exec_lo, s2
	s_cbranch_vccz .LBB74_32
; %bb.30:
	v_mov_b32_e32 v2, v3
	s_branch .LBB74_33
.LBB74_31:
                                        ; implicit-def: $vgpr3
	s_wait_dscnt 0x0
	v_pk_add_f32 v[0:1], v[0:1], v[4:5]
.LBB74_32:
	s_delay_alu instid0(VALU_DEP_2) | instskip(NEXT) | instid1(VALU_DEP_1)
	v_dual_ashrrev_i32 v3, 31, v2 :: v_dual_max_num_f32 v7, v77, v77
	v_lshl_add_u64 v[4:5], v[2:3], 2, s[12:13]
	v_max_num_f32_e32 v3, v76, v76
	global_load_b64 v[4:5], v[4:5], off
	s_wait_loadcnt 0x0
	v_dual_max_num_f32 v6, v4, v4 :: v_dual_max_num_f32 v8, v5, v5
	s_delay_alu instid0(VALU_DEP_1) | instskip(NEXT) | instid1(VALU_DEP_1)
	v_max_num_f32_e32 v6, v3, v6
	v_dual_max_num_f32 v7, v7, v8 :: v_dual_sub_f32 v3, v76, v6
	s_delay_alu instid0(VALU_DEP_1) | instskip(SKIP_2) | instid1(VALU_DEP_3)
	v_dual_sub_f32 v8, v4, v6 :: v_dual_sub_f32 v9, v77, v7
	v_sub_f32_e32 v10, v5, v7
	v_mov_b64_e32 v[76:77], v[6:7]
	v_dual_mul_f32 v4, 0x3fb8aa3b, v3 :: v_dual_mul_f32 v5, 0x3fb8aa3b, v8
	s_delay_alu instid0(VALU_DEP_4) | instskip(SKIP_1) | instid1(VALU_DEP_3)
	v_mul_f32_e32 v11, 0x3fb8aa3b, v9
	v_cmp_ngt_f32_e32 vcc_lo, 0xc2ce8ed0, v3
	v_fma_f32 v13, 0x3fb8aa3b, v3, -v4
	v_rndne_f32_e32 v14, v4
	s_delay_alu instid0(VALU_DEP_4) | instskip(SKIP_2) | instid1(VALU_DEP_4)
	v_rndne_f32_e32 v18, v11
	v_fma_f32 v17, 0x3fb8aa3b, v9, -v11
	v_rndne_f32_e32 v16, v5
	v_dual_fmac_f32 v13, 0x32a5705f, v3 :: v_dual_sub_f32 v4, v4, v14
	s_delay_alu instid0(VALU_DEP_4) | instskip(SKIP_4) | instid1(VALU_DEP_4)
	v_sub_f32_e32 v11, v11, v18
	v_mul_f32_e32 v12, 0x3fb8aa3b, v10
	v_fma_f32 v15, 0x3fb8aa3b, v8, -v5
	v_cvt_i32_f32_e32 v14, v14
	v_dual_add_f32 v4, v4, v13 :: v_dual_sub_f32 v5, v5, v16
	v_fma_f32 v19, 0x3fb8aa3b, v10, -v12
	v_rndne_f32_e32 v20, v12
	v_fmac_f32_e32 v17, 0x32a5705f, v9
	s_delay_alu instid0(VALU_DEP_4) | instskip(SKIP_1) | instid1(VALU_DEP_3)
	v_exp_f32_e32 v4, v4
	v_cvt_i32_f32_e32 v13, v16
	v_sub_f32_e32 v12, v12, v20
	v_cvt_i32_f32_e32 v16, v20
	s_delay_alu instid0(TRANS32_DEP_1) | instskip(NEXT) | instid1(VALU_DEP_1)
	v_ldexp_f32 v4, v4, v14
	v_dual_fmac_f32 v19, 0x32a5705f, v10 :: v_dual_cndmask_b32 v4, 0, v4
	s_delay_alu instid0(VALU_DEP_1) | instskip(SKIP_2) | instid1(VALU_DEP_3)
	v_dual_fmac_f32 v15, 0x32a5705f, v8 :: v_dual_add_f32 v12, v12, v19
	v_add_f32_e32 v11, v11, v17
	v_cmp_ngt_f32_e32 vcc_lo, 0xc2ce8ed0, v9
	v_add_f32_e32 v5, v5, v15
	v_cvt_i32_f32_e32 v15, v18
	s_delay_alu instid0(VALU_DEP_4) | instskip(SKIP_1) | instid1(VALU_DEP_2)
	v_exp_f32_e32 v11, v11
	v_exp_f32_e32 v12, v12
	;; [unrolled: 1-line block ×3, first 2 shown]
	s_delay_alu instid0(TRANS32_DEP_3) | instskip(NEXT) | instid1(VALU_DEP_1)
	v_ldexp_f32 v11, v11, v15
	v_cndmask_b32_e32 v11, 0, v11, vcc_lo
	v_cmp_nlt_f32_e32 vcc_lo, 0x42b17218, v3
	s_delay_alu instid0(TRANS32_DEP_1)
	v_ldexp_f32 v3, v5, v13
	v_cndmask_b32_e32 v4, 0x7f800000, v4, vcc_lo
	v_cmp_nlt_f32_e32 vcc_lo, 0x42b17218, v9
	v_ldexp_f32 v9, v12, v16
	v_cndmask_b32_e32 v5, 0x7f800000, v11, vcc_lo
	v_cmp_ngt_f32_e32 vcc_lo, 0xc2ce8ed0, v8
	v_cvt_f16_f32_e32 v11, v4
	s_delay_alu instid0(VALU_DEP_3) | instskip(SKIP_2) | instid1(VALU_DEP_4)
	v_cvt_f16_f32_e32 v12, v5
	v_cndmask_b32_e32 v3, 0, v3, vcc_lo
	v_cmp_ngt_f32_e32 vcc_lo, 0xc2ce8ed0, v10
	v_and_b32_e32 v11, 0xffff, v11
	v_cndmask_b32_e32 v9, 0, v9, vcc_lo
	v_cmp_nlt_f32_e32 vcc_lo, 0x42b17218, v8
	v_cndmask_b32_e32 v8, 0x7f800000, v3, vcc_lo
	v_and_b32_e32 v3, 0xffff, v12
	v_cmp_nlt_f32_e32 vcc_lo, 0x42b17218, v10
	v_mul_u32_u24_e32 v10, 0x10001, v11
	s_delay_alu instid0(VALU_DEP_3) | instskip(SKIP_1) | instid1(VALU_DEP_3)
	v_mul_u32_u24_e32 v3, 0x10001, v3
	v_cndmask_b32_e32 v9, 0x7f800000, v9, vcc_lo
	v_pk_mul_f16 v24, v24, v10
	v_pk_mul_f16 v25, v25, v10
	s_delay_alu instid0(VALU_DEP_4) | instskip(NEXT) | instid1(VALU_DEP_4)
	v_pk_mul_f16 v22, v22, v3
	v_pk_fma_f32 v[0:1], v[0:1], v[4:5], v[8:9]
	v_pk_mul_f16 v23, v23, v3
.LBB74_33:
	s_load_b32 s0, s[0:1], 0xd4
	v_mov_b32_e32 v4, 1.0
	s_wait_kmcnt 0x0
	s_cmp_lg_u32 s0, 1
	s_cselect_b32 s2, -1, 0
	s_cmp_eq_u32 s0, 1
	s_cselect_b32 s1, -1, 0
	s_and_b32 vcc_lo, exec_lo, s2
	s_cbranch_vccnz .LBB74_35
; %bb.34:
	v_div_scale_f32 v3, null, v0, v0, 1.0
	s_delay_alu instid0(VALU_DEP_1) | instskip(SKIP_1) | instid1(TRANS32_DEP_1)
	v_rcp_f32_e32 v4, v3
	v_nop
	v_fma_f32 v5, -v3, v4, 1.0
	s_delay_alu instid0(VALU_DEP_1) | instskip(SKIP_1) | instid1(VALU_DEP_1)
	v_fmac_f32_e32 v4, v5, v4
	v_div_scale_f32 v5, vcc_lo, 1.0, v0, 1.0
	v_mul_f32_e32 v6, v5, v4
	s_delay_alu instid0(VALU_DEP_1) | instskip(NEXT) | instid1(VALU_DEP_1)
	v_fma_f32 v7, -v3, v6, v5
	v_fmac_f32_e32 v6, v7, v4
	s_delay_alu instid0(VALU_DEP_1) | instskip(NEXT) | instid1(VALU_DEP_1)
	v_fma_f32 v3, -v3, v6, v5
	v_div_fmas_f32 v3, v3, v4, v6
	s_delay_alu instid0(VALU_DEP_1)
	v_div_fixup_f32 v4, v3, v0, 1.0
.LBB74_35:
	v_mad_u32 v3, s28, s22, v78
	v_lshrrev_b32_e32 v5, 16, v25
	v_cvt_f32_f16_e32 v6, v24
	v_cvt_f32_f16_e32 v10, v25
	v_cmp_eq_u32_e32 vcc_lo, 0, v53
	v_mov_b32_e32 v9, 0
	v_cvt_f32_f16_e32 v11, v5
	s_and_b32 s2, vcc_lo, s2
	v_mad_u32 v2, v3, s23, v2
	v_lshrrev_b32_e32 v3, 16, v24
	s_delay_alu instid0(VALU_DEP_1) | instskip(NEXT) | instid1(VALU_DEP_1)
	v_cvt_f32_f16_e32 v7, v3
	v_pk_mul_f32 v[6:7], v[4:5], v[6:7] op_sel_hi:[0,1]
	s_delay_alu instid0(VALU_DEP_4) | instskip(NEXT) | instid1(VALU_DEP_1)
	v_mad_u32 v2, s0, v2, s31
	v_lshl_add_u32 v8, v2, 7, v79
	s_delay_alu instid0(VALU_DEP_1)
	v_lshl_add_u64 v[12:13], v[8:9], 2, s[16:17]
	v_pk_mul_f32 v[8:9], v[4:5], v[10:11] op_sel_hi:[0,1]
	global_store_b128 v[12:13], v[6:9], off
	s_wait_xcnt 0x0
	s_and_saveexec_b32 s3, s2
	s_cbranch_execz .LBB74_37
; %bb.36:
	v_dual_mov_b32 v4, v76 :: v_dual_mov_b32 v5, v0
	global_store_b64 v2, v[4:5], s[18:19] scale_offset
.LBB74_37:
	s_wait_xcnt 0x0
	s_or_b32 exec_lo, exec_lo, s3
	v_mov_b32_e32 v0, 1.0
	s_and_not1_b32 vcc_lo, exec_lo, s1
	s_cbranch_vccnz .LBB74_39
; %bb.38:
	v_div_scale_f32 v0, null, v1, v1, 1.0
	s_delay_alu instid0(VALU_DEP_1) | instskip(SKIP_1) | instid1(TRANS32_DEP_1)
	v_rcp_f32_e32 v3, v0
	v_nop
	v_fma_f32 v4, -v0, v3, 1.0
	s_delay_alu instid0(VALU_DEP_1) | instskip(SKIP_1) | instid1(VALU_DEP_1)
	v_fmac_f32_e32 v3, v4, v3
	v_div_scale_f32 v4, vcc_lo, 1.0, v1, 1.0
	v_mul_f32_e32 v5, v4, v3
	s_delay_alu instid0(VALU_DEP_1) | instskip(NEXT) | instid1(VALU_DEP_1)
	v_fma_f32 v6, -v0, v5, v4
	v_fmac_f32_e32 v5, v6, v3
	s_delay_alu instid0(VALU_DEP_1) | instskip(NEXT) | instid1(VALU_DEP_1)
	v_fma_f32 v0, -v0, v5, v4
	v_div_fmas_f32 v0, v0, v3, v5
	s_delay_alu instid0(VALU_DEP_1)
	v_div_fixup_f32 v0, v0, v1, 1.0
.LBB74_39:
	v_dual_mov_b32 v5, 0 :: v_dual_add_nc_u32 v2, s0, v2
	v_dual_lshrrev_b32 v3, 16, v22 :: v_dual_lshrrev_b32 v9, 16, v23
	v_cvt_f32_f16_e32 v6, v22
	s_delay_alu instid0(VALU_DEP_3) | instskip(SKIP_1) | instid1(VALU_DEP_4)
	v_lshl_add_u32 v4, v2, 7, v79
	v_cvt_f32_f16_e32 v8, v23
	v_cvt_f32_f16_e32 v7, v3
	;; [unrolled: 1-line block ×3, first 2 shown]
	s_delay_alu instid0(VALU_DEP_4) | instskip(NEXT) | instid1(VALU_DEP_3)
	v_lshl_add_u64 v[10:11], v[4:5], 2, s[16:17]
	v_pk_mul_f32 v[4:5], v[0:1], v[6:7] op_sel_hi:[0,1]
	s_delay_alu instid0(VALU_DEP_3)
	v_pk_mul_f32 v[6:7], v[0:1], v[8:9] op_sel_hi:[0,1]
	global_store_b128 v[10:11], v[4:7], off
	s_wait_xcnt 0x0
	s_and_saveexec_b32 s0, s2
	s_cbranch_execz .LBB74_41
; %bb.40:
	v_mov_b32_e32 v0, v77
	global_store_b64 v2, v[0:1], s[18:19] scale_offset
.LBB74_41:
	s_sendmsg sendmsg(MSG_DEALLOC_VGPRS)
	s_endpgm
	.section	.rodata,"a",@progbits
	.p2align	6, 0x0
	.amdhsa_kernel _ZL15flash_attn_tileILi128ELi128ELi1ELi8ELb1EEvPKcS1_S1_S1_S1_PKiPfP15HIP_vector_typeIfLj2EEffffjfiS5_IjLj3EEiiiiiiiiiiiliiliiiiil
		.amdhsa_group_segment_fixed_size 12288
		.amdhsa_private_segment_fixed_size 0
		.amdhsa_kernarg_size 464
		.amdhsa_user_sgpr_count 2
		.amdhsa_user_sgpr_dispatch_ptr 0
		.amdhsa_user_sgpr_queue_ptr 0
		.amdhsa_user_sgpr_kernarg_segment_ptr 1
		.amdhsa_user_sgpr_dispatch_id 0
		.amdhsa_user_sgpr_kernarg_preload_length 0
		.amdhsa_user_sgpr_kernarg_preload_offset 0
		.amdhsa_user_sgpr_private_segment_size 0
		.amdhsa_wavefront_size32 1
		.amdhsa_uses_dynamic_stack 0
		.amdhsa_enable_private_segment 0
		.amdhsa_system_sgpr_workgroup_id_x 1
		.amdhsa_system_sgpr_workgroup_id_y 1
		.amdhsa_system_sgpr_workgroup_id_z 1
		.amdhsa_system_sgpr_workgroup_info 0
		.amdhsa_system_vgpr_workitem_id 1
		.amdhsa_next_free_vgpr 118
		.amdhsa_next_free_sgpr 42
		.amdhsa_named_barrier_count 0
		.amdhsa_reserve_vcc 1
		.amdhsa_float_round_mode_32 0
		.amdhsa_float_round_mode_16_64 0
		.amdhsa_float_denorm_mode_32 3
		.amdhsa_float_denorm_mode_16_64 3
		.amdhsa_fp16_overflow 0
		.amdhsa_memory_ordered 1
		.amdhsa_forward_progress 1
		.amdhsa_inst_pref_size 90
		.amdhsa_round_robin_scheduling 0
		.amdhsa_exception_fp_ieee_invalid_op 0
		.amdhsa_exception_fp_denorm_src 0
		.amdhsa_exception_fp_ieee_div_zero 0
		.amdhsa_exception_fp_ieee_overflow 0
		.amdhsa_exception_fp_ieee_underflow 0
		.amdhsa_exception_fp_ieee_inexact 0
		.amdhsa_exception_int_div_zero 0
	.end_amdhsa_kernel
	.section	.text._ZL15flash_attn_tileILi128ELi128ELi1ELi8ELb1EEvPKcS1_S1_S1_S1_PKiPfP15HIP_vector_typeIfLj2EEffffjfiS5_IjLj3EEiiiiiiiiiiiliiliiiiil,"axG",@progbits,_ZL15flash_attn_tileILi128ELi128ELi1ELi8ELb1EEvPKcS1_S1_S1_S1_PKiPfP15HIP_vector_typeIfLj2EEffffjfiS5_IjLj3EEiiiiiiiiiiiliiliiiiil,comdat
.Lfunc_end74:
	.size	_ZL15flash_attn_tileILi128ELi128ELi1ELi8ELb1EEvPKcS1_S1_S1_S1_PKiPfP15HIP_vector_typeIfLj2EEffffjfiS5_IjLj3EEiiiiiiiiiiiliiliiiiil, .Lfunc_end74-_ZL15flash_attn_tileILi128ELi128ELi1ELi8ELb1EEvPKcS1_S1_S1_S1_PKiPfP15HIP_vector_typeIfLj2EEffffjfiS5_IjLj3EEiiiiiiiiiiiliiliiiiil
                                        ; -- End function
	.set _ZL15flash_attn_tileILi128ELi128ELi1ELi8ELb1EEvPKcS1_S1_S1_S1_PKiPfP15HIP_vector_typeIfLj2EEffffjfiS5_IjLj3EEiiiiiiiiiiiliiliiiiil.num_vgpr, 118
	.set _ZL15flash_attn_tileILi128ELi128ELi1ELi8ELb1EEvPKcS1_S1_S1_S1_PKiPfP15HIP_vector_typeIfLj2EEffffjfiS5_IjLj3EEiiiiiiiiiiiliiliiiiil.num_agpr, 0
	.set _ZL15flash_attn_tileILi128ELi128ELi1ELi8ELb1EEvPKcS1_S1_S1_S1_PKiPfP15HIP_vector_typeIfLj2EEffffjfiS5_IjLj3EEiiiiiiiiiiiliiliiiiil.numbered_sgpr, 42
	.set _ZL15flash_attn_tileILi128ELi128ELi1ELi8ELb1EEvPKcS1_S1_S1_S1_PKiPfP15HIP_vector_typeIfLj2EEffffjfiS5_IjLj3EEiiiiiiiiiiiliiliiiiil.num_named_barrier, 0
	.set _ZL15flash_attn_tileILi128ELi128ELi1ELi8ELb1EEvPKcS1_S1_S1_S1_PKiPfP15HIP_vector_typeIfLj2EEffffjfiS5_IjLj3EEiiiiiiiiiiiliiliiiiil.private_seg_size, 0
	.set _ZL15flash_attn_tileILi128ELi128ELi1ELi8ELb1EEvPKcS1_S1_S1_S1_PKiPfP15HIP_vector_typeIfLj2EEffffjfiS5_IjLj3EEiiiiiiiiiiiliiliiiiil.uses_vcc, 1
	.set _ZL15flash_attn_tileILi128ELi128ELi1ELi8ELb1EEvPKcS1_S1_S1_S1_PKiPfP15HIP_vector_typeIfLj2EEffffjfiS5_IjLj3EEiiiiiiiiiiiliiliiiiil.uses_flat_scratch, 0
	.set _ZL15flash_attn_tileILi128ELi128ELi1ELi8ELb1EEvPKcS1_S1_S1_S1_PKiPfP15HIP_vector_typeIfLj2EEffffjfiS5_IjLj3EEiiiiiiiiiiiliiliiiiil.has_dyn_sized_stack, 0
	.set _ZL15flash_attn_tileILi128ELi128ELi1ELi8ELb1EEvPKcS1_S1_S1_S1_PKiPfP15HIP_vector_typeIfLj2EEffffjfiS5_IjLj3EEiiiiiiiiiiiliiliiiiil.has_recursion, 0
	.set _ZL15flash_attn_tileILi128ELi128ELi1ELi8ELb1EEvPKcS1_S1_S1_S1_PKiPfP15HIP_vector_typeIfLj2EEffffjfiS5_IjLj3EEiiiiiiiiiiiliiliiiiil.has_indirect_call, 0
	.section	.AMDGPU.csdata,"",@progbits
; Kernel info:
; codeLenInByte = 11456
; TotalNumSgprs: 44
; NumVgprs: 118
; ScratchSize: 0
; MemoryBound: 0
; FloatMode: 240
; IeeeMode: 1
; LDSByteSize: 12288 bytes/workgroup (compile time only)
; SGPRBlocks: 0
; VGPRBlocks: 7
; NumSGPRsForWavesPerEU: 44
; NumVGPRsForWavesPerEU: 118
; NamedBarCnt: 0
; Occupancy: 8
; WaveLimiterHint : 1
; COMPUTE_PGM_RSRC2:SCRATCH_EN: 0
; COMPUTE_PGM_RSRC2:USER_SGPR: 2
; COMPUTE_PGM_RSRC2:TRAP_HANDLER: 0
; COMPUTE_PGM_RSRC2:TGID_X_EN: 1
; COMPUTE_PGM_RSRC2:TGID_Y_EN: 1
; COMPUTE_PGM_RSRC2:TGID_Z_EN: 1
; COMPUTE_PGM_RSRC2:TIDIG_COMP_CNT: 1
	.section	.text._ZL15flash_attn_tileILi128ELi128ELi16ELi4ELb1EEvPKcS1_S1_S1_S1_PKiPfP15HIP_vector_typeIfLj2EEffffjfiS5_IjLj3EEiiiiiiiiiiiliiliiiiil,"axG",@progbits,_ZL15flash_attn_tileILi128ELi128ELi16ELi4ELb1EEvPKcS1_S1_S1_S1_PKiPfP15HIP_vector_typeIfLj2EEffffjfiS5_IjLj3EEiiiiiiiiiiiliiliiiiil,comdat
	.globl	_ZL15flash_attn_tileILi128ELi128ELi16ELi4ELb1EEvPKcS1_S1_S1_S1_PKiPfP15HIP_vector_typeIfLj2EEffffjfiS5_IjLj3EEiiiiiiiiiiiliiliiiiil ; -- Begin function _ZL15flash_attn_tileILi128ELi128ELi16ELi4ELb1EEvPKcS1_S1_S1_S1_PKiPfP15HIP_vector_typeIfLj2EEffffjfiS5_IjLj3EEiiiiiiiiiiiliiliiiiil
	.p2align	8
	.type	_ZL15flash_attn_tileILi128ELi128ELi16ELi4ELb1EEvPKcS1_S1_S1_S1_PKiPfP15HIP_vector_typeIfLj2EEffffjfiS5_IjLj3EEiiiiiiiiiiiliiliiiiil,@function
_ZL15flash_attn_tileILi128ELi128ELi16ELi4ELb1EEvPKcS1_S1_S1_S1_PKiPfP15HIP_vector_typeIfLj2EEffffjfiS5_IjLj3EEiiiiiiiiiiiliiliiiiil: ; @_ZL15flash_attn_tileILi128ELi128ELi16ELi4ELb1EEvPKcS1_S1_S1_S1_PKiPfP15HIP_vector_typeIfLj2EEffffjfiS5_IjLj3EEiiiiiiiiiiiliiliiiiil
; %bb.0:
	s_clause 0x1
	s_load_b128 s[20:23], s[0:1], 0x5c
	s_load_b64 s[34:35], s[0:1], 0x80
	s_bfe_u32 s5, ttmp6, 0x40014
	s_lshr_b32 s4, ttmp7, 16
	s_add_co_i32 s5, s5, 1
	s_bfe_u32 s6, ttmp6, 0x40008
	s_mul_i32 s5, s4, s5
	s_getreg_b32 s27, hwreg(HW_REG_IB_STS2, 6, 4)
	s_add_co_i32 s6, s6, s5
	s_load_b64 s[38:39], s[0:1], 0xb8
	s_mov_b64 s[36:37], 0
	s_wait_kmcnt 0x0
	s_ashr_i32 s2, s23, 31
	s_delay_alu instid0(SALU_CYCLE_1) | instskip(NEXT) | instid1(SALU_CYCLE_1)
	s_lshr_b32 s2, s2, 30
	s_add_co_i32 s2, s23, s2
	s_delay_alu instid0(SALU_CYCLE_1) | instskip(NEXT) | instid1(SALU_CYCLE_1)
	s_ashr_i32 s2, s2, 2
	s_cvt_f32_u32 s3, s2
	s_sub_co_i32 s7, 0, s2
	s_delay_alu instid0(SALU_CYCLE_2) | instskip(SKIP_1) | instid1(TRANS32_DEP_1)
	v_rcp_iflag_f32_e32 v1, s3
	v_nop
	v_readfirstlane_b32 s3, v1
	s_mul_f32 s3, s3, 0x4f7ffffe
	s_delay_alu instid0(SALU_CYCLE_3) | instskip(NEXT) | instid1(SALU_CYCLE_3)
	s_cvt_u32_f32 s3, s3
	s_mul_i32 s7, s7, s3
	s_delay_alu instid0(SALU_CYCLE_1) | instskip(NEXT) | instid1(SALU_CYCLE_1)
	s_mul_hi_u32 s7, s3, s7
	s_add_co_i32 s3, s3, s7
	s_cmp_eq_u32 s27, 0
	s_cselect_b32 s4, s4, s6
	s_delay_alu instid0(SALU_CYCLE_1) | instskip(NEXT) | instid1(SALU_CYCLE_1)
	s_mul_hi_u32 s3, s4, s3
	s_mul_i32 s5, s3, s2
	s_add_co_i32 s6, s3, 1
	s_sub_co_i32 s5, s4, s5
	s_delay_alu instid0(SALU_CYCLE_1)
	s_sub_co_i32 s7, s5, s2
	s_cmp_ge_u32 s5, s2
	s_cselect_b32 s3, s6, s3
	s_cselect_b32 s5, s7, s5
	s_add_co_i32 s6, s3, 1
	s_cmp_ge_u32 s5, s2
	s_cselect_b32 s30, s6, s3
	s_abs_i32 s2, s35
	s_abs_i32 s7, s23
	s_cvt_f32_u32 s3, s2
	s_sub_co_i32 s5, 0, s2
	s_lshl_b32 s4, s4, 2
	s_mul_i32 s6, s30, s23
	v_rcp_iflag_f32_e32 v1, s3
	s_sub_co_i32 s28, s4, s6
	s_xor_b32 s4, s23, s35
	s_delay_alu instid0(SALU_CYCLE_1) | instskip(SKIP_1) | instid1(TRANS32_DEP_1)
	s_ashr_i32 s24, s4, 31
	v_nop
	v_readfirstlane_b32 s3, v1
	s_mul_f32 s3, s3, 0x4f7ffffe
	s_delay_alu instid0(SALU_CYCLE_3) | instskip(NEXT) | instid1(SALU_CYCLE_3)
	s_cvt_u32_f32 s3, s3
	s_mul_i32 s5, s5, s3
	s_delay_alu instid0(SALU_CYCLE_1) | instskip(NEXT) | instid1(SALU_CYCLE_1)
	s_mul_hi_u32 s5, s3, s5
	s_add_co_i32 s3, s3, s5
	s_delay_alu instid0(SALU_CYCLE_1) | instskip(NEXT) | instid1(SALU_CYCLE_1)
	s_mul_hi_u32 s3, s7, s3
	s_mul_i32 s5, s3, s2
	s_delay_alu instid0(SALU_CYCLE_1)
	s_sub_co_i32 s4, s7, s5
	s_add_co_i32 s5, s3, 1
	s_sub_co_i32 s6, s4, s2
	s_cmp_ge_u32 s4, s2
	s_cselect_b32 s3, s5, s3
	s_cselect_b32 s4, s6, s4
	s_add_co_i32 s5, s3, 1
	s_cmp_ge_u32 s4, s2
	s_cselect_b32 s2, s5, s3
	s_load_b512 s[4:19], s[0:1], 0x0
	s_xor_b32 s2, s2, s24
	s_mov_b32 s3, 0
	s_sub_co_i32 s31, s2, s24
	s_delay_alu instid0(SALU_CYCLE_1) | instskip(NEXT) | instid1(SALU_CYCLE_1)
	s_abs_i32 s29, s31
	s_cvt_f32_u32 s2, s29
	s_delay_alu instid0(SALU_CYCLE_3) | instskip(SKIP_1) | instid1(TRANS32_DEP_1)
	v_rcp_iflag_f32_e32 v1, s2
	v_nop
	v_readfirstlane_b32 s2, v1
	s_wait_kmcnt 0x0
	s_cmp_eq_u64 s[10:11], 0
	s_cbranch_scc1 .LBB75_2
; %bb.1:
	s_abs_i32 s26, s38
	s_abs_i32 s33, s30
	s_cvt_f32_u32 s24, s26
	s_sub_co_i32 s25, 0, s26
	s_delay_alu instid0(SALU_CYCLE_2) | instskip(SKIP_1) | instid1(TRANS32_DEP_1)
	v_rcp_iflag_f32_e32 v1, s24
	v_nop
	v_readfirstlane_b32 s24, v1
	s_mul_f32 s24, s24, 0x4f7ffffe
	s_delay_alu instid0(SALU_CYCLE_3) | instskip(NEXT) | instid1(SALU_CYCLE_3)
	s_cvt_u32_f32 s24, s24
	s_mul_i32 s25, s25, s24
	s_delay_alu instid0(SALU_CYCLE_1) | instskip(NEXT) | instid1(SALU_CYCLE_1)
	s_mul_hi_u32 s25, s24, s25
	s_add_co_i32 s24, s24, s25
	s_delay_alu instid0(SALU_CYCLE_1) | instskip(SKIP_2) | instid1(SALU_CYCLE_1)
	s_mul_hi_u32 s35, s33, s24
	s_load_b64 s[24:25], s[0:1], 0xc8
	s_mul_i32 s35, s35, s26
	s_sub_co_i32 s33, s33, s35
	s_ashr_i32 s35, s30, 31
	s_sub_co_i32 s36, s33, s26
	s_cmp_ge_u32 s33, s26
	s_cselect_b32 s33, s36, s33
	s_delay_alu instid0(SALU_CYCLE_1) | instskip(SKIP_2) | instid1(SALU_CYCLE_1)
	s_sub_co_i32 s36, s33, s26
	s_cmp_ge_u32 s33, s26
	s_cselect_b32 s26, s36, s33
	s_xor_b32 s26, s26, s35
	s_delay_alu instid0(SALU_CYCLE_1) | instskip(NEXT) | instid1(SALU_CYCLE_1)
	s_sub_co_i32 s36, s26, s35
	s_ashr_i32 s37, s36, 31
	s_wait_kmcnt 0x0
	s_mul_u64 s[24:25], s[24:25], s[36:37]
	s_delay_alu instid0(SALU_CYCLE_1)
	s_add_nc_u64 s[36:37], s[10:11], s[24:25]
.LBB75_2:
	v_bfe_u32 v4, v0, 10, 10
	s_bfe_u32 s10, ttmp6, 0x4000c
	s_and_b32 s11, ttmp6, 15
	s_add_co_i32 s10, s10, 1
	s_load_b96 s[24:26], s[0:1], 0x70
	v_lshlrev_b32_e32 v1, 3, v4
	s_mul_i32 s10, ttmp9, s10
	v_and_b32_e32 v71, 0x3ff, v0
	s_add_co_i32 s11, s11, s10
	s_cmp_eq_u32 s27, 0
	v_or_b32_e32 v5, 4, v1
	s_cselect_b32 s10, ttmp9, s11
	s_load_b32 s11, s[0:1], 0x40
	s_lshl_b32 s35, s10, 4
	s_delay_alu instid0(VALU_DEP_1) | instskip(SKIP_3) | instid1(VALU_DEP_3)
	v_dual_lshlrev_b32 v69, 1, v4 :: v_dual_lshrrev_b32 v65, 2, v5
	v_or_b32_e32 v42, 5, v1
	v_or_b32_e32 v44, 7, v1
	v_dual_mov_b32 v3, 0 :: v_dual_bitop2_b32 v43, 6, v1 bitop3:0x54
	v_dual_lshlrev_b32 v0, 4, v71 :: v_dual_lshrrev_b32 v64, 2, v42
	s_delay_alu instid0(VALU_DEP_3) | instskip(NEXT) | instid1(VALU_DEP_3)
	v_dual_add_nc_u32 v67, s35, v65 :: v_dual_lshrrev_b32 v60, 2, v44
	v_dual_lshrrev_b32 v62, 2, v43 :: v_dual_add_nc_u32 v70, s35, v69
	s_delay_alu instid0(VALU_DEP_3) | instskip(NEXT) | instid1(VALU_DEP_3)
	v_add_nc_u32_e32 v66, s35, v64
	v_mul_hi_u32 v1, v67, s20
	s_delay_alu instid0(VALU_DEP_3) | instskip(NEXT) | instid1(VALU_DEP_4)
	v_dual_add_nc_u32 v61, s35, v60 :: v_dual_add_nc_u32 v63, s35, v62
	v_mul_hi_u32 v6, v70, s20
	s_delay_alu instid0(VALU_DEP_4)
	v_mul_hi_u32 v2, v66, s20
	s_wait_kmcnt 0x0
	s_mul_i32 s40, s28, s25
	v_mul_hi_u32 v9, v61, s20
	v_mul_hi_u32 v8, v63, s20
	s_ashr_i32 s43, s25, 31
	s_mov_b32 s42, s25
	s_ashr_i32 s25, s24, 31
	v_add_nc_u32_e32 v1, v67, v1
	s_lshr_b64 s[24:25], s[24:25], 2
	v_dual_mov_b32 v13, v3 :: v_dual_add_nc_u32 v6, v70, v6
	v_dual_mov_b32 v7, v3 :: v_dual_add_nc_u32 v2, v66, v2
	s_delay_alu instid0(VALU_DEP_3) | instskip(SKIP_1) | instid1(VALU_DEP_3)
	v_lshrrev_b32_e32 v1, s21, v1
	v_dual_add_nc_u32 v9, v61, v9 :: v_dual_add_nc_u32 v8, v63, v8
	v_lshrrev_b32_e32 v2, s21, v2
	v_lshrrev_b32_e32 v6, s21, v6
	s_delay_alu instid0(VALU_DEP_4)
	v_mul_lo_u32 v1, v1, s22
	s_ashr_i32 s41, s40, 31
	v_lshrrev_b32_e32 v8, s21, v8
	v_mul_lo_u32 v2, v2, s22
	v_lshrrev_b32_e32 v9, s21, v9
	v_mul_lo_u32 v10, v6, s22
	s_lshr_b64 s[44:45], s[42:43], 2
	v_mul_lo_u32 v12, v8, s22
	v_dual_mov_b32 v11, v3 :: v_dual_lshlrev_b32 v72, 11, v4
	v_sub_nc_u32_e32 v6, v67, v1
	v_dual_mov_b32 v1, v3 :: v_dual_sub_nc_u32 v8, v66, v2
	v_mul_lo_u32 v14, v9, s22
	v_dual_mov_b32 v9, v3 :: v_dual_sub_nc_u32 v2, v70, v10
	v_sub_nc_u32_e32 v10, v63, v12
	v_mul_u64_e32 v[6:7], s[24:25], v[6:7]
	s_delay_alu instid0(VALU_DEP_3) | instskip(SKIP_3) | instid1(VALU_DEP_3)
	v_mul_u64_e32 v[8:9], s[24:25], v[8:9]
	v_sub_nc_u32_e32 v12, v61, v14
	v_mul_u64_e32 v[14:15], s[24:25], v[2:3]
	v_mul_u64_e32 v[10:11], s[24:25], v[10:11]
	;; [unrolled: 1-line block ×3, first 2 shown]
	s_mul_i32 s24, s30, s26
	s_delay_alu instid0(SALU_CYCLE_1) | instskip(NEXT) | instid1(SALU_CYCLE_1)
	s_ashr_i32 s25, s24, 31
	s_add_nc_u64 s[4:5], s[4:5], s[24:25]
	s_and_b64 s[24:25], s[42:43], -4
	s_add_nc_u64 s[4:5], s[4:5], s[40:41]
	s_lshl_b64 s[40:41], s[44:45], 3
	s_mul_u64 s[42:43], s[44:45], 12
	s_add_nc_u64 s[24:25], s[4:5], s[24:25]
	s_add_nc_u64 s[40:41], s[4:5], s[40:41]
	;; [unrolled: 1-line block ×3, first 2 shown]
	s_cmp_eq_u64 s[14:15], 0
	v_lshl_add_u64 v[6:7], v[6:7], 2, s[4:5]
	v_lshl_add_u64 v[8:9], v[8:9], 2, s[24:25]
	s_delay_alu instid0(VALU_DEP_2) | instskip(SKIP_2) | instid1(VALU_DEP_4)
	v_add_nc_u64_e32 v[6:7], v[6:7], v[0:1]
	v_lshlrev_b64_e32 v[22:23], 2, v[14:15]
	v_lshl_add_u64 v[10:11], v[10:11], 2, s[40:41]
	v_add_nc_u64_e32 v[14:15], v[8:9], v[0:1]
	v_lshl_add_u64 v[16:17], v[12:13], 2, s[42:43]
	global_load_b128 v[6:9], v[6:7], off
	v_add_nc_u64_e32 v[18:19], v[10:11], v[0:1]
	v_add_nc_u64_e32 v[20:21], s[4:5], v[22:23]
	v_add_nc_u64_e32 v[26:27], s[24:25], v[22:23]
	v_add_nc_u64_e32 v[30:31], s[40:41], v[22:23]
	v_add_nc_u64_e32 v[32:33], s[42:43], v[22:23]
	v_add_nc_u64_e32 v[24:25], v[16:17], v[0:1]
	s_clause 0x1
	global_load_b128 v[10:13], v[14:15], off
	global_load_b128 v[14:17], v[18:19], off
	v_add_nc_u64_e32 v[28:29], v[20:21], v[0:1]
	v_add_nc_u64_e32 v[26:27], v[26:27], v[0:1]
	;; [unrolled: 1-line block ×4, first 2 shown]
	s_clause 0x4
	global_load_b128 v[18:21], v[24:25], off
	global_load_b128 v[22:25], v[28:29], off
	;; [unrolled: 1-line block ×5, first 2 shown]
	s_wait_loadcnt 0x7
	v_fma_mixlo_f16 v6, s11, v6, 0
	v_fma_mixlo_f16 v7, s11, v7, 0
	;; [unrolled: 1-line block ×3, first 2 shown]
	v_lshlrev_b32_e32 v1, 3, v71
	v_fma_mixlo_f16 v8, s11, v8, 0
	v_and_b32_e32 v6, 0xffff, v6
	v_lshlrev_b32_e32 v7, 16, v7
	s_wait_loadcnt 0x6
	v_fma_mixlo_f16 v10, s11, v10, 0
	v_fma_mixlo_f16 v11, s11, v11, 0
	s_wait_loadcnt 0x5
	v_fma_mixlo_f16 v14, s11, v14, 0
	v_fma_mixlo_f16 v15, s11, v15, 0
	v_fma_mixlo_f16 v12, s11, v12, 0
	v_fma_mixlo_f16 v13, s11, v13, 0
	s_wait_loadcnt 0x4
	v_fma_mixlo_f16 v18, s11, v18, 0
	v_fma_mixlo_f16 v19, s11, v19, 0
	;; [unrolled: 5-line block ×3, first 2 shown]
	s_wait_loadcnt 0x2
	s_wait_xcnt 0x2
	v_fma_mixlo_f16 v26, s11, v26, 0
	v_fma_mixlo_f16 v27, s11, v27, 0
	;; [unrolled: 1-line block ×4, first 2 shown]
	s_wait_loadcnt 0x1
	v_fma_mixlo_f16 v30, s11, v30, 0
	v_fma_mixlo_f16 v31, s11, v31, 0
	s_wait_loadcnt 0x0
	v_fma_mixlo_f16 v34, s11, v34, 0
	v_fma_mixlo_f16 v35, s11, v35, 0
	v_dual_lshlrev_b32 v9, 16, v9 :: v_dual_add_nc_u32 v3, v1, v72
	v_and_b32_e32 v8, 0xffff, v8
	v_dual_lshlrev_b32 v11, 16, v11 :: v_dual_lshlrev_b32 v13, 16, v13
	v_and_b32_e32 v10, 0xffff, v10
	v_dual_lshlrev_b32 v15, 16, v15 :: v_dual_lshlrev_b32 v17, 16, v17
	v_and_b32_e32 v14, 0xffff, v14
	v_and_b32_e32 v12, 0xffff, v12
	v_dual_lshlrev_b32 v19, 16, v19 :: v_dual_lshlrev_b32 v21, 16, v21
	v_and_b32_e32 v18, 0xffff, v18
	v_fma_mixlo_f16 v24, s11, v24, 0
	v_fma_mixlo_f16 v25, s11, v25, 0
	;; [unrolled: 1-line block ×4, first 2 shown]
	v_and_b32_e32 v16, 0xffff, v16
	s_delay_alu instid0(VALU_DEP_4) | instskip(SKIP_1) | instid1(VALU_DEP_4)
	v_dual_lshlrev_b32 v23, 16, v23 :: v_dual_lshlrev_b32 v25, 16, v25
	v_and_b32_e32 v22, 0xffff, v22
	v_dual_lshlrev_b32 v27, 16, v27 :: v_dual_lshlrev_b32 v29, 16, v29
	v_and_b32_e32 v26, 0xffff, v26
	v_fma_mixlo_f16 v32, s11, v32, 0
	v_fma_mixlo_f16 v33, s11, v33, 0
	;; [unrolled: 1-line block ×4, first 2 shown]
	v_and_b32_e32 v20, 0xffff, v20
	s_delay_alu instid0(VALU_DEP_4) | instskip(SKIP_1) | instid1(VALU_DEP_4)
	v_dual_lshlrev_b32 v31, 16, v31 :: v_dual_lshlrev_b32 v33, 16, v33
	v_and_b32_e32 v30, 0xffff, v30
	v_dual_lshlrev_b32 v35, 16, v35 :: v_dual_lshlrev_b32 v37, 16, v37
	v_and_b32_e32 v34, 0xffff, v34
	v_or_b32_e32 v6, v7, v6
	v_or3_b32 v7, v9, v8, 0
	v_or_b32_e32 v8, v11, v10
	v_or_b32_e32 v10, v15, v14
	v_or3_b32 v9, v13, v12, 0
	v_or_b32_e32 v12, v19, v18
	v_and_b32_e32 v24, 0xffff, v24
	v_and_b32_e32 v28, 0xffff, v28
	v_or3_b32 v11, v17, v16, 0
	v_or_b32_e32 v14, v23, v22
	v_or_b32_e32 v16, v27, v26
	v_lshl_add_u32 v5, v5, 8, v1
	v_and_b32_e32 v32, 0xffff, v32
	v_and_b32_e32 v36, 0xffff, v36
	v_or3_b32 v13, v21, v20, 0
	v_or_b32_e32 v18, v31, v30
	v_or_b32_e32 v20, v35, v34
	v_or3_b32 v6, 0, 0, v6
	v_lshl_add_u32 v38, v42, 8, v1
	v_or3_b32 v8, 0, 0, v8
	v_lshl_add_u32 v39, v43, 8, v1
	;; [unrolled: 2-line block ×3, first 2 shown]
	v_or3_b32 v12, 0, 0, v12
	v_or3_b32 v15, v25, v24, 0
	;; [unrolled: 1-line block ×9, first 2 shown]
	ds_store_b64 v5, v[6:7]
	ds_store_b64 v38, v[8:9]
	;; [unrolled: 1-line block ×4, first 2 shown]
	ds_store_2addr_b64 v3, v[14:15], v[16:17] offset1:32
	ds_store_2addr_b64 v3, v[18:19], v[20:21] offset0:64 offset1:96
	s_wait_dscnt 0x0
	s_barrier_signal -1
	s_barrier_wait -1
	s_cbranch_scc1 .LBB75_4
; %bb.3:
	s_load_b32 s4, s[0:1], 0xd0
	s_wait_kmcnt 0x0
	s_mul_i32 s4, s4, s30
	s_delay_alu instid0(SALU_CYCLE_1)
	s_add_co_i32 s4, s4, s10
	s_load_b32 s34, s[14:15], s4 offset:0x0 scale_offset
.LBB75_4:
	s_wait_xcnt 0x0
	s_bfe_u32 s4, ttmp6, 0x40010
	s_and_b32 s5, ttmp7, 0xffff
	s_add_co_i32 s4, s4, 1
	s_bfe_u32 s10, ttmp6, 0x40004
	s_mul_i32 s4, s5, s4
	v_mbcnt_lo_u32_b32 v74, -1, 0
	s_add_co_i32 s10, s10, s4
	s_cmp_eq_u32 s27, 0
	s_mov_b32 s4, 0
	s_cselect_b32 s33, s5, s10
	s_delay_alu instid0(SALU_CYCLE_1)
	s_lshl_b32 s14, s33, 6
	s_wait_kmcnt 0x0
	s_cmp_lt_i32 s14, s34
	s_cbranch_scc1 .LBB75_7
; %bb.5:
	v_mbcnt_lo_u32_b32 v8, -1, 0
	s_delay_alu instid0(VALU_DEP_1)
	v_dual_mov_b32 v73, 32 :: v_dual_bitop2_b32 v30, 16, v8 bitop3:0x14
	v_xor_b32_e32 v29, 8, v8
	v_xor_b32_e32 v28, 4, v8
	;; [unrolled: 1-line block ×3, first 2 shown]
	v_dual_lshlrev_b32 v68, 2, v71 :: v_dual_bitop2_b32 v26, 1, v8 bitop3:0x14
	s_and_not1_b32 vcc_lo, exec_lo, s4
	s_cbranch_vccz .LBB75_8
; %bb.6:
	v_dual_mov_b32 v99, 0 :: v_dual_mov_b32 v41, 0
	v_dual_mov_b32 v7, 0xfeffffff :: v_dual_mov_b32 v6, 0xfeffffff
	;; [unrolled: 1-line block ×16, first 2 shown]
	s_branch .LBB75_76
.LBB75_7:
                                        ; implicit-def: $vgpr8
                                        ; implicit-def: $vgpr73
                                        ; implicit-def: $vgpr30
                                        ; implicit-def: $vgpr29
                                        ; implicit-def: $vgpr28
                                        ; implicit-def: $vgpr27
                                        ; implicit-def: $vgpr26
	v_lshlrev_b32_e32 v68, 2, v71
.LBB75_8:
	v_dual_mov_b32 v49, 0 :: v_dual_lshrrev_b32 v3, 3, v71
	v_add3_u32 v48, s35, v69, 1
	s_mov_b32 s40, s20
	s_mov_b32 s41, s3
	s_clause 0x1
	s_load_b128 s[24:27], s[0:1], 0x98
	s_load_b64 s[4:5], s[0:1], 0x8c
	v_lshl_add_u32 v3, v4, 2, v3
	v_mul_u64_e32 v[6:7], s[40:41], v[48:49]
	s_mul_f32 s10, s2, 0x4f7ffffe
	v_and_b32_e32 v6, 28, v68
	s_sub_co_i32 s15, 0, s29
	s_abs_i32 s2, s28
	s_cvt_u32_f32 s10, s10
	s_mov_b32 s11, s3
	s_ashr_i32 s42, s28, 31
	s_ashr_i32 s43, s31, 31
	s_mul_i32 s15, s15, s10
	s_ashr_i32 s44, s39, 1
	s_mul_hi_u32 s15, s10, s15
	s_load_b64 s[38:39], s[0:1], 0xa8
	s_add_co_i32 s10, s10, s15
	s_ashr_i32 s31, s30, 31
	s_mul_u64 s[10:11], s[2:3], s[10:11]
	v_mul_lo_u32 v78, v2, s44
	s_wait_kmcnt 0x0
	s_ashr_i32 s20, s26, 2
	s_ashr_i32 s26, s4, 2
	s_mul_i32 s3, s11, s29
	v_mul_lo_u32 v50, s26, v3
	v_lshrrev_b32_e32 v8, 4, v71
	s_sub_co_i32 s2, s2, s3
	s_xor_b32 s4, s42, s43
	s_add_co_i32 s3, s11, 1
	s_sub_co_i32 s10, s2, s29
	s_cmp_ge_u32 s2, s29
	v_lshl_add_u32 v80, v4, 10, 0x6400
	s_cselect_b32 s3, s3, s11
	s_cselect_b32 s2, s10, s2
	s_add_co_i32 s10, s3, 1
	v_dual_ashrrev_i32 v51, 31, v50 :: v_dual_add_nc_u32 v5, v48, v7
	v_lshlrev_b32_e32 v7, 2, v6
	s_cmp_ge_u32 s2, s29
	s_load_b32 s29, s[0:1], 0x54
	s_cselect_b32 s2, s10, s3
	v_lshrrev_b32_e32 v5, s21, v5
	v_mad_u32_u24 v3, 0x90, v3, v7
	v_dual_add_nc_u32 v7, v8, v69 :: v_dual_bitop2_b32 v8, 60, v68 bitop3:0x40
	v_lshl_add_u32 v52, s26, 5, v50
	s_delay_alu instid0(VALU_DEP_4) | instskip(NEXT) | instid1(VALU_DEP_4)
	v_mul_lo_u32 v5, v5, s22
	v_dual_mov_b32 v86, v49 :: v_dual_add_nc_u32 v75, 0x4000, v3
	s_delay_alu instid0(VALU_DEP_4)
	v_mul_lo_u32 v10, s20, v7
	v_lshlrev_b32_e32 v9, 2, v8
	v_dual_mov_b32 v55, v49 :: v_dual_add_nc_u32 v76, 0x5200, v3
	s_xor_b32 s10, s2, s4
	v_ashrrev_i32_e32 v53, 31, v52
	s_sub_co_i32 s10, s10, s4
	s_mul_u64 s[2:3], s[24:25], s[30:31]
	v_sub_nc_u32_e32 v3, v48, v5
	s_mul_i32 s4, s10, s5
	v_lshl_or_b32 v5, v7, 8, v9
	v_lshl_add_u32 v2, s20, 4, v10
	v_ashrrev_i32_e32 v11, 31, v10
	v_mul_lo_u32 v79, v3, s44
	s_add_nc_u64 s[2:3], s[6:7], s[2:3]
	s_ashr_i32 s5, s4, 31
	v_dual_mov_b32 v106, 0xfeffffff :: v_dual_ashrrev_i32 v3, 31, v2
	s_add_nc_u64 s[24:25], s[2:3], s[4:5]
	s_movk_i32 s2, 0x4000
	v_lshlrev_b64_e32 v[56:57], 2, v[10:11]
	s_delay_alu instid0(VALU_DEP_2)
	v_lshlrev_b64_e32 v[58:59], 2, v[2:3]
	s_mul_u64 s[6:7], s[38:39], s[30:31]
	s_mul_i32 s10, s10, s27
	v_mad_u32_u24 v77, 0x90, v71, s2
	v_dual_mov_b32 v88, v49 :: v_dual_add_nc_u32 v81, 0x4000, v5
	v_dual_mov_b32 v73, 32 :: v_dual_add_nc_u32 v82, 0x5000, v5
	v_or_b32_e32 v83, 0x4000, v1
	v_dual_lshlrev_b32 v54, 2, v6 :: v_dual_add_nc_u32 v84, v80, v0
	v_dual_mov_b32 v85, v49 :: v_dual_lshlrev_b32 v48, 2, v8
	v_dual_mov_b32 v87, v49 :: v_dual_mov_b32 v89, v49
	v_dual_mov_b32 v90, v49 :: v_dual_mov_b32 v91, v49
	;; [unrolled: 1-line block ×14, first 2 shown]
	s_add_nc_u64 s[6:7], s[8:9], s[6:7]
	s_ashr_i32 s11, s10, 31
	s_ashr_i32 s27, s26, 31
	s_add_nc_u64 s[38:39], s[6:7], s[10:11]
	s_ashr_i32 s21, s20, 31
	s_add_nc_u64 s[40:41], s[0:1], 0xd0
	s_mov_b32 s31, 0xbbbac73d
.LBB75_9:                               ; =>This Inner Loop Header: Depth=1
	s_ashr_i32 s15, s14, 31
	v_dual_mov_b32 v122, 0 :: v_dual_mov_b32 v120, 0
	s_mul_u64 s[2:3], s[14:15], s[26:27]
	v_dual_mov_b32 v118, 0 :: v_dual_mov_b32 v117, 0
	s_lshl_b64 s[2:3], s[2:3], 2
	v_dual_mov_b32 v114, 0 :: v_dual_mov_b32 v113, 0
	s_add_nc_u64 s[2:3], s[24:25], s[2:3]
	v_dual_mov_b32 v109, 0 :: v_dual_mov_b32 v111, 0
	v_lshl_add_u64 v[0:1], v[50:51], 2, s[2:3]
	v_lshl_add_u64 v[2:3], v[52:53], 2, s[2:3]
	v_dual_mov_b32 v124, 0 :: v_dual_mov_b32 v123, 0
	v_dual_mov_b32 v121, 0 :: v_dual_mov_b32 v119, 0
	s_delay_alu instid0(VALU_DEP_4) | instskip(NEXT) | instid1(VALU_DEP_4)
	v_add_nc_u64_e32 v[0:1], v[0:1], v[54:55]
	v_add_nc_u64_e32 v[2:3], v[2:3], v[54:55]
	s_clause 0x1
	global_load_b128 v[4:7], v[0:1], off
	global_load_b128 v[8:11], v[2:3], off
	v_dual_mov_b32 v116, 0 :: v_dual_mov_b32 v115, 0
	v_dual_mov_b32 v110, 0 :: v_dual_mov_b32 v112, 0
	s_wait_loadcnt 0x1
	ds_store_b128 v75, v[4:7]
	s_wait_loadcnt 0x0
	ds_store_b128 v76, v[8:11]
	s_wait_dscnt 0x0
	s_barrier_signal -1
	s_barrier_wait -1
	ds_load_b128 v[4:7], v77
	ds_load_b128 v[8:11], v72
	ds_load_b128 v[12:15], v72 offset:256
	ds_load_b128 v[16:19], v72 offset:512
	;; [unrolled: 1-line block ×8, first 2 shown]
	s_wait_dscnt 0x8
	;;#ASMSTART
	v_dot2_f32_f16 v122, v4, v8, v122
	;;#ASMEND
	;;#ASMSTART
	v_dot2_f32_f16 v122, v5, v9, v122
	;;#ASMEND
	;;#ASMSTART
	v_dot2_f32_f16 v122, v6, v10, v122
	;;#ASMEND
	;;#ASMSTART
	v_dot2_f32_f16 v122, v7, v11, v122
	;;#ASMEND
	s_wait_dscnt 0x7
	;;#ASMSTART
	v_dot2_f32_f16 v120, v4, v12, v120
	;;#ASMEND
	;;#ASMSTART
	v_dot2_f32_f16 v120, v5, v13, v120
	;;#ASMEND
	;;#ASMSTART
	v_dot2_f32_f16 v120, v6, v14, v120
	;;#ASMEND
	;;#ASMSTART
	v_dot2_f32_f16 v120, v7, v15, v120
	;;#ASMEND
	;; [unrolled: 13-line block ×8, first 2 shown]
	;;#ASMSTART
	v_dot2_f32_f16 v124, v24, v8, v124
	;;#ASMEND
	;;#ASMSTART
	v_dot2_f32_f16 v124, v25, v9, v124
	;;#ASMEND
	;; [unrolled: 3-line block ×32, first 2 shown]
	ds_load_b128 v[4:7], v77 offset:16
	ds_load_b128 v[8:11], v72 offset:16
	;; [unrolled: 1-line block ×10, first 2 shown]
	s_wait_dscnt 0x8
	;;#ASMSTART
	v_dot2_f32_f16 v122, v4, v8, v122
	;;#ASMEND
	;;#ASMSTART
	v_dot2_f32_f16 v122, v5, v9, v122
	;;#ASMEND
	;;#ASMSTART
	v_dot2_f32_f16 v122, v6, v10, v122
	;;#ASMEND
	;;#ASMSTART
	v_dot2_f32_f16 v122, v7, v11, v122
	;;#ASMEND
	s_wait_dscnt 0x7
	;;#ASMSTART
	v_dot2_f32_f16 v120, v4, v12, v120
	;;#ASMEND
	;;#ASMSTART
	v_dot2_f32_f16 v120, v5, v13, v120
	;;#ASMEND
	;;#ASMSTART
	v_dot2_f32_f16 v120, v6, v14, v120
	;;#ASMEND
	;;#ASMSTART
	v_dot2_f32_f16 v120, v7, v15, v120
	;;#ASMEND
	;; [unrolled: 13-line block ×8, first 2 shown]
	;;#ASMSTART
	v_dot2_f32_f16 v124, v24, v8, v124
	;;#ASMEND
	;;#ASMSTART
	v_dot2_f32_f16 v124, v25, v9, v124
	;;#ASMEND
	;; [unrolled: 3-line block ×32, first 2 shown]
	ds_load_b128 v[4:7], v77 offset:32
	ds_load_b128 v[8:11], v72 offset:32
	;; [unrolled: 1-line block ×10, first 2 shown]
	s_wait_dscnt 0x8
	;;#ASMSTART
	v_dot2_f32_f16 v122, v4, v8, v122
	;;#ASMEND
	;;#ASMSTART
	v_dot2_f32_f16 v122, v5, v9, v122
	;;#ASMEND
	;;#ASMSTART
	v_dot2_f32_f16 v122, v6, v10, v122
	;;#ASMEND
	;;#ASMSTART
	v_dot2_f32_f16 v122, v7, v11, v122
	;;#ASMEND
	s_wait_dscnt 0x7
	;;#ASMSTART
	v_dot2_f32_f16 v120, v4, v12, v120
	;;#ASMEND
	;;#ASMSTART
	v_dot2_f32_f16 v120, v5, v13, v120
	;;#ASMEND
	;;#ASMSTART
	v_dot2_f32_f16 v120, v6, v14, v120
	;;#ASMEND
	;;#ASMSTART
	v_dot2_f32_f16 v120, v7, v15, v120
	;;#ASMEND
	;; [unrolled: 13-line block ×8, first 2 shown]
	;;#ASMSTART
	v_dot2_f32_f16 v124, v24, v8, v124
	;;#ASMEND
	;;#ASMSTART
	v_dot2_f32_f16 v124, v25, v9, v124
	;;#ASMEND
	;; [unrolled: 3-line block ×32, first 2 shown]
	ds_load_b128 v[4:7], v77 offset:48
	ds_load_b128 v[8:11], v72 offset:48
	;; [unrolled: 1-line block ×10, first 2 shown]
	s_wait_dscnt 0x8
	;;#ASMSTART
	v_dot2_f32_f16 v122, v4, v8, v122
	;;#ASMEND
	;;#ASMSTART
	v_dot2_f32_f16 v122, v5, v9, v122
	;;#ASMEND
	;;#ASMSTART
	v_dot2_f32_f16 v122, v6, v10, v122
	;;#ASMEND
	;;#ASMSTART
	v_dot2_f32_f16 v122, v7, v11, v122
	;;#ASMEND
	s_wait_dscnt 0x7
	;;#ASMSTART
	v_dot2_f32_f16 v120, v4, v12, v120
	;;#ASMEND
	;;#ASMSTART
	v_dot2_f32_f16 v120, v5, v13, v120
	;;#ASMEND
	;;#ASMSTART
	v_dot2_f32_f16 v120, v6, v14, v120
	;;#ASMEND
	;;#ASMSTART
	v_dot2_f32_f16 v120, v7, v15, v120
	;;#ASMEND
	;; [unrolled: 13-line block ×8, first 2 shown]
	;;#ASMSTART
	v_dot2_f32_f16 v124, v24, v8, v124
	;;#ASMEND
	;;#ASMSTART
	v_dot2_f32_f16 v124, v25, v9, v124
	;;#ASMEND
	;; [unrolled: 3-line block ×32, first 2 shown]
	ds_load_b128 v[4:7], v77 offset:64
	ds_load_b128 v[8:11], v72 offset:64
	;; [unrolled: 1-line block ×10, first 2 shown]
	s_wait_dscnt 0x8
	;;#ASMSTART
	v_dot2_f32_f16 v122, v4, v8, v122
	;;#ASMEND
	;;#ASMSTART
	v_dot2_f32_f16 v122, v5, v9, v122
	;;#ASMEND
	;;#ASMSTART
	v_dot2_f32_f16 v122, v6, v10, v122
	;;#ASMEND
	;;#ASMSTART
	v_dot2_f32_f16 v122, v7, v11, v122
	;;#ASMEND
	s_wait_dscnt 0x7
	;;#ASMSTART
	v_dot2_f32_f16 v120, v4, v12, v120
	;;#ASMEND
	;;#ASMSTART
	v_dot2_f32_f16 v120, v5, v13, v120
	;;#ASMEND
	;;#ASMSTART
	v_dot2_f32_f16 v120, v6, v14, v120
	;;#ASMEND
	;;#ASMSTART
	v_dot2_f32_f16 v120, v7, v15, v120
	;;#ASMEND
	;; [unrolled: 13-line block ×8, first 2 shown]
	;;#ASMSTART
	v_dot2_f32_f16 v124, v24, v8, v124
	;;#ASMEND
	;;#ASMSTART
	v_dot2_f32_f16 v124, v25, v9, v124
	;;#ASMEND
	;; [unrolled: 3-line block ×32, first 2 shown]
	ds_load_b128 v[4:7], v77 offset:80
	ds_load_b128 v[8:11], v72 offset:80
	;; [unrolled: 1-line block ×10, first 2 shown]
	s_wait_dscnt 0x8
	;;#ASMSTART
	v_dot2_f32_f16 v122, v4, v8, v122
	;;#ASMEND
	;;#ASMSTART
	v_dot2_f32_f16 v122, v5, v9, v122
	;;#ASMEND
	;;#ASMSTART
	v_dot2_f32_f16 v122, v6, v10, v122
	;;#ASMEND
	;;#ASMSTART
	v_dot2_f32_f16 v122, v7, v11, v122
	;;#ASMEND
	s_wait_dscnt 0x7
	;;#ASMSTART
	v_dot2_f32_f16 v120, v4, v12, v120
	;;#ASMEND
	;;#ASMSTART
	v_dot2_f32_f16 v120, v5, v13, v120
	;;#ASMEND
	;;#ASMSTART
	v_dot2_f32_f16 v120, v6, v14, v120
	;;#ASMEND
	;;#ASMSTART
	v_dot2_f32_f16 v120, v7, v15, v120
	;;#ASMEND
	;; [unrolled: 13-line block ×8, first 2 shown]
	;;#ASMSTART
	v_dot2_f32_f16 v124, v24, v8, v124
	;;#ASMEND
	;;#ASMSTART
	v_dot2_f32_f16 v124, v25, v9, v124
	;;#ASMEND
	;; [unrolled: 3-line block ×32, first 2 shown]
	ds_load_b128 v[4:7], v77 offset:96
	ds_load_b128 v[8:11], v72 offset:96
	;; [unrolled: 1-line block ×10, first 2 shown]
	s_wait_dscnt 0x8
	;;#ASMSTART
	v_dot2_f32_f16 v122, v4, v8, v122
	;;#ASMEND
	;;#ASMSTART
	v_dot2_f32_f16 v122, v5, v9, v122
	;;#ASMEND
	;;#ASMSTART
	v_dot2_f32_f16 v122, v6, v10, v122
	;;#ASMEND
	;;#ASMSTART
	v_dot2_f32_f16 v122, v7, v11, v122
	;;#ASMEND
	s_wait_dscnt 0x7
	;;#ASMSTART
	v_dot2_f32_f16 v120, v4, v12, v120
	;;#ASMEND
	;;#ASMSTART
	v_dot2_f32_f16 v120, v5, v13, v120
	;;#ASMEND
	;;#ASMSTART
	v_dot2_f32_f16 v120, v6, v14, v120
	;;#ASMEND
	;;#ASMSTART
	v_dot2_f32_f16 v120, v7, v15, v120
	;;#ASMEND
	;; [unrolled: 13-line block ×8, first 2 shown]
	;;#ASMSTART
	v_dot2_f32_f16 v124, v24, v8, v124
	;;#ASMEND
	;;#ASMSTART
	v_dot2_f32_f16 v124, v25, v9, v124
	;;#ASMEND
	;; [unrolled: 3-line block ×32, first 2 shown]
	ds_load_b128 v[4:7], v77 offset:112
	ds_load_b128 v[8:11], v72 offset:112
	;; [unrolled: 1-line block ×10, first 2 shown]
	s_wait_dscnt 0x8
	;;#ASMSTART
	v_dot2_f32_f16 v122, v4, v8, v122
	;;#ASMEND
	;;#ASMSTART
	v_dot2_f32_f16 v122, v5, v9, v122
	;;#ASMEND
	;;#ASMSTART
	v_dot2_f32_f16 v122, v6, v10, v122
	;;#ASMEND
	;;#ASMSTART
	v_dot2_f32_f16 v122, v7, v11, v122
	;;#ASMEND
	s_wait_dscnt 0x7
	;;#ASMSTART
	v_dot2_f32_f16 v120, v4, v12, v120
	;;#ASMEND
	;;#ASMSTART
	v_dot2_f32_f16 v120, v5, v13, v120
	;;#ASMEND
	;;#ASMSTART
	v_dot2_f32_f16 v120, v6, v14, v120
	;;#ASMEND
	;;#ASMSTART
	v_dot2_f32_f16 v120, v7, v15, v120
	;;#ASMEND
	;; [unrolled: 13-line block ×8, first 2 shown]
	;;#ASMSTART
	v_dot2_f32_f16 v124, v24, v8, v124
	;;#ASMEND
	;;#ASMSTART
	v_dot2_f32_f16 v124, v25, v9, v124
	;;#ASMEND
	;; [unrolled: 3-line block ×32, first 2 shown]
	s_barrier_signal -1
	s_barrier_wait -1
	s_clause 0x1
	global_load_b128 v[4:7], v[0:1], off offset:128
	global_load_b128 v[8:11], v[2:3], off offset:128
	s_wait_loadcnt 0x1
	ds_store_b128 v75, v[4:7]
	s_wait_loadcnt 0x0
	ds_store_b128 v76, v[8:11]
	s_wait_dscnt 0x0
	s_barrier_signal -1
	s_barrier_wait -1
	ds_load_b128 v[0:3], v77
	ds_load_b128 v[4:7], v72 offset:128
	ds_load_b128 v[8:11], v72 offset:384
	;; [unrolled: 1-line block ×9, first 2 shown]
	s_wait_dscnt 0x8
	;;#ASMSTART
	v_dot2_f32_f16 v122, v0, v4, v122
	;;#ASMEND
	;;#ASMSTART
	v_dot2_f32_f16 v122, v1, v5, v122
	;;#ASMEND
	;;#ASMSTART
	v_dot2_f32_f16 v122, v2, v6, v122
	;;#ASMEND
	;;#ASMSTART
	v_dot2_f32_f16 v122, v3, v7, v122
	;;#ASMEND
	s_wait_dscnt 0x7
	;;#ASMSTART
	v_dot2_f32_f16 v120, v0, v8, v120
	;;#ASMEND
	;;#ASMSTART
	v_dot2_f32_f16 v120, v1, v9, v120
	;;#ASMEND
	;;#ASMSTART
	v_dot2_f32_f16 v120, v2, v10, v120
	;;#ASMEND
	;;#ASMSTART
	v_dot2_f32_f16 v120, v3, v11, v120
	;;#ASMEND
	;; [unrolled: 13-line block ×8, first 2 shown]
	;;#ASMSTART
	v_dot2_f32_f16 v124, v20, v4, v124
	;;#ASMEND
	;;#ASMSTART
	v_dot2_f32_f16 v124, v21, v5, v124
	;;#ASMEND
	;; [unrolled: 3-line block ×32, first 2 shown]
	ds_load_b128 v[0:3], v77 offset:16
	ds_load_b128 v[4:7], v72 offset:144
	;; [unrolled: 1-line block ×10, first 2 shown]
	s_wait_dscnt 0x8
	;;#ASMSTART
	v_dot2_f32_f16 v122, v0, v4, v122
	;;#ASMEND
	;;#ASMSTART
	v_dot2_f32_f16 v122, v1, v5, v122
	;;#ASMEND
	;;#ASMSTART
	v_dot2_f32_f16 v122, v2, v6, v122
	;;#ASMEND
	;;#ASMSTART
	v_dot2_f32_f16 v122, v3, v7, v122
	;;#ASMEND
	s_wait_dscnt 0x7
	;;#ASMSTART
	v_dot2_f32_f16 v120, v0, v8, v120
	;;#ASMEND
	;;#ASMSTART
	v_dot2_f32_f16 v120, v1, v9, v120
	;;#ASMEND
	;;#ASMSTART
	v_dot2_f32_f16 v120, v2, v10, v120
	;;#ASMEND
	;;#ASMSTART
	v_dot2_f32_f16 v120, v3, v11, v120
	;;#ASMEND
	;; [unrolled: 13-line block ×8, first 2 shown]
	;;#ASMSTART
	v_dot2_f32_f16 v124, v20, v4, v124
	;;#ASMEND
	;;#ASMSTART
	v_dot2_f32_f16 v124, v21, v5, v124
	;;#ASMEND
	;; [unrolled: 3-line block ×32, first 2 shown]
	ds_load_b128 v[0:3], v77 offset:32
	ds_load_b128 v[4:7], v72 offset:160
	;; [unrolled: 1-line block ×10, first 2 shown]
	s_wait_dscnt 0x8
	;;#ASMSTART
	v_dot2_f32_f16 v122, v0, v4, v122
	;;#ASMEND
	;;#ASMSTART
	v_dot2_f32_f16 v122, v1, v5, v122
	;;#ASMEND
	;;#ASMSTART
	v_dot2_f32_f16 v122, v2, v6, v122
	;;#ASMEND
	;;#ASMSTART
	v_dot2_f32_f16 v122, v3, v7, v122
	;;#ASMEND
	s_wait_dscnt 0x7
	;;#ASMSTART
	v_dot2_f32_f16 v120, v0, v8, v120
	;;#ASMEND
	;;#ASMSTART
	v_dot2_f32_f16 v120, v1, v9, v120
	;;#ASMEND
	;;#ASMSTART
	v_dot2_f32_f16 v120, v2, v10, v120
	;;#ASMEND
	;;#ASMSTART
	v_dot2_f32_f16 v120, v3, v11, v120
	;;#ASMEND
	;; [unrolled: 13-line block ×8, first 2 shown]
	;;#ASMSTART
	v_dot2_f32_f16 v124, v20, v4, v124
	;;#ASMEND
	;;#ASMSTART
	v_dot2_f32_f16 v124, v21, v5, v124
	;;#ASMEND
	;;#ASMSTART
	v_dot2_f32_f16 v124, v22, v6, v124
	;;#ASMEND
	;;#ASMSTART
	v_dot2_f32_f16 v124, v23, v7, v124
	;;#ASMEND
	;;#ASMSTART
	v_dot2_f32_f16 v123, v20, v8, v123
	;;#ASMEND
	;;#ASMSTART
	v_dot2_f32_f16 v123, v21, v9, v123
	;;#ASMEND
	;;#ASMSTART
	v_dot2_f32_f16 v123, v22, v10, v123
	;;#ASMEND
	;;#ASMSTART
	v_dot2_f32_f16 v123, v23, v11, v123
	;;#ASMEND
	;;#ASMSTART
	v_dot2_f32_f16 v121, v20, v12, v121
	;;#ASMEND
	;;#ASMSTART
	v_dot2_f32_f16 v121, v21, v13, v121
	;;#ASMEND
	;;#ASMSTART
	v_dot2_f32_f16 v121, v22, v14, v121
	;;#ASMEND
	;;#ASMSTART
	v_dot2_f32_f16 v121, v23, v15, v121
	;;#ASMEND
	;;#ASMSTART
	v_dot2_f32_f16 v119, v20, v16, v119
	;;#ASMEND
	;;#ASMSTART
	v_dot2_f32_f16 v119, v21, v17, v119
	;;#ASMEND
	;;#ASMSTART
	v_dot2_f32_f16 v119, v22, v18, v119
	;;#ASMEND
	;;#ASMSTART
	v_dot2_f32_f16 v119, v23, v19, v119
	;;#ASMEND
	;;#ASMSTART
	v_dot2_f32_f16 v116, v20, v24, v116
	;;#ASMEND
	;;#ASMSTART
	v_dot2_f32_f16 v116, v21, v25, v116
	;;#ASMEND
	;;#ASMSTART
	v_dot2_f32_f16 v116, v22, v26, v116
	;;#ASMEND
	;;#ASMSTART
	v_dot2_f32_f16 v116, v23, v27, v116
	;;#ASMEND
	;;#ASMSTART
	v_dot2_f32_f16 v115, v20, v28, v115
	;;#ASMEND
	;;#ASMSTART
	v_dot2_f32_f16 v115, v21, v29, v115
	;;#ASMEND
	;;#ASMSTART
	v_dot2_f32_f16 v115, v22, v30, v115
	;;#ASMEND
	;;#ASMSTART
	v_dot2_f32_f16 v115, v23, v31, v115
	;;#ASMEND
	;;#ASMSTART
	v_dot2_f32_f16 v110, v20, v32, v110
	;;#ASMEND
	;;#ASMSTART
	v_dot2_f32_f16 v110, v21, v33, v110
	;;#ASMEND
	;;#ASMSTART
	v_dot2_f32_f16 v110, v22, v34, v110
	;;#ASMEND
	;;#ASMSTART
	v_dot2_f32_f16 v110, v23, v35, v110
	;;#ASMEND
	;;#ASMSTART
	v_dot2_f32_f16 v112, v20, v36, v112
	;;#ASMEND
	;;#ASMSTART
	v_dot2_f32_f16 v112, v21, v37, v112
	;;#ASMEND
	;;#ASMSTART
	v_dot2_f32_f16 v112, v22, v38, v112
	;;#ASMEND
	;;#ASMSTART
	v_dot2_f32_f16 v112, v23, v39, v112
	;;#ASMEND
	ds_load_b128 v[0:3], v77 offset:48
	ds_load_b128 v[4:7], v72 offset:176
	ds_load_b128 v[8:11], v72 offset:432
	ds_load_b128 v[12:15], v72 offset:688
	ds_load_b128 v[16:19], v72 offset:944
	ds_load_b128 v[20:23], v77 offset:4656
	ds_load_b128 v[24:27], v72 offset:1200
	ds_load_b128 v[28:31], v72 offset:1456
	ds_load_b128 v[32:35], v72 offset:1712
	ds_load_b128 v[36:39], v72 offset:1968
	s_wait_dscnt 0x8
	;;#ASMSTART
	v_dot2_f32_f16 v122, v0, v4, v122
	;;#ASMEND
	;;#ASMSTART
	v_dot2_f32_f16 v122, v1, v5, v122
	;;#ASMEND
	;;#ASMSTART
	v_dot2_f32_f16 v122, v2, v6, v122
	;;#ASMEND
	;;#ASMSTART
	v_dot2_f32_f16 v122, v3, v7, v122
	;;#ASMEND
	s_wait_dscnt 0x7
	;;#ASMSTART
	v_dot2_f32_f16 v120, v0, v8, v120
	;;#ASMEND
	;;#ASMSTART
	v_dot2_f32_f16 v120, v1, v9, v120
	;;#ASMEND
	;;#ASMSTART
	v_dot2_f32_f16 v120, v2, v10, v120
	;;#ASMEND
	;;#ASMSTART
	v_dot2_f32_f16 v120, v3, v11, v120
	;;#ASMEND
	;; [unrolled: 13-line block ×8, first 2 shown]
	;;#ASMSTART
	v_dot2_f32_f16 v124, v20, v4, v124
	;;#ASMEND
	;;#ASMSTART
	v_dot2_f32_f16 v124, v21, v5, v124
	;;#ASMEND
	;; [unrolled: 3-line block ×32, first 2 shown]
	ds_load_b128 v[0:3], v77 offset:64
	ds_load_b128 v[4:7], v72 offset:192
	;; [unrolled: 1-line block ×10, first 2 shown]
	s_wait_dscnt 0x8
	;;#ASMSTART
	v_dot2_f32_f16 v122, v0, v4, v122
	;;#ASMEND
	;;#ASMSTART
	v_dot2_f32_f16 v122, v1, v5, v122
	;;#ASMEND
	;;#ASMSTART
	v_dot2_f32_f16 v122, v2, v6, v122
	;;#ASMEND
	;;#ASMSTART
	v_dot2_f32_f16 v122, v3, v7, v122
	;;#ASMEND
	s_wait_dscnt 0x7
	;;#ASMSTART
	v_dot2_f32_f16 v120, v0, v8, v120
	;;#ASMEND
	;;#ASMSTART
	v_dot2_f32_f16 v120, v1, v9, v120
	;;#ASMEND
	;;#ASMSTART
	v_dot2_f32_f16 v120, v2, v10, v120
	;;#ASMEND
	;;#ASMSTART
	v_dot2_f32_f16 v120, v3, v11, v120
	;;#ASMEND
	;; [unrolled: 13-line block ×8, first 2 shown]
	;;#ASMSTART
	v_dot2_f32_f16 v124, v20, v4, v124
	;;#ASMEND
	;;#ASMSTART
	v_dot2_f32_f16 v124, v21, v5, v124
	;;#ASMEND
	;; [unrolled: 3-line block ×32, first 2 shown]
	ds_load_b128 v[0:3], v77 offset:80
	ds_load_b128 v[4:7], v72 offset:208
	;; [unrolled: 1-line block ×10, first 2 shown]
	s_wait_dscnt 0x8
	;;#ASMSTART
	v_dot2_f32_f16 v122, v0, v4, v122
	;;#ASMEND
	;;#ASMSTART
	v_dot2_f32_f16 v122, v1, v5, v122
	;;#ASMEND
	;;#ASMSTART
	v_dot2_f32_f16 v122, v2, v6, v122
	;;#ASMEND
	;;#ASMSTART
	v_dot2_f32_f16 v122, v3, v7, v122
	;;#ASMEND
	s_wait_dscnt 0x7
	;;#ASMSTART
	v_dot2_f32_f16 v120, v0, v8, v120
	;;#ASMEND
	;;#ASMSTART
	v_dot2_f32_f16 v120, v1, v9, v120
	;;#ASMEND
	;;#ASMSTART
	v_dot2_f32_f16 v120, v2, v10, v120
	;;#ASMEND
	;;#ASMSTART
	v_dot2_f32_f16 v120, v3, v11, v120
	;;#ASMEND
	;; [unrolled: 13-line block ×8, first 2 shown]
	;;#ASMSTART
	v_dot2_f32_f16 v124, v20, v4, v124
	;;#ASMEND
	;;#ASMSTART
	v_dot2_f32_f16 v124, v21, v5, v124
	;;#ASMEND
	;; [unrolled: 3-line block ×32, first 2 shown]
	ds_load_b128 v[0:3], v77 offset:96
	ds_load_b128 v[4:7], v72 offset:224
	;; [unrolled: 1-line block ×10, first 2 shown]
	s_wait_dscnt 0x8
	;;#ASMSTART
	v_dot2_f32_f16 v122, v0, v4, v122
	;;#ASMEND
	;;#ASMSTART
	v_dot2_f32_f16 v122, v1, v5, v122
	;;#ASMEND
	;;#ASMSTART
	v_dot2_f32_f16 v122, v2, v6, v122
	;;#ASMEND
	;;#ASMSTART
	v_dot2_f32_f16 v122, v3, v7, v122
	;;#ASMEND
	s_wait_dscnt 0x7
	;;#ASMSTART
	v_dot2_f32_f16 v120, v0, v8, v120
	;;#ASMEND
	;;#ASMSTART
	v_dot2_f32_f16 v120, v1, v9, v120
	;;#ASMEND
	;;#ASMSTART
	v_dot2_f32_f16 v120, v2, v10, v120
	;;#ASMEND
	;;#ASMSTART
	v_dot2_f32_f16 v120, v3, v11, v120
	;;#ASMEND
	;; [unrolled: 13-line block ×8, first 2 shown]
	;;#ASMSTART
	v_dot2_f32_f16 v124, v20, v4, v124
	;;#ASMEND
	;;#ASMSTART
	v_dot2_f32_f16 v124, v21, v5, v124
	;;#ASMEND
	;; [unrolled: 3-line block ×32, first 2 shown]
	ds_load_b128 v[4:7], v77 offset:112
	ds_load_b128 v[8:11], v72 offset:240
	ds_load_b128 v[12:15], v72 offset:496
	ds_load_b128 v[16:19], v72 offset:752
	ds_load_b128 v[20:23], v72 offset:1008
	ds_load_b128 v[0:3], v77 offset:4720
	ds_load_b128 v[24:27], v72 offset:1264
	ds_load_b128 v[28:31], v72 offset:1520
	ds_load_b128 v[32:35], v72 offset:1776
	ds_load_b128 v[36:39], v72 offset:2032
	s_wait_dscnt 0x8
	;;#ASMSTART
	v_dot2_f32_f16 v122, v4, v8, v122
	;;#ASMEND
	;;#ASMSTART
	v_dot2_f32_f16 v122, v5, v9, v122
	;;#ASMEND
	;;#ASMSTART
	v_dot2_f32_f16 v122, v6, v10, v122
	;;#ASMEND
	;;#ASMSTART
	v_dot2_f32_f16 v122, v7, v11, v122
	;;#ASMEND
	s_wait_dscnt 0x7
	;;#ASMSTART
	v_dot2_f32_f16 v120, v4, v12, v120
	;;#ASMEND
	;;#ASMSTART
	v_dot2_f32_f16 v120, v5, v13, v120
	;;#ASMEND
	;;#ASMSTART
	v_dot2_f32_f16 v120, v6, v14, v120
	;;#ASMEND
	;;#ASMSTART
	v_dot2_f32_f16 v120, v7, v15, v120
	;;#ASMEND
	;; [unrolled: 13-line block ×8, first 2 shown]
	;;#ASMSTART
	v_dot2_f32_f16 v124, v0, v8, v124
	;;#ASMEND
	;;#ASMSTART
	v_dot2_f32_f16 v124, v1, v9, v124
	;;#ASMEND
	;; [unrolled: 3-line block ×25, first 2 shown]
	v_cmp_ngt_f32_e64 s2, 0x3f200000, |v122|
	;;#ASMSTART
	v_dot2_f32_f16 v110, v1, v33, v110
	;;#ASMEND
	;;#ASMSTART
	v_dot2_f32_f16 v110, v2, v34, v110
	;;#ASMEND
	;; [unrolled: 3-line block ×7, first 2 shown]
                                        ; implicit-def: $vgpr2
	s_and_saveexec_b32 s3, s2
	s_delay_alu instid0(SALU_CYCLE_1)
	s_xor_b32 s2, exec_lo, s3
	s_cbranch_execz .LBB75_11
; %bb.10:                               ;   in Loop: Header=BB75_9 Depth=1
	v_add_f32_e64 v0, |v122|, |v122|
	s_delay_alu instid0(VALU_DEP_1) | instskip(SKIP_1) | instid1(VALU_DEP_2)
	v_mul_f32_e32 v1, 0x3fb8aa3b, v0
	v_cmp_ngt_f32_e32 vcc_lo, 0xc2ce8ed0, v0
	v_rndne_f32_e32 v2, v1
	v_fma_f32 v3, 0x3fb8aa3b, v0, -v1
	s_delay_alu instid0(VALU_DEP_2) | instskip(NEXT) | instid1(VALU_DEP_2)
	v_sub_f32_e32 v1, v1, v2
	v_fmac_f32_e32 v3, 0x32a5705f, v0
	v_cvt_i32_f32_e32 v2, v2
	s_delay_alu instid0(VALU_DEP_2) | instskip(NEXT) | instid1(VALU_DEP_1)
	v_add_f32_e32 v1, v1, v3
	v_exp_f32_e32 v1, v1
	v_nop
	s_delay_alu instid0(TRANS32_DEP_1) | instskip(NEXT) | instid1(VALU_DEP_1)
	v_ldexp_f32 v1, v1, v2
	v_cndmask_b32_e32 v1, 0, v1, vcc_lo
	v_cmp_nlt_f32_e32 vcc_lo, 0x42b17218, v0
	s_delay_alu instid0(VALU_DEP_2) | instskip(NEXT) | instid1(VALU_DEP_1)
	v_cndmask_b32_e32 v0, 0x7f800000, v1, vcc_lo
	v_add_f32_e32 v0, 1.0, v0
	s_delay_alu instid0(VALU_DEP_1) | instskip(SKIP_1) | instid1(TRANS32_DEP_1)
	v_rcp_f32_e32 v0, v0
	v_nop
	v_fma_f32 v2, v0, -2.0, 1.0
.LBB75_11:                              ;   in Loop: Header=BB75_9 Depth=1
	s_and_not1_saveexec_b32 s2, s2
	s_cbranch_execz .LBB75_13
; %bb.12:                               ;   in Loop: Header=BB75_9 Depth=1
	v_mul_f32_e32 v0, v122, v122
	s_delay_alu instid0(VALU_DEP_1) | instskip(NEXT) | instid1(VALU_DEP_1)
	v_fmaak_f32 v1, s31, v0, 0x3ca908c9
	v_fmaak_f32 v1, v0, v1, 0xbd5c1c4e
	s_delay_alu instid0(VALU_DEP_1) | instskip(NEXT) | instid1(VALU_DEP_1)
	v_fmaak_f32 v1, v0, v1, 0x3e088382
	v_fmaak_f32 v1, v0, v1, 0xbeaaaa99
	s_delay_alu instid0(VALU_DEP_1) | instskip(NEXT) | instid1(VALU_DEP_1)
	v_mul_f32_e64 v1, |v122|, v1
	v_fma_f32 v2, v0, v1, |v122|
.LBB75_13:                              ;   in Loop: Header=BB75_9 Depth=1
	s_or_b32 exec_lo, exec_lo, s2
	v_add_nc_u32_e32 v19, s14, v71
	v_cmp_ngt_f32_e64 s2, 0x3f200000, |v124|
                                        ; implicit-def: $vgpr3
	s_delay_alu instid0(VALU_DEP_2) | instskip(SKIP_3) | instid1(SALU_CYCLE_1)
	v_add_nc_u32_e32 v0, v19, v78
	global_load_u16 v5, v0, s[36:37] scale_offset
	s_wait_xcnt 0x0
	s_and_saveexec_b32 s3, s2
	s_xor_b32 s2, exec_lo, s3
	s_cbranch_execz .LBB75_15
; %bb.14:                               ;   in Loop: Header=BB75_9 Depth=1
	v_add_f32_e64 v1, |v124|, |v124|
	s_delay_alu instid0(VALU_DEP_1) | instskip(SKIP_1) | instid1(VALU_DEP_2)
	v_mul_f32_e32 v3, 0x3fb8aa3b, v1
	v_cmp_ngt_f32_e32 vcc_lo, 0xc2ce8ed0, v1
	v_rndne_f32_e32 v4, v3
	v_fma_f32 v6, 0x3fb8aa3b, v1, -v3
	s_delay_alu instid0(VALU_DEP_1) | instskip(SKIP_1) | instid1(VALU_DEP_2)
	v_dual_sub_f32 v3, v3, v4 :: v_dual_fmac_f32 v6, 0x32a5705f, v1
	v_cvt_i32_f32_e32 v4, v4
	v_add_f32_e32 v3, v3, v6
	s_delay_alu instid0(VALU_DEP_1) | instskip(SKIP_1) | instid1(TRANS32_DEP_1)
	v_exp_f32_e32 v3, v3
	v_nop
	v_ldexp_f32 v3, v3, v4
	s_delay_alu instid0(VALU_DEP_1) | instskip(SKIP_1) | instid1(VALU_DEP_2)
	v_cndmask_b32_e32 v3, 0, v3, vcc_lo
	v_cmp_nlt_f32_e32 vcc_lo, 0x42b17218, v1
	v_cndmask_b32_e32 v1, 0x7f800000, v3, vcc_lo
	s_delay_alu instid0(VALU_DEP_1) | instskip(NEXT) | instid1(VALU_DEP_1)
	v_add_f32_e32 v1, 1.0, v1
	v_rcp_f32_e32 v1, v1
	v_nop
	s_delay_alu instid0(TRANS32_DEP_1)
	v_fma_f32 v3, v1, -2.0, 1.0
.LBB75_15:                              ;   in Loop: Header=BB75_9 Depth=1
	s_and_not1_saveexec_b32 s2, s2
	s_cbranch_execz .LBB75_17
; %bb.16:                               ;   in Loop: Header=BB75_9 Depth=1
	v_mul_f32_e32 v1, v124, v124
	s_delay_alu instid0(VALU_DEP_1) | instskip(NEXT) | instid1(VALU_DEP_1)
	v_fmaak_f32 v3, s31, v1, 0x3ca908c9
	v_fmaak_f32 v3, v1, v3, 0xbd5c1c4e
	s_delay_alu instid0(VALU_DEP_1) | instskip(NEXT) | instid1(VALU_DEP_1)
	v_fmaak_f32 v3, v1, v3, 0x3e088382
	v_fmaak_f32 v3, v1, v3, 0xbeaaaa99
	s_delay_alu instid0(VALU_DEP_1) | instskip(NEXT) | instid1(VALU_DEP_1)
	v_mul_f32_e64 v3, |v124|, v3
	v_fma_f32 v3, v1, v3, |v124|
.LBB75_17:                              ;   in Loop: Header=BB75_9 Depth=1
	s_or_b32 exec_lo, exec_lo, s2
	v_dual_ashrrev_i32 v1, 31, v0 :: v_dual_bitop2_b32 v30, 16, v74 bitop3:0x14
	v_xor_b32_e32 v29, 8, v74
	v_cmp_ngt_f32_e64 s2, 0x3f200000, |v120|
	v_xor_b32_e32 v28, 4, v74
	s_delay_alu instid0(VALU_DEP_4)
	v_lshl_add_u64 v[0:1], v[0:1], 1, s[36:37]
	v_cmp_gt_i32_e32 vcc_lo, 32, v30
	v_xor_b32_e32 v26, 1, v74
	global_load_u16 v0, v[0:1], off offset:64
	s_wait_xcnt 0x0
	v_bfi_b32 v1, 0x7fffffff, v2, v122
	v_bfi_b32 v2, 0x7fffffff, v3, v124
	s_wait_loadcnt 0x1
	s_wait_kmcnt 0x0
	s_delay_alu instid0(VALU_DEP_2) | instskip(NEXT) | instid1(VALU_DEP_1)
	v_fma_mix_f32 v9, s29, v1, v5 op_sel_hi:[0,0,1]
	v_add_f32_e32 v1, 0x40051340, v9
	s_wait_loadcnt 0x0
	v_fma_mix_f32 v10, s29, v2, v0 op_sel_hi:[0,0,1]
	v_cndmask_b32_e32 v2, v74, v30, vcc_lo
	v_cmp_gt_i32_e32 vcc_lo, 32, v29
	s_delay_alu instid0(VALU_DEP_3) | instskip(NEXT) | instid1(VALU_DEP_3)
	v_add_f32_e32 v3, 0x40051340, v10
	v_dual_lshlrev_b32 v2, 2, v2 :: v_dual_cndmask_b32 v4, v74, v29, vcc_lo
	v_cmp_gt_i32_e32 vcc_lo, 32, v28
	s_delay_alu instid0(VALU_DEP_3) | instskip(NEXT) | instid1(VALU_DEP_3)
	v_max3_num_f32 v1, v106, v1, v3
	v_lshlrev_b32_e32 v11, 2, v4
	ds_bpermute_b32 v3, v2, v1
	s_wait_dscnt 0x0
	v_max_num_f32_e32 v3, v3, v3
	s_delay_alu instid0(VALU_DEP_1) | instskip(SKIP_3) | instid1(VALU_DEP_1)
	v_max_num_f32_e32 v1, v1, v3
	ds_bpermute_b32 v3, v11, v1
	s_wait_dscnt 0x0
	v_dual_cndmask_b32 v4, v74, v28 :: v_dual_max_num_f32 v3, v3, v3
	v_dual_max_num_f32 v1, v1, v3 :: v_dual_lshlrev_b32 v8, 2, v4
	ds_bpermute_b32 v3, v8, v1
	s_wait_dscnt 0x0
	v_dual_max_num_f32 v3, v3, v3 :: v_dual_bitop2_b32 v27, 2, v74 bitop3:0x14
	s_delay_alu instid0(VALU_DEP_1) | instskip(NEXT) | instid1(VALU_DEP_2)
	v_cmp_gt_i32_e32 vcc_lo, 32, v27
	v_max_num_f32_e32 v1, v1, v3
	v_cndmask_b32_e32 v4, v74, v27, vcc_lo
	v_cmp_gt_i32_e32 vcc_lo, 32, v26
	s_delay_alu instid0(VALU_DEP_2) | instskip(SKIP_3) | instid1(VALU_DEP_1)
	v_lshlrev_b32_e32 v16, 2, v4
	ds_bpermute_b32 v3, v16, v1
	s_wait_dscnt 0x0
	v_dual_cndmask_b32 v4, v74, v26 :: v_dual_max_num_f32 v3, v3, v3
	v_dual_lshlrev_b32 v7, 2, v4 :: v_dual_max_num_f32 v3, v1, v3
                                        ; implicit-def: $vgpr1
	ds_bpermute_b32 v4, v7, v3
	s_and_saveexec_b32 s3, s2
	s_delay_alu instid0(SALU_CYCLE_1)
	s_xor_b32 s2, exec_lo, s3
	s_cbranch_execz .LBB75_19
; %bb.18:                               ;   in Loop: Header=BB75_9 Depth=1
	v_add_f32_e64 v1, |v120|, |v120|
	s_delay_alu instid0(VALU_DEP_1) | instskip(SKIP_1) | instid1(VALU_DEP_2)
	v_mul_f32_e32 v6, 0x3fb8aa3b, v1
	v_cmp_ngt_f32_e32 vcc_lo, 0xc2ce8ed0, v1
	v_rndne_f32_e32 v12, v6
	v_fma_f32 v13, 0x3fb8aa3b, v1, -v6
	s_delay_alu instid0(VALU_DEP_1) | instskip(SKIP_1) | instid1(VALU_DEP_2)
	v_dual_sub_f32 v6, v6, v12 :: v_dual_fmac_f32 v13, 0x32a5705f, v1
	v_cvt_i32_f32_e32 v12, v12
	v_add_f32_e32 v6, v6, v13
	s_delay_alu instid0(VALU_DEP_1) | instskip(SKIP_1) | instid1(TRANS32_DEP_1)
	v_exp_f32_e32 v6, v6
	v_nop
	v_ldexp_f32 v6, v6, v12
	s_delay_alu instid0(VALU_DEP_1) | instskip(SKIP_1) | instid1(VALU_DEP_2)
	v_cndmask_b32_e32 v6, 0, v6, vcc_lo
	v_cmp_nlt_f32_e32 vcc_lo, 0x42b17218, v1
	v_cndmask_b32_e32 v1, 0x7f800000, v6, vcc_lo
	s_delay_alu instid0(VALU_DEP_1) | instskip(NEXT) | instid1(VALU_DEP_1)
	v_add_f32_e32 v1, 1.0, v1
	v_rcp_f32_e32 v1, v1
	v_nop
	s_delay_alu instid0(TRANS32_DEP_1)
	v_fma_f32 v1, v1, -2.0, 1.0
.LBB75_19:                              ;   in Loop: Header=BB75_9 Depth=1
	s_and_not1_saveexec_b32 s2, s2
	s_cbranch_execz .LBB75_21
; %bb.20:                               ;   in Loop: Header=BB75_9 Depth=1
	v_mul_f32_e32 v1, v120, v120
	s_delay_alu instid0(VALU_DEP_1) | instskip(NEXT) | instid1(VALU_DEP_1)
	v_fmaak_f32 v6, s31, v1, 0x3ca908c9
	v_fmaak_f32 v6, v1, v6, 0xbd5c1c4e
	s_delay_alu instid0(VALU_DEP_1) | instskip(NEXT) | instid1(VALU_DEP_1)
	v_fmaak_f32 v6, v1, v6, 0x3e088382
	v_fmaak_f32 v6, v1, v6, 0xbeaaaa99
	s_delay_alu instid0(VALU_DEP_1) | instskip(NEXT) | instid1(VALU_DEP_1)
	v_mul_f32_e64 v6, |v120|, v6
	v_fma_f32 v1, v1, v6, |v120|
.LBB75_21:                              ;   in Loop: Header=BB75_9 Depth=1
	s_or_b32 exec_lo, exec_lo, s2
	v_cmp_ngt_f32_e64 s2, 0x3f200000, |v123|
                                        ; implicit-def: $vgpr6
	s_and_saveexec_b32 s3, s2
	s_delay_alu instid0(SALU_CYCLE_1)
	s_xor_b32 s2, exec_lo, s3
	s_cbranch_execz .LBB75_23
; %bb.22:                               ;   in Loop: Header=BB75_9 Depth=1
	v_add_f32_e64 v6, |v123|, |v123|
	s_delay_alu instid0(VALU_DEP_1) | instskip(SKIP_1) | instid1(VALU_DEP_2)
	v_mul_f32_e32 v12, 0x3fb8aa3b, v6
	v_cmp_ngt_f32_e32 vcc_lo, 0xc2ce8ed0, v6
	v_rndne_f32_e32 v13, v12
	v_fma_f32 v14, 0x3fb8aa3b, v6, -v12
	s_delay_alu instid0(VALU_DEP_2) | instskip(NEXT) | instid1(VALU_DEP_2)
	v_sub_f32_e32 v12, v12, v13
	v_fmac_f32_e32 v14, 0x32a5705f, v6
	v_cvt_i32_f32_e32 v13, v13
	s_delay_alu instid0(VALU_DEP_2) | instskip(NEXT) | instid1(VALU_DEP_1)
	v_add_f32_e32 v12, v12, v14
	v_exp_f32_e32 v12, v12
	v_nop
	s_delay_alu instid0(TRANS32_DEP_1) | instskip(NEXT) | instid1(VALU_DEP_1)
	v_ldexp_f32 v12, v12, v13
	v_cndmask_b32_e32 v12, 0, v12, vcc_lo
	v_cmp_nlt_f32_e32 vcc_lo, 0x42b17218, v6
	s_delay_alu instid0(VALU_DEP_2) | instskip(NEXT) | instid1(VALU_DEP_1)
	v_cndmask_b32_e32 v6, 0x7f800000, v12, vcc_lo
	v_add_f32_e32 v6, 1.0, v6
	s_delay_alu instid0(VALU_DEP_1) | instskip(SKIP_1) | instid1(TRANS32_DEP_1)
	v_rcp_f32_e32 v6, v6
	v_nop
	v_fma_f32 v6, v6, -2.0, 1.0
.LBB75_23:                              ;   in Loop: Header=BB75_9 Depth=1
	s_and_not1_saveexec_b32 s2, s2
	s_cbranch_execz .LBB75_25
; %bb.24:                               ;   in Loop: Header=BB75_9 Depth=1
	v_mul_f32_e32 v6, v123, v123
	s_delay_alu instid0(VALU_DEP_1) | instskip(NEXT) | instid1(VALU_DEP_1)
	v_fmaak_f32 v12, s31, v6, 0x3ca908c9
	v_fmaak_f32 v12, v6, v12, 0xbd5c1c4e
	s_delay_alu instid0(VALU_DEP_1) | instskip(NEXT) | instid1(VALU_DEP_1)
	v_fmaak_f32 v12, v6, v12, 0x3e088382
	v_fmaak_f32 v12, v6, v12, 0xbeaaaa99
	s_delay_alu instid0(VALU_DEP_1) | instskip(NEXT) | instid1(VALU_DEP_1)
	v_mul_f32_e64 v12, |v123|, v12
	v_fma_f32 v6, v6, v12, |v123|
.LBB75_25:                              ;   in Loop: Header=BB75_9 Depth=1
	s_or_b32 exec_lo, exec_lo, s2
	v_cvt_f32_f16_e32 v22, v5
	v_cvt_f32_f16_e32 v23, v0
	v_bfi_b32 v0, 0x7fffffff, v1, v120
	v_bfi_b32 v1, 0x7fffffff, v6, v123
	v_cmp_ngt_f32_e64 s2, 0x3f200000, |v118|
	s_delay_alu instid0(VALU_DEP_2) | instskip(NEXT) | instid1(VALU_DEP_1)
	v_dual_fma_f32 v13, s29, v0, v22 :: v_dual_fma_f32 v12, s29, v1, v23
	v_dual_add_f32 v0, 0x40051340, v13 :: v_dual_add_f32 v1, 0x40051340, v12
	s_delay_alu instid0(VALU_DEP_1) | instskip(SKIP_3) | instid1(VALU_DEP_1)
	v_max3_num_f32 v0, v108, v0, v1
	ds_bpermute_b32 v1, v2, v0
	s_wait_dscnt 0x0
	v_max_num_f32_e32 v1, v1, v1
	v_max_num_f32_e32 v0, v0, v1
	ds_bpermute_b32 v1, v11, v0
	s_wait_dscnt 0x0
	v_max_num_f32_e32 v1, v1, v1
	s_delay_alu instid0(VALU_DEP_1) | instskip(SKIP_3) | instid1(VALU_DEP_1)
	v_max_num_f32_e32 v0, v0, v1
	ds_bpermute_b32 v1, v8, v0
	s_wait_dscnt 0x0
	v_max_num_f32_e32 v1, v1, v1
	v_max_num_f32_e32 v0, v0, v1
	ds_bpermute_b32 v1, v16, v0
	s_wait_dscnt 0x0
	v_max_num_f32_e32 v1, v1, v1
	s_delay_alu instid0(VALU_DEP_1) | instskip(SKIP_2) | instid1(SALU_CYCLE_1)
	v_max_num_f32_e32 v5, v0, v1
                                        ; implicit-def: $vgpr0
	ds_bpermute_b32 v6, v7, v5
	s_and_saveexec_b32 s3, s2
	s_xor_b32 s2, exec_lo, s3
	s_cbranch_execz .LBB75_27
; %bb.26:                               ;   in Loop: Header=BB75_9 Depth=1
	v_add_f32_e64 v0, |v118|, |v118|
	s_delay_alu instid0(VALU_DEP_1) | instskip(SKIP_1) | instid1(VALU_DEP_2)
	v_mul_f32_e32 v1, 0x3fb8aa3b, v0
	v_cmp_ngt_f32_e32 vcc_lo, 0xc2ce8ed0, v0
	v_rndne_f32_e32 v14, v1
	v_fma_f32 v15, 0x3fb8aa3b, v0, -v1
	s_delay_alu instid0(VALU_DEP_2) | instskip(NEXT) | instid1(VALU_DEP_2)
	v_sub_f32_e32 v1, v1, v14
	v_fmac_f32_e32 v15, 0x32a5705f, v0
	v_cvt_i32_f32_e32 v14, v14
	s_delay_alu instid0(VALU_DEP_2) | instskip(NEXT) | instid1(VALU_DEP_1)
	v_add_f32_e32 v1, v1, v15
	v_exp_f32_e32 v1, v1
	v_nop
	s_delay_alu instid0(TRANS32_DEP_1) | instskip(NEXT) | instid1(VALU_DEP_1)
	v_ldexp_f32 v1, v1, v14
	v_cndmask_b32_e32 v1, 0, v1, vcc_lo
	v_cmp_nlt_f32_e32 vcc_lo, 0x42b17218, v0
	s_delay_alu instid0(VALU_DEP_2) | instskip(NEXT) | instid1(VALU_DEP_1)
	v_cndmask_b32_e32 v0, 0x7f800000, v1, vcc_lo
	v_add_f32_e32 v0, 1.0, v0
	s_delay_alu instid0(VALU_DEP_1) | instskip(SKIP_1) | instid1(TRANS32_DEP_1)
	v_rcp_f32_e32 v0, v0
	v_nop
	v_fma_f32 v0, v0, -2.0, 1.0
.LBB75_27:                              ;   in Loop: Header=BB75_9 Depth=1
	s_and_not1_saveexec_b32 s2, s2
	s_cbranch_execz .LBB75_29
; %bb.28:                               ;   in Loop: Header=BB75_9 Depth=1
	v_mul_f32_e32 v0, v118, v118
	s_delay_alu instid0(VALU_DEP_1) | instskip(NEXT) | instid1(VALU_DEP_1)
	v_fmaak_f32 v1, s31, v0, 0x3ca908c9
	v_fmaak_f32 v1, v0, v1, 0xbd5c1c4e
	s_delay_alu instid0(VALU_DEP_1) | instskip(NEXT) | instid1(VALU_DEP_1)
	v_fmaak_f32 v1, v0, v1, 0x3e088382
	v_fmaak_f32 v1, v0, v1, 0xbeaaaa99
	s_delay_alu instid0(VALU_DEP_1) | instskip(NEXT) | instid1(VALU_DEP_1)
	v_mul_f32_e64 v1, |v118|, v1
	v_fma_f32 v0, v0, v1, |v118|
.LBB75_29:                              ;   in Loop: Header=BB75_9 Depth=1
	s_or_b32 exec_lo, exec_lo, s2
	v_cmp_ngt_f32_e64 s2, 0x3f200000, |v121|
                                        ; implicit-def: $vgpr1
	s_and_saveexec_b32 s3, s2
	s_delay_alu instid0(SALU_CYCLE_1)
	s_xor_b32 s2, exec_lo, s3
	s_cbranch_execz .LBB75_31
; %bb.30:                               ;   in Loop: Header=BB75_9 Depth=1
	v_add_f32_e64 v1, |v121|, |v121|
	s_delay_alu instid0(VALU_DEP_1) | instskip(SKIP_1) | instid1(VALU_DEP_2)
	v_mul_f32_e32 v14, 0x3fb8aa3b, v1
	v_cmp_ngt_f32_e32 vcc_lo, 0xc2ce8ed0, v1
	v_rndne_f32_e32 v15, v14
	v_fma_f32 v17, 0x3fb8aa3b, v1, -v14
	s_delay_alu instid0(VALU_DEP_1) | instskip(SKIP_1) | instid1(VALU_DEP_2)
	v_dual_sub_f32 v14, v14, v15 :: v_dual_fmac_f32 v17, 0x32a5705f, v1
	v_cvt_i32_f32_e32 v15, v15
	v_add_f32_e32 v14, v14, v17
	s_delay_alu instid0(VALU_DEP_1) | instskip(SKIP_1) | instid1(TRANS32_DEP_1)
	v_exp_f32_e32 v14, v14
	v_nop
	v_ldexp_f32 v14, v14, v15
	s_delay_alu instid0(VALU_DEP_1) | instskip(SKIP_1) | instid1(VALU_DEP_2)
	v_cndmask_b32_e32 v14, 0, v14, vcc_lo
	v_cmp_nlt_f32_e32 vcc_lo, 0x42b17218, v1
	v_cndmask_b32_e32 v1, 0x7f800000, v14, vcc_lo
	s_delay_alu instid0(VALU_DEP_1) | instskip(NEXT) | instid1(VALU_DEP_1)
	v_add_f32_e32 v1, 1.0, v1
	v_rcp_f32_e32 v1, v1
	v_nop
	s_delay_alu instid0(TRANS32_DEP_1)
	v_fma_f32 v1, v1, -2.0, 1.0
.LBB75_31:                              ;   in Loop: Header=BB75_9 Depth=1
	s_and_not1_saveexec_b32 s2, s2
	s_cbranch_execz .LBB75_33
; %bb.32:                               ;   in Loop: Header=BB75_9 Depth=1
	v_mul_f32_e32 v1, v121, v121
	s_delay_alu instid0(VALU_DEP_1) | instskip(NEXT) | instid1(VALU_DEP_1)
	v_fmaak_f32 v14, s31, v1, 0x3ca908c9
	v_fmaak_f32 v14, v1, v14, 0xbd5c1c4e
	s_delay_alu instid0(VALU_DEP_1) | instskip(NEXT) | instid1(VALU_DEP_1)
	v_fmaak_f32 v14, v1, v14, 0x3e088382
	v_fmaak_f32 v14, v1, v14, 0xbeaaaa99
	s_delay_alu instid0(VALU_DEP_1) | instskip(NEXT) | instid1(VALU_DEP_1)
	v_mul_f32_e64 v14, |v121|, v14
	v_fma_f32 v1, v1, v14, |v121|
.LBB75_33:                              ;   in Loop: Header=BB75_9 Depth=1
	s_or_b32 exec_lo, exec_lo, s2
	v_bfi_b32 v0, 0x7fffffff, v0, v118
	s_delay_alu instid0(VALU_DEP_2) | instskip(SKIP_1) | instid1(VALU_DEP_2)
	v_bfi_b32 v1, 0x7fffffff, v1, v121
	v_cmp_ngt_f32_e64 s2, 0x3f200000, |v117|
	v_dual_fma_f32 v14, s29, v0, v22 :: v_dual_fma_f32 v15, s29, v1, v23
	s_delay_alu instid0(VALU_DEP_1) | instskip(NEXT) | instid1(VALU_DEP_1)
	v_dual_add_f32 v0, 0x40051340, v14 :: v_dual_add_f32 v1, 0x40051340, v15
	v_max3_num_f32 v0, v107, v0, v1
	ds_bpermute_b32 v1, v2, v0
	s_wait_dscnt 0x0
	v_max_num_f32_e32 v1, v1, v1
	s_delay_alu instid0(VALU_DEP_1) | instskip(SKIP_3) | instid1(VALU_DEP_1)
	v_max_num_f32_e32 v0, v0, v1
	ds_bpermute_b32 v1, v11, v0
	s_wait_dscnt 0x0
	v_max_num_f32_e32 v1, v1, v1
	v_max_num_f32_e32 v0, v0, v1
	ds_bpermute_b32 v1, v8, v0
	s_wait_dscnt 0x0
	v_max_num_f32_e32 v1, v1, v1
	s_delay_alu instid0(VALU_DEP_1) | instskip(SKIP_3) | instid1(VALU_DEP_1)
	v_max_num_f32_e32 v0, v0, v1
	ds_bpermute_b32 v1, v16, v0
	s_wait_dscnt 0x0
	v_max_num_f32_e32 v1, v1, v1
	v_max_num_f32_e32 v17, v0, v1
                                        ; implicit-def: $vgpr0
	ds_bpermute_b32 v18, v7, v17
	s_and_saveexec_b32 s3, s2
	s_delay_alu instid0(SALU_CYCLE_1)
	s_xor_b32 s2, exec_lo, s3
	s_cbranch_execz .LBB75_35
; %bb.34:                               ;   in Loop: Header=BB75_9 Depth=1
	v_add_f32_e64 v0, |v117|, |v117|
	s_delay_alu instid0(VALU_DEP_1) | instskip(SKIP_1) | instid1(VALU_DEP_2)
	v_mul_f32_e32 v1, 0x3fb8aa3b, v0
	v_cmp_ngt_f32_e32 vcc_lo, 0xc2ce8ed0, v0
	v_rndne_f32_e32 v20, v1
	v_fma_f32 v21, 0x3fb8aa3b, v0, -v1
	s_delay_alu instid0(VALU_DEP_2) | instskip(NEXT) | instid1(VALU_DEP_2)
	v_sub_f32_e32 v1, v1, v20
	v_fmac_f32_e32 v21, 0x32a5705f, v0
	v_cvt_i32_f32_e32 v20, v20
	s_delay_alu instid0(VALU_DEP_2) | instskip(NEXT) | instid1(VALU_DEP_1)
	v_add_f32_e32 v1, v1, v21
	v_exp_f32_e32 v1, v1
	v_nop
	s_delay_alu instid0(TRANS32_DEP_1) | instskip(NEXT) | instid1(VALU_DEP_1)
	v_ldexp_f32 v1, v1, v20
	v_cndmask_b32_e32 v1, 0, v1, vcc_lo
	v_cmp_nlt_f32_e32 vcc_lo, 0x42b17218, v0
	s_delay_alu instid0(VALU_DEP_2) | instskip(NEXT) | instid1(VALU_DEP_1)
	v_cndmask_b32_e32 v0, 0x7f800000, v1, vcc_lo
	v_add_f32_e32 v0, 1.0, v0
	s_delay_alu instid0(VALU_DEP_1) | instskip(SKIP_1) | instid1(TRANS32_DEP_1)
	v_rcp_f32_e32 v0, v0
	v_nop
	v_fma_f32 v0, v0, -2.0, 1.0
.LBB75_35:                              ;   in Loop: Header=BB75_9 Depth=1
	s_and_not1_saveexec_b32 s2, s2
	s_cbranch_execz .LBB75_37
; %bb.36:                               ;   in Loop: Header=BB75_9 Depth=1
	v_mul_f32_e32 v0, v117, v117
	s_delay_alu instid0(VALU_DEP_1) | instskip(NEXT) | instid1(VALU_DEP_1)
	v_fmaak_f32 v1, s31, v0, 0x3ca908c9
	v_fmaak_f32 v1, v0, v1, 0xbd5c1c4e
	s_delay_alu instid0(VALU_DEP_1) | instskip(NEXT) | instid1(VALU_DEP_1)
	v_fmaak_f32 v1, v0, v1, 0x3e088382
	v_fmaak_f32 v1, v0, v1, 0xbeaaaa99
	s_delay_alu instid0(VALU_DEP_1) | instskip(NEXT) | instid1(VALU_DEP_1)
	v_mul_f32_e64 v1, |v117|, v1
	v_fma_f32 v0, v0, v1, |v117|
.LBB75_37:                              ;   in Loop: Header=BB75_9 Depth=1
	s_or_b32 exec_lo, exec_lo, s2
	v_cmp_ngt_f32_e64 s2, 0x3f200000, |v119|
                                        ; implicit-def: $vgpr1
	s_and_saveexec_b32 s3, s2
	s_delay_alu instid0(SALU_CYCLE_1)
	s_xor_b32 s2, exec_lo, s3
	s_cbranch_execz .LBB75_39
; %bb.38:                               ;   in Loop: Header=BB75_9 Depth=1
	v_add_f32_e64 v1, |v119|, |v119|
	s_delay_alu instid0(VALU_DEP_1) | instskip(SKIP_1) | instid1(VALU_DEP_2)
	v_mul_f32_e32 v20, 0x3fb8aa3b, v1
	v_cmp_ngt_f32_e32 vcc_lo, 0xc2ce8ed0, v1
	v_rndne_f32_e32 v21, v20
	v_fma_f32 v24, 0x3fb8aa3b, v1, -v20
	s_delay_alu instid0(VALU_DEP_2) | instskip(NEXT) | instid1(VALU_DEP_2)
	v_sub_f32_e32 v20, v20, v21
	v_fmac_f32_e32 v24, 0x32a5705f, v1
	v_cvt_i32_f32_e32 v21, v21
	s_delay_alu instid0(VALU_DEP_2) | instskip(NEXT) | instid1(VALU_DEP_1)
	v_add_f32_e32 v20, v20, v24
	v_exp_f32_e32 v20, v20
	v_nop
	s_delay_alu instid0(TRANS32_DEP_1) | instskip(NEXT) | instid1(VALU_DEP_1)
	v_ldexp_f32 v20, v20, v21
	v_cndmask_b32_e32 v20, 0, v20, vcc_lo
	v_cmp_nlt_f32_e32 vcc_lo, 0x42b17218, v1
	s_delay_alu instid0(VALU_DEP_2) | instskip(NEXT) | instid1(VALU_DEP_1)
	v_cndmask_b32_e32 v1, 0x7f800000, v20, vcc_lo
	v_add_f32_e32 v1, 1.0, v1
	s_delay_alu instid0(VALU_DEP_1) | instskip(SKIP_1) | instid1(TRANS32_DEP_1)
	v_rcp_f32_e32 v1, v1
	v_nop
	v_fma_f32 v1, v1, -2.0, 1.0
.LBB75_39:                              ;   in Loop: Header=BB75_9 Depth=1
	s_and_not1_saveexec_b32 s2, s2
	s_cbranch_execz .LBB75_41
; %bb.40:                               ;   in Loop: Header=BB75_9 Depth=1
	v_mul_f32_e32 v1, v119, v119
	s_delay_alu instid0(VALU_DEP_1) | instskip(NEXT) | instid1(VALU_DEP_1)
	v_fmaak_f32 v20, s31, v1, 0x3ca908c9
	v_fmaak_f32 v20, v1, v20, 0xbd5c1c4e
	s_delay_alu instid0(VALU_DEP_1) | instskip(NEXT) | instid1(VALU_DEP_1)
	v_fmaak_f32 v20, v1, v20, 0x3e088382
	v_fmaak_f32 v20, v1, v20, 0xbeaaaa99
	s_delay_alu instid0(VALU_DEP_1) | instskip(NEXT) | instid1(VALU_DEP_1)
	v_mul_f32_e64 v20, |v119|, v20
	v_fma_f32 v1, v1, v20, |v119|
.LBB75_41:                              ;   in Loop: Header=BB75_9 Depth=1
	s_or_b32 exec_lo, exec_lo, s2
	v_bfi_b32 v0, 0x7fffffff, v0, v117
	s_delay_alu instid0(VALU_DEP_2) | instskip(SKIP_1) | instid1(VALU_DEP_2)
	v_bfi_b32 v1, 0x7fffffff, v1, v119
	v_cmp_ngt_f32_e64 s2, 0x3f200000, |v114|
                                        ; implicit-def: $vgpr25
	v_dual_fmac_f32 v22, s29, v0 :: v_dual_fmac_f32 v23, s29, v1
	s_delay_alu instid0(VALU_DEP_1) | instskip(NEXT) | instid1(VALU_DEP_1)
	v_dual_add_f32 v0, 0x40051340, v22 :: v_dual_add_f32 v1, 0x40051340, v23
	v_max3_num_f32 v0, v105, v0, v1
	ds_bpermute_b32 v1, v2, v0
	s_wait_dscnt 0x0
	v_max_num_f32_e32 v1, v1, v1
	s_delay_alu instid0(VALU_DEP_1) | instskip(SKIP_3) | instid1(VALU_DEP_1)
	v_max_num_f32_e32 v0, v0, v1
	ds_bpermute_b32 v1, v11, v0
	s_wait_dscnt 0x0
	v_max_num_f32_e32 v1, v1, v1
	v_max_num_f32_e32 v0, v0, v1
	ds_bpermute_b32 v1, v8, v0
	s_wait_dscnt 0x0
	v_max_num_f32_e32 v1, v1, v1
	s_delay_alu instid0(VALU_DEP_1) | instskip(SKIP_3) | instid1(VALU_DEP_1)
	v_max_num_f32_e32 v0, v0, v1
	ds_bpermute_b32 v1, v16, v0
	s_wait_dscnt 0x0
	v_max_num_f32_e32 v1, v1, v1
	v_max_num_f32_e32 v20, v0, v1
	ds_bpermute_b32 v21, v7, v20
	s_and_saveexec_b32 s3, s2
	s_delay_alu instid0(SALU_CYCLE_1)
	s_xor_b32 s2, exec_lo, s3
	s_cbranch_execz .LBB75_43
; %bb.42:                               ;   in Loop: Header=BB75_9 Depth=1
	v_add_f32_e64 v0, |v114|, |v114|
	s_delay_alu instid0(VALU_DEP_1) | instskip(SKIP_1) | instid1(VALU_DEP_2)
	v_mul_f32_e32 v1, 0x3fb8aa3b, v0
	v_cmp_ngt_f32_e32 vcc_lo, 0xc2ce8ed0, v0
	v_rndne_f32_e32 v24, v1
	v_fma_f32 v25, 0x3fb8aa3b, v0, -v1
	s_delay_alu instid0(VALU_DEP_2) | instskip(NEXT) | instid1(VALU_DEP_2)
	v_sub_f32_e32 v1, v1, v24
	v_fmac_f32_e32 v25, 0x32a5705f, v0
	v_cvt_i32_f32_e32 v24, v24
	s_delay_alu instid0(VALU_DEP_2) | instskip(NEXT) | instid1(VALU_DEP_1)
	v_add_f32_e32 v1, v1, v25
	v_exp_f32_e32 v1, v1
	v_nop
	s_delay_alu instid0(TRANS32_DEP_1) | instskip(NEXT) | instid1(VALU_DEP_1)
	v_ldexp_f32 v1, v1, v24
	v_cndmask_b32_e32 v1, 0, v1, vcc_lo
	v_cmp_nlt_f32_e32 vcc_lo, 0x42b17218, v0
	s_delay_alu instid0(VALU_DEP_2) | instskip(NEXT) | instid1(VALU_DEP_1)
	v_cndmask_b32_e32 v0, 0x7f800000, v1, vcc_lo
	v_add_f32_e32 v0, 1.0, v0
	s_delay_alu instid0(VALU_DEP_1) | instskip(SKIP_1) | instid1(TRANS32_DEP_1)
	v_rcp_f32_e32 v0, v0
	v_nop
	v_fma_f32 v25, v0, -2.0, 1.0
.LBB75_43:                              ;   in Loop: Header=BB75_9 Depth=1
	s_and_not1_saveexec_b32 s2, s2
	s_cbranch_execz .LBB75_45
; %bb.44:                               ;   in Loop: Header=BB75_9 Depth=1
	v_mul_f32_e32 v0, v114, v114
	s_delay_alu instid0(VALU_DEP_1) | instskip(NEXT) | instid1(VALU_DEP_1)
	v_fmaak_f32 v1, s31, v0, 0x3ca908c9
	v_fmaak_f32 v1, v0, v1, 0xbd5c1c4e
	s_delay_alu instid0(VALU_DEP_1) | instskip(NEXT) | instid1(VALU_DEP_1)
	v_fmaak_f32 v1, v0, v1, 0x3e088382
	v_fmaak_f32 v1, v0, v1, 0xbeaaaa99
	s_delay_alu instid0(VALU_DEP_1) | instskip(NEXT) | instid1(VALU_DEP_1)
	v_mul_f32_e64 v1, |v114|, v1
	v_fma_f32 v25, v0, v1, |v114|
.LBB75_45:                              ;   in Loop: Header=BB75_9 Depth=1
	s_or_b32 exec_lo, exec_lo, s2
	v_add_nc_u32_e32 v0, v19, v79
	v_cmp_ngt_f32_e64 s2, 0x3f200000, |v116|
                                        ; implicit-def: $vgpr31
	global_load_u16 v19, v0, s[36:37] scale_offset
	s_wait_xcnt 0x0
	s_and_saveexec_b32 s3, s2
	s_delay_alu instid0(SALU_CYCLE_1)
	s_xor_b32 s2, exec_lo, s3
	s_cbranch_execz .LBB75_47
; %bb.46:                               ;   in Loop: Header=BB75_9 Depth=1
	v_add_f32_e64 v1, |v116|, |v116|
	s_delay_alu instid0(VALU_DEP_1) | instskip(SKIP_1) | instid1(VALU_DEP_2)
	v_mul_f32_e32 v24, 0x3fb8aa3b, v1
	v_cmp_ngt_f32_e32 vcc_lo, 0xc2ce8ed0, v1
	v_rndne_f32_e32 v31, v24
	v_fma_f32 v32, 0x3fb8aa3b, v1, -v24
	s_delay_alu instid0(VALU_DEP_2) | instskip(NEXT) | instid1(VALU_DEP_2)
	v_sub_f32_e32 v24, v24, v31
	v_fmac_f32_e32 v32, 0x32a5705f, v1
	v_cvt_i32_f32_e32 v31, v31
	s_delay_alu instid0(VALU_DEP_2) | instskip(NEXT) | instid1(VALU_DEP_1)
	v_add_f32_e32 v24, v24, v32
	v_exp_f32_e32 v24, v24
	v_nop
	s_delay_alu instid0(TRANS32_DEP_1) | instskip(NEXT) | instid1(VALU_DEP_1)
	v_ldexp_f32 v24, v24, v31
	v_cndmask_b32_e32 v24, 0, v24, vcc_lo
	v_cmp_nlt_f32_e32 vcc_lo, 0x42b17218, v1
	s_delay_alu instid0(VALU_DEP_2) | instskip(NEXT) | instid1(VALU_DEP_1)
	v_cndmask_b32_e32 v1, 0x7f800000, v24, vcc_lo
	v_add_f32_e32 v1, 1.0, v1
	s_delay_alu instid0(VALU_DEP_1) | instskip(SKIP_1) | instid1(TRANS32_DEP_1)
	v_rcp_f32_e32 v1, v1
	v_nop
	v_fma_f32 v31, v1, -2.0, 1.0
.LBB75_47:                              ;   in Loop: Header=BB75_9 Depth=1
	s_and_not1_saveexec_b32 s2, s2
	s_cbranch_execz .LBB75_49
; %bb.48:                               ;   in Loop: Header=BB75_9 Depth=1
	v_mul_f32_e32 v1, v116, v116
	s_delay_alu instid0(VALU_DEP_1) | instskip(NEXT) | instid1(VALU_DEP_1)
	v_fmaak_f32 v24, s31, v1, 0x3ca908c9
	v_fmaak_f32 v24, v1, v24, 0xbd5c1c4e
	s_delay_alu instid0(VALU_DEP_1) | instskip(NEXT) | instid1(VALU_DEP_1)
	v_fmaak_f32 v24, v1, v24, 0x3e088382
	v_fmaak_f32 v24, v1, v24, 0xbeaaaa99
	s_delay_alu instid0(VALU_DEP_1) | instskip(NEXT) | instid1(VALU_DEP_1)
	v_mul_f32_e64 v24, |v116|, v24
	v_fma_f32 v31, v1, v24, |v116|
.LBB75_49:                              ;   in Loop: Header=BB75_9 Depth=1
	s_or_b32 exec_lo, exec_lo, s2
	v_ashrrev_i32_e32 v1, 31, v0
	v_cmp_ngt_f32_e64 s2, 0x3f200000, |v113|
                                        ; implicit-def: $vgpr34
	s_delay_alu instid0(VALU_DEP_2)
	v_lshl_add_u64 v[0:1], v[0:1], 1, s[36:37]
	global_load_u16 v24, v[0:1], off offset:64
	s_wait_xcnt 0x0
	v_bfi_b32 v0, 0x7fffffff, v25, v114
	v_bfi_b32 v1, 0x7fffffff, v31, v116
	s_wait_loadcnt 0x1
	s_delay_alu instid0(VALU_DEP_2) | instskip(NEXT) | instid1(VALU_DEP_1)
	v_fma_mix_f32 v25, s29, v0, v19 op_sel_hi:[0,0,1]
	v_add_f32_e32 v0, 0x40051340, v25
	s_wait_loadcnt 0x0
	v_fma_mix_f32 v33, s29, v1, v24 op_sel_hi:[0,0,1]
	s_delay_alu instid0(VALU_DEP_1) | instskip(NEXT) | instid1(VALU_DEP_1)
	v_add_f32_e32 v1, 0x40051340, v33
	v_max3_num_f32 v0, v104, v0, v1
	ds_bpermute_b32 v1, v2, v0
	s_wait_dscnt 0x0
	v_max_num_f32_e32 v1, v1, v1
	s_delay_alu instid0(VALU_DEP_1) | instskip(SKIP_3) | instid1(VALU_DEP_1)
	v_max_num_f32_e32 v0, v0, v1
	ds_bpermute_b32 v1, v11, v0
	s_wait_dscnt 0x0
	v_max_num_f32_e32 v1, v1, v1
	v_max_num_f32_e32 v0, v0, v1
	ds_bpermute_b32 v1, v8, v0
	s_wait_dscnt 0x0
	v_max_num_f32_e32 v1, v1, v1
	s_delay_alu instid0(VALU_DEP_1) | instskip(SKIP_3) | instid1(VALU_DEP_1)
	v_max_num_f32_e32 v0, v0, v1
	ds_bpermute_b32 v1, v16, v0
	s_wait_dscnt 0x0
	v_max_num_f32_e32 v1, v1, v1
	v_max_num_f32_e32 v0, v0, v1
	ds_bpermute_b32 v1, v7, v0
	s_and_saveexec_b32 s3, s2
	s_delay_alu instid0(SALU_CYCLE_1)
	s_xor_b32 s2, exec_lo, s3
	s_cbranch_execz .LBB75_51
; %bb.50:                               ;   in Loop: Header=BB75_9 Depth=1
	v_add_f32_e64 v31, |v113|, |v113|
	s_delay_alu instid0(VALU_DEP_1) | instskip(SKIP_1) | instid1(VALU_DEP_2)
	v_mul_f32_e32 v32, 0x3fb8aa3b, v31
	v_cmp_ngt_f32_e32 vcc_lo, 0xc2ce8ed0, v31
	v_rndne_f32_e32 v34, v32
	v_fma_f32 v35, 0x3fb8aa3b, v31, -v32
	s_delay_alu instid0(VALU_DEP_1) | instskip(SKIP_1) | instid1(VALU_DEP_2)
	v_dual_sub_f32 v32, v32, v34 :: v_dual_fmac_f32 v35, 0x32a5705f, v31
	v_cvt_i32_f32_e32 v34, v34
	v_add_f32_e32 v32, v32, v35
	s_delay_alu instid0(VALU_DEP_1) | instskip(SKIP_1) | instid1(TRANS32_DEP_1)
	v_exp_f32_e32 v32, v32
	v_nop
	v_ldexp_f32 v32, v32, v34
	s_delay_alu instid0(VALU_DEP_1) | instskip(SKIP_1) | instid1(VALU_DEP_2)
	v_cndmask_b32_e32 v32, 0, v32, vcc_lo
	v_cmp_nlt_f32_e32 vcc_lo, 0x42b17218, v31
	v_cndmask_b32_e32 v31, 0x7f800000, v32, vcc_lo
	s_delay_alu instid0(VALU_DEP_1) | instskip(NEXT) | instid1(VALU_DEP_1)
	v_add_f32_e32 v31, 1.0, v31
	v_rcp_f32_e32 v31, v31
	v_nop
	s_delay_alu instid0(TRANS32_DEP_1)
	v_fma_f32 v34, v31, -2.0, 1.0
.LBB75_51:                              ;   in Loop: Header=BB75_9 Depth=1
	s_and_not1_saveexec_b32 s2, s2
	s_cbranch_execz .LBB75_53
; %bb.52:                               ;   in Loop: Header=BB75_9 Depth=1
	v_mul_f32_e32 v31, v113, v113
	s_delay_alu instid0(VALU_DEP_1) | instskip(NEXT) | instid1(VALU_DEP_1)
	v_fmaak_f32 v32, s31, v31, 0x3ca908c9
	v_fmaak_f32 v32, v31, v32, 0xbd5c1c4e
	s_delay_alu instid0(VALU_DEP_1) | instskip(NEXT) | instid1(VALU_DEP_1)
	v_fmaak_f32 v32, v31, v32, 0x3e088382
	v_fmaak_f32 v32, v31, v32, 0xbeaaaa99
	s_delay_alu instid0(VALU_DEP_1) | instskip(NEXT) | instid1(VALU_DEP_1)
	v_mul_f32_e64 v32, |v113|, v32
	v_fma_f32 v34, v31, v32, |v113|
.LBB75_53:                              ;   in Loop: Header=BB75_9 Depth=1
	s_or_b32 exec_lo, exec_lo, s2
	v_cmp_ngt_f32_e64 s2, 0x3f200000, |v115|
                                        ; implicit-def: $vgpr35
	s_and_saveexec_b32 s3, s2
	s_delay_alu instid0(SALU_CYCLE_1)
	s_xor_b32 s2, exec_lo, s3
	s_cbranch_execz .LBB75_55
; %bb.54:                               ;   in Loop: Header=BB75_9 Depth=1
	v_add_f32_e64 v31, |v115|, |v115|
	s_delay_alu instid0(VALU_DEP_1) | instskip(SKIP_1) | instid1(VALU_DEP_2)
	v_mul_f32_e32 v32, 0x3fb8aa3b, v31
	v_cmp_ngt_f32_e32 vcc_lo, 0xc2ce8ed0, v31
	v_rndne_f32_e32 v35, v32
	v_fma_f32 v36, 0x3fb8aa3b, v31, -v32
	s_delay_alu instid0(VALU_DEP_2) | instskip(NEXT) | instid1(VALU_DEP_2)
	v_sub_f32_e32 v32, v32, v35
	v_fmac_f32_e32 v36, 0x32a5705f, v31
	v_cvt_i32_f32_e32 v35, v35
	s_delay_alu instid0(VALU_DEP_2) | instskip(NEXT) | instid1(VALU_DEP_1)
	v_add_f32_e32 v32, v32, v36
	v_exp_f32_e32 v32, v32
	v_nop
	s_delay_alu instid0(TRANS32_DEP_1) | instskip(NEXT) | instid1(VALU_DEP_1)
	v_ldexp_f32 v32, v32, v35
	v_cndmask_b32_e32 v32, 0, v32, vcc_lo
	v_cmp_nlt_f32_e32 vcc_lo, 0x42b17218, v31
	s_delay_alu instid0(VALU_DEP_2) | instskip(NEXT) | instid1(VALU_DEP_1)
	v_cndmask_b32_e32 v31, 0x7f800000, v32, vcc_lo
	v_add_f32_e32 v31, 1.0, v31
	s_delay_alu instid0(VALU_DEP_1) | instskip(SKIP_1) | instid1(TRANS32_DEP_1)
	v_rcp_f32_e32 v31, v31
	v_nop
	v_fma_f32 v35, v31, -2.0, 1.0
.LBB75_55:                              ;   in Loop: Header=BB75_9 Depth=1
	s_and_not1_saveexec_b32 s2, s2
	s_cbranch_execz .LBB75_57
; %bb.56:                               ;   in Loop: Header=BB75_9 Depth=1
	v_mul_f32_e32 v31, v115, v115
	s_delay_alu instid0(VALU_DEP_1) | instskip(NEXT) | instid1(VALU_DEP_1)
	v_fmaak_f32 v32, s31, v31, 0x3ca908c9
	v_fmaak_f32 v32, v31, v32, 0xbd5c1c4e
	s_delay_alu instid0(VALU_DEP_1) | instskip(NEXT) | instid1(VALU_DEP_1)
	v_fmaak_f32 v32, v31, v32, 0x3e088382
	v_fmaak_f32 v32, v31, v32, 0xbeaaaa99
	s_delay_alu instid0(VALU_DEP_1) | instskip(NEXT) | instid1(VALU_DEP_1)
	v_mul_f32_e64 v32, |v115|, v32
	v_fma_f32 v35, v31, v32, |v115|
.LBB75_57:                              ;   in Loop: Header=BB75_9 Depth=1
	s_or_b32 exec_lo, exec_lo, s2
	v_cvt_f32_f16_e32 v32, v19
	v_cvt_f32_f16_e32 v31, v24
	v_bfi_b32 v19, 0x7fffffff, v34, v113
	v_bfi_b32 v24, 0x7fffffff, v35, v115
	v_cmp_ngt_f32_e64 s2, 0x3f200000, |v109|
                                        ; implicit-def: $vgpr36
	s_delay_alu instid0(VALU_DEP_2) | instskip(NEXT) | instid1(VALU_DEP_1)
	v_dual_fma_f32 v35, s29, v19, v32 :: v_dual_fma_f32 v34, s29, v24, v31
	v_dual_add_f32 v19, 0x40051340, v35 :: v_dual_add_f32 v24, 0x40051340, v34
	s_delay_alu instid0(VALU_DEP_1) | instskip(SKIP_3) | instid1(VALU_DEP_1)
	v_max3_num_f32 v19, v103, v19, v24
	ds_bpermute_b32 v24, v2, v19
	s_wait_dscnt 0x0
	v_max_num_f32_e32 v24, v24, v24
	v_max_num_f32_e32 v19, v19, v24
	ds_bpermute_b32 v24, v11, v19
	s_wait_dscnt 0x0
	v_max_num_f32_e32 v24, v24, v24
	s_delay_alu instid0(VALU_DEP_1) | instskip(SKIP_3) | instid1(VALU_DEP_1)
	v_max_num_f32_e32 v19, v19, v24
	ds_bpermute_b32 v24, v8, v19
	s_wait_dscnt 0x0
	v_max_num_f32_e32 v24, v24, v24
	v_max_num_f32_e32 v19, v19, v24
	ds_bpermute_b32 v24, v16, v19
	s_wait_dscnt 0x0
	v_max_num_f32_e32 v24, v24, v24
	s_delay_alu instid0(VALU_DEP_1) | instskip(SKIP_2) | instid1(SALU_CYCLE_1)
	v_max_num_f32_e32 v19, v19, v24
	ds_bpermute_b32 v24, v7, v19
	s_and_saveexec_b32 s3, s2
	s_xor_b32 s2, exec_lo, s3
	s_cbranch_execz .LBB75_59
; %bb.58:                               ;   in Loop: Header=BB75_9 Depth=1
	v_add_f32_e64 v36, |v109|, |v109|
	s_delay_alu instid0(VALU_DEP_1) | instskip(SKIP_1) | instid1(VALU_DEP_2)
	v_mul_f32_e32 v37, 0x3fb8aa3b, v36
	v_cmp_ngt_f32_e32 vcc_lo, 0xc2ce8ed0, v36
	v_rndne_f32_e32 v38, v37
	v_fma_f32 v39, 0x3fb8aa3b, v36, -v37
	s_delay_alu instid0(VALU_DEP_2) | instskip(NEXT) | instid1(VALU_DEP_2)
	v_sub_f32_e32 v37, v37, v38
	v_fmac_f32_e32 v39, 0x32a5705f, v36
	v_cvt_i32_f32_e32 v38, v38
	s_delay_alu instid0(VALU_DEP_2) | instskip(NEXT) | instid1(VALU_DEP_1)
	v_add_f32_e32 v37, v37, v39
	v_exp_f32_e32 v37, v37
	v_nop
	s_delay_alu instid0(TRANS32_DEP_1) | instskip(NEXT) | instid1(VALU_DEP_1)
	v_ldexp_f32 v37, v37, v38
	v_cndmask_b32_e32 v37, 0, v37, vcc_lo
	v_cmp_nlt_f32_e32 vcc_lo, 0x42b17218, v36
	s_delay_alu instid0(VALU_DEP_2) | instskip(NEXT) | instid1(VALU_DEP_1)
	v_cndmask_b32_e32 v36, 0x7f800000, v37, vcc_lo
	v_add_f32_e32 v36, 1.0, v36
	s_delay_alu instid0(VALU_DEP_1) | instskip(SKIP_1) | instid1(TRANS32_DEP_1)
	v_rcp_f32_e32 v36, v36
	v_nop
	v_fma_f32 v36, v36, -2.0, 1.0
.LBB75_59:                              ;   in Loop: Header=BB75_9 Depth=1
	s_and_not1_saveexec_b32 s2, s2
	s_cbranch_execz .LBB75_61
; %bb.60:                               ;   in Loop: Header=BB75_9 Depth=1
	v_mul_f32_e32 v36, v109, v109
	s_delay_alu instid0(VALU_DEP_1) | instskip(NEXT) | instid1(VALU_DEP_1)
	v_fmaak_f32 v37, s31, v36, 0x3ca908c9
	v_fmaak_f32 v37, v36, v37, 0xbd5c1c4e
	s_delay_alu instid0(VALU_DEP_1) | instskip(NEXT) | instid1(VALU_DEP_1)
	v_fmaak_f32 v37, v36, v37, 0x3e088382
	v_fmaak_f32 v37, v36, v37, 0xbeaaaa99
	s_delay_alu instid0(VALU_DEP_1) | instskip(NEXT) | instid1(VALU_DEP_1)
	v_mul_f32_e64 v37, |v109|, v37
	v_fma_f32 v36, v36, v37, |v109|
.LBB75_61:                              ;   in Loop: Header=BB75_9 Depth=1
	s_or_b32 exec_lo, exec_lo, s2
	v_cmp_ngt_f32_e64 s2, 0x3f200000, |v110|
                                        ; implicit-def: $vgpr37
	s_and_saveexec_b32 s3, s2
	s_delay_alu instid0(SALU_CYCLE_1)
	s_xor_b32 s2, exec_lo, s3
	s_cbranch_execz .LBB75_63
; %bb.62:                               ;   in Loop: Header=BB75_9 Depth=1
	v_add_f32_e64 v37, |v110|, |v110|
	s_delay_alu instid0(VALU_DEP_1) | instskip(SKIP_1) | instid1(VALU_DEP_2)
	v_mul_f32_e32 v38, 0x3fb8aa3b, v37
	v_cmp_ngt_f32_e32 vcc_lo, 0xc2ce8ed0, v37
	v_rndne_f32_e32 v39, v38
	v_fma_f32 v113, 0x3fb8aa3b, v37, -v38
	s_delay_alu instid0(VALU_DEP_1) | instskip(SKIP_1) | instid1(VALU_DEP_2)
	v_dual_sub_f32 v38, v38, v39 :: v_dual_fmac_f32 v113, 0x32a5705f, v37
	v_cvt_i32_f32_e32 v39, v39
	v_add_f32_e32 v38, v38, v113
	s_delay_alu instid0(VALU_DEP_1) | instskip(SKIP_1) | instid1(TRANS32_DEP_1)
	v_exp_f32_e32 v38, v38
	v_nop
	v_ldexp_f32 v38, v38, v39
	s_delay_alu instid0(VALU_DEP_1) | instskip(SKIP_1) | instid1(VALU_DEP_2)
	v_cndmask_b32_e32 v38, 0, v38, vcc_lo
	v_cmp_nlt_f32_e32 vcc_lo, 0x42b17218, v37
	v_cndmask_b32_e32 v37, 0x7f800000, v38, vcc_lo
	s_delay_alu instid0(VALU_DEP_1) | instskip(NEXT) | instid1(VALU_DEP_1)
	v_add_f32_e32 v37, 1.0, v37
	v_rcp_f32_e32 v37, v37
	v_nop
	s_delay_alu instid0(TRANS32_DEP_1)
	v_fma_f32 v37, v37, -2.0, 1.0
.LBB75_63:                              ;   in Loop: Header=BB75_9 Depth=1
	s_and_not1_saveexec_b32 s2, s2
	s_cbranch_execz .LBB75_65
; %bb.64:                               ;   in Loop: Header=BB75_9 Depth=1
	v_mul_f32_e32 v37, v110, v110
	s_delay_alu instid0(VALU_DEP_1) | instskip(NEXT) | instid1(VALU_DEP_1)
	v_fmaak_f32 v38, s31, v37, 0x3ca908c9
	v_fmaak_f32 v38, v37, v38, 0xbd5c1c4e
	s_delay_alu instid0(VALU_DEP_1) | instskip(NEXT) | instid1(VALU_DEP_1)
	v_fmaak_f32 v38, v37, v38, 0x3e088382
	v_fmaak_f32 v38, v37, v38, 0xbeaaaa99
	s_delay_alu instid0(VALU_DEP_1) | instskip(NEXT) | instid1(VALU_DEP_1)
	v_mul_f32_e64 v38, |v110|, v38
	v_fma_f32 v37, v37, v38, |v110|
.LBB75_65:                              ;   in Loop: Header=BB75_9 Depth=1
	s_or_b32 exec_lo, exec_lo, s2
	v_bfi_b32 v36, 0x7fffffff, v36, v109
	s_delay_alu instid0(VALU_DEP_2) | instskip(SKIP_1) | instid1(VALU_DEP_2)
	v_bfi_b32 v38, 0x7fffffff, v37, v110
	v_cmp_ngt_f32_e64 s2, 0x3f200000, |v111|
                                        ; implicit-def: $vgpr109
	v_dual_fma_f32 v37, s29, v36, v32 :: v_dual_fma_f32 v36, s29, v38, v31
	s_delay_alu instid0(VALU_DEP_1) | instskip(NEXT) | instid1(VALU_DEP_1)
	v_dual_add_f32 v38, 0x40051340, v37 :: v_dual_add_f32 v39, 0x40051340, v36
	v_max3_num_f32 v38, v102, v38, v39
	ds_bpermute_b32 v39, v2, v38
	s_wait_dscnt 0x0
	v_max_num_f32_e32 v39, v39, v39
	s_delay_alu instid0(VALU_DEP_1) | instskip(SKIP_3) | instid1(VALU_DEP_1)
	v_max_num_f32_e32 v38, v38, v39
	ds_bpermute_b32 v39, v11, v38
	s_wait_dscnt 0x0
	v_max_num_f32_e32 v39, v39, v39
	v_max_num_f32_e32 v38, v38, v39
	ds_bpermute_b32 v39, v8, v38
	s_wait_dscnt 0x0
	v_max_num_f32_e32 v39, v39, v39
	s_delay_alu instid0(VALU_DEP_1) | instskip(SKIP_3) | instid1(VALU_DEP_1)
	v_max_num_f32_e32 v38, v38, v39
	ds_bpermute_b32 v39, v16, v38
	s_wait_dscnt 0x0
	v_max_num_f32_e32 v39, v39, v39
	v_max_num_f32_e32 v38, v38, v39
	ds_bpermute_b32 v39, v7, v38
	s_and_saveexec_b32 s3, s2
	s_delay_alu instid0(SALU_CYCLE_1)
	s_xor_b32 s2, exec_lo, s3
	s_cbranch_execz .LBB75_67
; %bb.66:                               ;   in Loop: Header=BB75_9 Depth=1
	v_add_f32_e64 v109, |v111|, |v111|
	s_delay_alu instid0(VALU_DEP_1) | instskip(SKIP_1) | instid1(VALU_DEP_2)
	v_mul_f32_e32 v110, 0x3fb8aa3b, v109
	v_cmp_ngt_f32_e32 vcc_lo, 0xc2ce8ed0, v109
	v_rndne_f32_e32 v113, v110
	v_fma_f32 v114, 0x3fb8aa3b, v109, -v110
	s_delay_alu instid0(VALU_DEP_2) | instskip(NEXT) | instid1(VALU_DEP_2)
	v_sub_f32_e32 v110, v110, v113
	v_fmac_f32_e32 v114, 0x32a5705f, v109
	v_cvt_i32_f32_e32 v113, v113
	s_delay_alu instid0(VALU_DEP_2) | instskip(NEXT) | instid1(VALU_DEP_1)
	v_add_f32_e32 v110, v110, v114
	v_exp_f32_e32 v110, v110
	v_nop
	s_delay_alu instid0(TRANS32_DEP_1) | instskip(NEXT) | instid1(VALU_DEP_1)
	v_ldexp_f32 v110, v110, v113
	v_cndmask_b32_e32 v110, 0, v110, vcc_lo
	v_cmp_nlt_f32_e32 vcc_lo, 0x42b17218, v109
	s_delay_alu instid0(VALU_DEP_2) | instskip(NEXT) | instid1(VALU_DEP_1)
	v_cndmask_b32_e32 v109, 0x7f800000, v110, vcc_lo
	v_add_f32_e32 v109, 1.0, v109
	s_delay_alu instid0(VALU_DEP_1) | instskip(SKIP_1) | instid1(TRANS32_DEP_1)
	v_rcp_f32_e32 v109, v109
	v_nop
	v_fma_f32 v109, v109, -2.0, 1.0
.LBB75_67:                              ;   in Loop: Header=BB75_9 Depth=1
	s_and_not1_saveexec_b32 s2, s2
	s_cbranch_execz .LBB75_69
; %bb.68:                               ;   in Loop: Header=BB75_9 Depth=1
	v_mul_f32_e32 v109, v111, v111
	s_delay_alu instid0(VALU_DEP_1) | instskip(NEXT) | instid1(VALU_DEP_1)
	v_fmaak_f32 v110, s31, v109, 0x3ca908c9
	v_fmaak_f32 v110, v109, v110, 0xbd5c1c4e
	s_delay_alu instid0(VALU_DEP_1) | instskip(NEXT) | instid1(VALU_DEP_1)
	v_fmaak_f32 v110, v109, v110, 0x3e088382
	v_fmaak_f32 v110, v109, v110, 0xbeaaaa99
	s_delay_alu instid0(VALU_DEP_1) | instskip(NEXT) | instid1(VALU_DEP_1)
	v_mul_f32_e64 v110, |v111|, v110
	v_fma_f32 v109, v109, v110, |v111|
.LBB75_69:                              ;   in Loop: Header=BB75_9 Depth=1
	s_or_b32 exec_lo, exec_lo, s2
	v_cmp_ngt_f32_e64 s2, 0x3f200000, |v112|
                                        ; implicit-def: $vgpr110
	s_and_saveexec_b32 s3, s2
	s_delay_alu instid0(SALU_CYCLE_1)
	s_xor_b32 s2, exec_lo, s3
	s_cbranch_execz .LBB75_71
; %bb.70:                               ;   in Loop: Header=BB75_9 Depth=1
	v_add_f32_e64 v110, |v112|, |v112|
	s_delay_alu instid0(VALU_DEP_1) | instskip(SKIP_1) | instid1(VALU_DEP_2)
	v_mul_f32_e32 v113, 0x3fb8aa3b, v110
	v_cmp_ngt_f32_e32 vcc_lo, 0xc2ce8ed0, v110
	v_rndne_f32_e32 v114, v113
	v_fma_f32 v115, 0x3fb8aa3b, v110, -v113
	s_delay_alu instid0(VALU_DEP_2) | instskip(NEXT) | instid1(VALU_DEP_2)
	v_sub_f32_e32 v113, v113, v114
	v_fmac_f32_e32 v115, 0x32a5705f, v110
	v_cvt_i32_f32_e32 v114, v114
	s_delay_alu instid0(VALU_DEP_2) | instskip(NEXT) | instid1(VALU_DEP_1)
	v_add_f32_e32 v113, v113, v115
	v_exp_f32_e32 v113, v113
	v_nop
	s_delay_alu instid0(TRANS32_DEP_1) | instskip(NEXT) | instid1(VALU_DEP_1)
	v_ldexp_f32 v113, v113, v114
	v_cndmask_b32_e32 v113, 0, v113, vcc_lo
	v_cmp_nlt_f32_e32 vcc_lo, 0x42b17218, v110
	s_delay_alu instid0(VALU_DEP_2) | instskip(NEXT) | instid1(VALU_DEP_1)
	v_cndmask_b32_e32 v110, 0x7f800000, v113, vcc_lo
	v_add_f32_e32 v110, 1.0, v110
	s_delay_alu instid0(VALU_DEP_1) | instskip(SKIP_1) | instid1(TRANS32_DEP_1)
	v_rcp_f32_e32 v110, v110
	v_nop
	v_fma_f32 v110, v110, -2.0, 1.0
.LBB75_71:                              ;   in Loop: Header=BB75_9 Depth=1
	s_and_not1_saveexec_b32 s2, s2
	s_cbranch_execz .LBB75_73
; %bb.72:                               ;   in Loop: Header=BB75_9 Depth=1
	v_mul_f32_e32 v110, v112, v112
	s_delay_alu instid0(VALU_DEP_1) | instskip(NEXT) | instid1(VALU_DEP_1)
	v_fmaak_f32 v113, s31, v110, 0x3ca908c9
	v_fmaak_f32 v113, v110, v113, 0xbd5c1c4e
	s_delay_alu instid0(VALU_DEP_1) | instskip(NEXT) | instid1(VALU_DEP_1)
	v_fmaak_f32 v113, v110, v113, 0x3e088382
	v_fmaak_f32 v113, v110, v113, 0xbeaaaa99
	s_delay_alu instid0(VALU_DEP_1) | instskip(NEXT) | instid1(VALU_DEP_1)
	v_mul_f32_e64 v113, |v112|, v113
	v_fma_f32 v110, v110, v113, |v112|
.LBB75_73:                              ;   in Loop: Header=BB75_9 Depth=1
	s_or_b32 exec_lo, exec_lo, s2
	v_bfi_b32 v109, 0x7fffffff, v109, v111
	s_delay_alu instid0(VALU_DEP_2) | instskip(SKIP_1) | instid1(VALU_DEP_3)
	v_bfi_b32 v110, 0x7fffffff, v110, v112
	v_dual_max_num_f32 v0, v0, v0 :: v_dual_max_num_f32 v21, v21, v21
	v_dual_max_num_f32 v112, v4, v4 :: v_dual_fmac_f32 v32, s29, v109
	s_delay_alu instid0(VALU_DEP_3) | instskip(SKIP_2) | instid1(VALU_DEP_3)
	v_dual_fmac_f32 v31, s29, v110 :: v_dual_max_num_f32 v1, v1, v1
	s_wait_dscnt 0x0
	v_dual_max_num_f32 v39, v39, v39 :: v_dual_max_num_f32 v38, v38, v38
	v_dual_add_f32 v109, 0x40051340, v32 :: v_dual_max_num_f32 v18, v18, v18
	s_delay_alu instid0(VALU_DEP_3) | instskip(SKIP_2) | instid1(VALU_DEP_3)
	v_add_f32_e32 v110, 0x40051340, v31
	v_dual_max_num_f32 v24, v24, v24 :: v_dual_max_num_f32 v19, v19, v19
	v_dual_max_num_f32 v20, v20, v20 :: v_dual_max_num_f32 v17, v17, v17
	v_max3_num_f32 v109, v101, v109, v110
	v_dual_max_num_f32 v110, v6, v6 :: v_dual_max_num_f32 v111, v5, v5
	s_delay_alu instid0(VALU_DEP_4)
	v_dual_max_num_f32 v6, v38, v39 :: v_dual_max_num_f32 v5, v19, v24
	ds_bpermute_b32 v113, v2, v109
	v_dual_max_num_f32 v2, v3, v3 :: v_dual_max_num_f32 v4, v0, v1
	v_max_num_f32_e32 v3, v20, v21
	s_mul_u64 s[2:3], s[14:15], s[20:21]
	s_wait_dscnt 0x0
	s_delay_alu instid0(VALU_DEP_2) | instskip(SKIP_3) | instid1(VALU_DEP_2)
	v_dual_max_num_f32 v0, v2, v112 :: v_dual_max_num_f32 v2, v17, v18
	v_max_num_f32_e32 v1, v111, v110
	s_lshl_b64 s[2:3], s[2:3], 2
	s_barrier_signal -1
	v_dual_sub_f32 v24, v9, v0 :: v_dual_sub_f32 v38, v10, v0
	s_add_nc_u64 s[2:3], s[38:39], s[2:3]
	v_sub_f32_e32 v17, v106, v0
	v_add_nc_u64_e32 v[18:19], s[2:3], v[56:57]
	s_delay_alu instid0(VALU_DEP_3) | instskip(SKIP_3) | instid1(VALU_DEP_4)
	v_dual_mul_f32 v111, 0x3fb8aa3b, v24 :: v_dual_mul_f32 v112, 0x3fb8aa3b, v38
	v_sub_f32_e32 v107, v107, v2
	v_add_nc_u64_e32 v[20:21], s[2:3], v[58:59]
	v_max_num_f32_e32 v9, v113, v113
	v_rndne_f32_e32 v121, v111
	v_add_nc_u64_e32 v[18:19], v[18:19], v[48:49]
	v_dual_sub_f32 v110, v15, v2 :: v_dual_sub_f32 v39, v108, v1
	v_sub_f32_e32 v106, v13, v1
	v_max_num_f32_e32 v9, v109, v9
	v_add_nc_u64_e32 v[20:21], v[20:21], v[48:49]
	v_mul_f32_e32 v113, 0x3fb8aa3b, v17
	v_rndne_f32_e32 v124, v112
	s_barrier_wait -1
	ds_bpermute_b32 v10, v11, v9
	v_mul_f32_e32 v119, 0x3fb8aa3b, v107
	s_wait_dscnt 0x0
	v_dual_sub_f32 v108, v12, v1 :: v_dual_sub_f32 v109, v14, v2
	v_mul_f32_e32 v114, 0x3fb8aa3b, v106
	v_fma_f32 v125, 0x3fb8aa3b, v17, -v113
	v_rndne_f32_e32 v126, v113
	v_cmp_ngt_f32_e64 s2, 0xc2ce8ed0, v17
	v_cmp_nlt_f32_e64 s4, 0x42b17218, v17
	v_fma_f32 v128, 0x3fb8aa3b, v106, -v114
	v_fmac_f32_e32 v125, 0x32a5705f, v17
	v_dual_mul_f32 v115, 0x3fb8aa3b, v108 :: v_dual_mul_f32 v116, 0x3fb8aa3b, v39
	v_dual_mul_f32 v117, 0x3fb8aa3b, v109 :: v_dual_mul_f32 v118, 0x3fb8aa3b, v110
	v_cmp_ngt_f32_e64 s3, 0xc2ce8ed0, v39
	s_delay_alu instid0(VALU_DEP_3) | instskip(NEXT) | instid1(VALU_DEP_4)
	v_fma_f32 v130, 0x3fb8aa3b, v108, -v115
	v_fma_f32 v132, 0x3fb8aa3b, v39, -v116
	v_rndne_f32_e32 v133, v116
	v_max_num_f32_e32 v10, v10, v10
	v_cmp_nlt_f32_e64 s6, 0x42b17218, v39
	v_fma_f32 v120, 0x3fb8aa3b, v24, -v111
	v_fma_f32 v138, 0x3fb8aa3b, v107, -v119
	v_fmac_f32_e32 v128, 0x32a5705f, v106
	v_max_num_f32_e32 v122, v9, v10
	v_fmac_f32_e32 v130, 0x32a5705f, v108
	v_fma_f32 v123, 0x3fb8aa3b, v38, -v112
	v_rndne_f32_e32 v129, v114
	v_rndne_f32_e32 v131, v115
	ds_bpermute_b32 v127, v8, v122
	s_clause 0x1
	global_load_b128 v[8:11], v[18:19], off
	global_load_b128 v[12:15], v[20:21], off
	s_wait_xcnt 0x0
	v_dual_sub_f32 v20, v112, v124 :: v_dual_sub_f32 v18, v111, v121
	v_fma_f32 v134, 0x3fb8aa3b, v109, -v117
	v_rndne_f32_e32 v135, v117
	v_rndne_f32_e32 v139, v119
	v_dual_fmac_f32 v120, 0x32a5705f, v24 :: v_dual_fmac_f32 v123, 0x32a5705f, v38
	v_cmp_ngt_f32_e64 s5, 0xc2ce8ed0, v38
	v_cmp_ngt_f32_e64 s7, 0xc2ce8ed0, v106
	v_cmp_nlt_f32_e64 s10, 0x42b17218, v38
	v_cmp_nlt_f32_e64 s11, 0x42b17218, v106
	v_cvt_i32_f32_e32 v38, v126
	v_dual_sub_f32 v106, v114, v129 :: v_dual_sub_f32 v112, v115, v131
	v_dual_fmac_f32 v134, 0x32a5705f, v109 :: v_dual_sub_f32 v115, v117, v135
	v_dual_sub_f32 v117, v119, v139 :: v_dual_add_f32 v18, v18, v120
	s_wait_dscnt 0x0
	v_dual_max_num_f32 v21, v127, v127 :: v_dual_sub_f32 v17, v113, v126
	v_cvt_i32_f32_e32 v114, v133
	v_dual_add_f32 v20, v20, v123 :: v_dual_add_f32 v106, v106, v128
	s_delay_alu instid0(VALU_DEP_3) | instskip(NEXT) | instid1(VALU_DEP_4)
	v_dual_max_num_f32 v21, v122, v21 :: v_dual_fmac_f32 v132, 0x32a5705f, v39
	v_add_f32_e32 v17, v17, v125
	v_dual_sub_f32 v39, v116, v133 :: v_dual_fmac_f32 v138, 0x32a5705f, v107
	ds_bpermute_b32 v16, v16, v21
	v_add_f32_e32 v115, v115, v134
	v_exp_f32_e32 v17, v17
	v_add_f32_e32 v39, v39, v132
	v_exp_f32_e32 v18, v18
	v_cvt_i32_f32_e32 v19, v121
	v_exp_f32_e32 v20, v20
	v_cmp_ngt_f32_e32 vcc_lo, 0xc2ce8ed0, v24
	v_exp_f32_e32 v39, v39
	v_ldexp_f32 v17, v17, v38
	v_add_f32_e32 v117, v117, v138
	v_cmp_nlt_f32_e64 s9, 0x42b17218, v24
	v_cvt_i32_f32_e32 v24, v124
	v_ldexp_f32 v18, v18, v19
	v_cndmask_b32_e64 v17, 0, v17, s2
	v_exp_f32_e32 v38, v106
	v_cvt_i32_f32_e32 v111, v129
	v_ldexp_f32 v19, v20, v24
	v_cvt_i32_f32_e32 v113, v131
	v_cmp_ngt_f32_e64 s8, 0xc2ce8ed0, v108
	s_wait_dscnt 0x0
	v_max_num_f32_e32 v16, v16, v16
	v_add_f32_e32 v112, v112, v130
	v_ldexp_f32 v20, v38, v111
	v_fma_f32 v136, 0x3fb8aa3b, v110, -v118
	v_rndne_f32_e32 v137, v118
	v_max_num_f32_e32 v21, v21, v16
	v_ldexp_f32 v16, v39, v114
	v_exp_f32_e32 v39, v112
	v_dual_cndmask_b32 v18, 0, v18, vcc_lo :: v_dual_cndmask_b32 v19, 0, v19, s5
	v_cndmask_b32_e64 v111, 0, v20, s7
	ds_bpermute_b32 v7, v7, v21
	v_cndmask_b32_e64 v112, 0, v16, s3
	v_cndmask_b32_e64 v16, 0x7f800000, v17, s4
	v_ldexp_f32 v38, v39, v113
	v_exp_f32_e32 v106, v115
	v_cvt_i32_f32_e32 v116, v135
	v_cndmask_b32_e64 v17, 0x7f800000, v112, s6
	v_cvt_f16_f32_e32 v24, v16
	v_cndmask_b32_e64 v38, 0, v38, s8
	v_cndmask_b32_e64 v20, 0x7f800000, v19, s10
	v_cndmask_b32_e64 v19, 0x7f800000, v111, s11
	v_cvt_f16_f32_e32 v39, v17
	v_and_b32_e32 v24, 0xffff, v24
	v_cmp_nlt_f32_e32 vcc_lo, 0x42b17218, v108
	v_cmp_ngt_f32_e64 s2, 0xc2ce8ed0, v107
	v_cmp_ngt_f32_e64 s3, 0xc2ce8ed0, v110
	v_and_b32_e32 v39, 0xffff, v39
	v_mul_u32_u24_e32 v24, 0x10001, v24
	v_cndmask_b32_e64 v18, 0x7f800000, v18, s9
	s_wait_dscnt 0x0
	v_dual_sub_f32 v33, v33, v4 :: v_dual_max_num_f32 v7, v7, v7
	v_fmac_f32_e32 v136, 0x32a5705f, v110
	v_pk_mul_f16 v111, v99, v24
	v_pk_mul_f16 v112, v100, v24
	v_sub_f32_e32 v24, v118, v137
	v_exp_f32_e32 v99, v117
	v_max_num_f32_e32 v7, v21, v7
	v_cndmask_b32_e32 v21, 0x7f800000, v38, vcc_lo
	v_ldexp_f32 v38, v106, v116
	v_cmp_ngt_f32_e32 vcc_lo, 0xc2ce8ed0, v109
	v_add_f32_e32 v24, v24, v136
	v_mul_u32_u24_e32 v39, 0x10001, v39
	v_cvt_i32_f32_e32 v100, v139
	v_dual_sub_f32 v35, v35, v5 :: v_dual_cndmask_b32 v38, 0, v38
	s_delay_alu instid0(VALU_DEP_4) | instskip(NEXT) | instid1(VALU_DEP_3)
	v_exp_f32_e32 v24, v24
	v_pk_mul_f16 v106, v98, v39
	s_delay_alu instid0(VALU_DEP_3) | instskip(SKIP_4) | instid1(VALU_DEP_4)
	v_ldexp_f32 v99, v99, v100
	v_cvt_i32_f32_e32 v98, v137
	v_sub_f32_e32 v100, v22, v3
	v_cmp_nlt_f32_e32 vcc_lo, 0x42b17218, v109
	v_dual_sub_f32 v34, v34, v5 :: v_dual_sub_f32 v32, v32, v7
	v_ldexp_f32 v98, v24, v98
	v_cndmask_b32_e64 v99, 0, v99, s2
	v_cmp_nlt_f32_e64 s2, 0x42b17218, v107
	v_pk_mul_f16 v107, v97, v39
	v_cndmask_b32_e32 v24, 0x7f800000, v38, vcc_lo
	v_dual_cndmask_b32 v39, 0, v98, s3 :: v_dual_sub_f32 v97, v105, v3
	s_delay_alu instid0(VALU_DEP_4) | instskip(SKIP_2) | instid1(VALU_DEP_4)
	v_cndmask_b32_e64 v22, 0x7f800000, v99, s2
	v_dual_sub_f32 v99, v23, v3 :: v_dual_mul_f32 v38, 0x3fb8aa3b, v100
	v_cmp_nlt_f32_e32 vcc_lo, 0x42b17218, v110
	v_mul_f32_e32 v108, 0x3fb8aa3b, v97
	s_delay_alu instid0(VALU_DEP_4) | instskip(NEXT) | instid1(VALU_DEP_4)
	v_cvt_f16_f32_e32 v23, v22
	v_mul_f32_e32 v109, 0x3fb8aa3b, v99
	v_fma_f32 v98, 0x3fb8aa3b, v100, -v38
	v_rndne_f32_e32 v105, v38
	v_fma_f32 v113, 0x3fb8aa3b, v97, -v108
	v_rndne_f32_e32 v114, v108
	v_fma_f32 v115, 0x3fb8aa3b, v99, -v109
	v_fmac_f32_e32 v98, 0x32a5705f, v100
	v_sub_f32_e32 v38, v38, v105
	v_rndne_f32_e32 v116, v109
	v_fmac_f32_e32 v113, 0x32a5705f, v97
	v_and_b32_e32 v23, 0xffff, v23
	s_delay_alu instid0(VALU_DEP_4) | instskip(NEXT) | instid1(VALU_DEP_4)
	v_dual_fmac_f32 v115, 0x32a5705f, v99 :: v_dual_add_f32 v38, v38, v98
	v_dual_sub_f32 v98, v108, v114 :: v_dual_sub_f32 v108, v109, v116
	s_delay_alu instid0(VALU_DEP_3) | instskip(SKIP_1) | instid1(VALU_DEP_4)
	v_mul_u32_u24_e32 v23, 0x10001, v23
	v_cvt_i32_f32_e32 v105, v105
	v_exp_f32_e32 v38, v38
	s_delay_alu instid0(VALU_DEP_3) | instskip(SKIP_3) | instid1(VALU_DEP_4)
	v_dual_add_f32 v109, v98, v113 :: v_dual_cndmask_b32 v98, 0x7f800000, v39
	v_cmp_ngt_f32_e64 s2, 0xc2ce8ed0, v97
	v_cmp_ngt_f32_e32 vcc_lo, 0xc2ce8ed0, v100
	v_pk_mul_f16 v110, v95, v23
	v_exp_f32_e32 v39, v109
	v_nop
	v_pk_mul_f16 v109, v96, v23
	v_cvt_i32_f32_e32 v96, v114
	v_ldexp_f32 v38, v38, v105
	v_add_f32_e32 v108, v108, v115
	v_cmp_ngt_f32_e64 s3, 0xc2ce8ed0, v99
	v_mul_f32_e32 v113, 0x3fb8aa3b, v33
	v_ldexp_f32 v39, v39, v96
	v_dual_sub_f32 v96, v104, v4 :: v_dual_cndmask_b32 v38, 0, v38, vcc_lo
	v_exp_f32_e32 v105, v108
	v_nop
	v_cvt_i32_f32_e32 v108, v116
	v_cndmask_b32_e64 v23, 0, v39, s2
	v_cmp_nlt_f32_e64 s2, 0x42b17218, v97
	v_mul_f32_e32 v97, 0x3fb8aa3b, v96
	v_cmp_nlt_f32_e32 vcc_lo, 0x42b17218, v100
	v_sub_f32_e32 v39, v25, v4
	v_ldexp_f32 v95, v105, v108
	v_cndmask_b32_e64 v23, 0x7f800000, v23, s2
	v_fma_f32 v104, 0x3fb8aa3b, v96, -v97
	v_rndne_f32_e32 v105, v97
	v_fma_f32 v114, 0x3fb8aa3b, v33, -v113
	v_rndne_f32_e32 v115, v113
	v_cndmask_b32_e32 v25, 0x7f800000, v38, vcc_lo
	s_delay_alu instid0(VALU_DEP_4)
	v_dual_cndmask_b32 v38, 0, v95, s3 :: v_dual_sub_f32 v97, v97, v105
	v_fmac_f32_e32 v104, 0x32a5705f, v96
	v_cmp_nlt_f32_e32 vcc_lo, 0x42b17218, v99
	v_cvt_f16_f32_e32 v99, v23
	v_fmac_f32_e32 v114, 0x32a5705f, v33
	v_mul_f32_e32 v95, 0x3fb8aa3b, v39
	v_add_f32_e32 v97, v97, v104
	v_cvt_i32_f32_e32 v105, v105
	v_and_b32_e32 v99, 0xffff, v99
	v_cmp_ngt_f32_e64 s2, 0xc2ce8ed0, v39
	v_fma_f32 v100, 0x3fb8aa3b, v39, -v95
	v_rndne_f32_e32 v108, v95
	v_exp_f32_e32 v97, v97
	v_mul_u32_u24_e32 v104, 0x10001, v99
	v_cndmask_b32_e32 v99, 0x7f800000, v38, vcc_lo
	s_delay_alu instid0(VALU_DEP_3)
	v_dual_fmac_f32 v100, 0x32a5705f, v39 :: v_dual_sub_f32 v95, v95, v108
	v_cmp_ngt_f32_e32 vcc_lo, 0xc2ce8ed0, v96
	v_cvt_i32_f32_e32 v108, v108
	v_cmp_ngt_f32_e64 s3, 0xc2ce8ed0, v33
	v_sub_f32_e32 v31, v31, v7
	v_dual_add_f32 v95, v95, v100 :: v_dual_sub_f32 v100, v113, v115
	v_pk_mul_f16 v113, v94, v104
	v_ldexp_f32 v94, v97, v105
	s_delay_alu instid0(VALU_DEP_3) | instskip(NEXT) | instid1(VALU_DEP_2)
	v_add_f32_e32 v38, v100, v114
	v_cndmask_b32_e32 v94, 0, v94, vcc_lo
	v_cmp_nlt_f32_e32 vcc_lo, 0x42b17218, v96
	s_delay_alu instid0(VALU_DEP_3) | instskip(NEXT) | instid1(VALU_DEP_2)
	v_exp_f32_e32 v38, v38
	v_cndmask_b32_e32 v94, 0x7f800000, v94, vcc_lo
	v_exp_f32_e32 v95, v95
	v_cmp_nlt_f32_e32 vcc_lo, 0x42b17218, v33
	s_delay_alu instid0(VALU_DEP_2) | instskip(NEXT) | instid1(TRANS32_DEP_1)
	v_cvt_f16_f32_e32 v100, v94
	v_ldexp_f32 v95, v95, v108
	v_pk_mul_f16 v108, v93, v104
	v_cvt_i32_f32_e32 v93, v115
	s_delay_alu instid0(VALU_DEP_3) | instskip(SKIP_1) | instid1(VALU_DEP_3)
	v_cndmask_b32_e64 v95, 0, v95, s2
	v_cmp_nlt_f32_e64 s2, 0x42b17218, v39
	v_ldexp_f32 v38, v38, v93
	v_mul_f32_e32 v39, 0x3fb8aa3b, v35
	v_sub_f32_e32 v93, v103, v5
	s_delay_alu instid0(VALU_DEP_4) | instskip(NEXT) | instid1(VALU_DEP_3)
	v_cndmask_b32_e64 v96, 0x7f800000, v95, s2
	v_fma_f32 v95, 0x3fb8aa3b, v35, -v39
	v_rndne_f32_e32 v97, v39
	s_delay_alu instid0(VALU_DEP_4) | instskip(SKIP_2) | instid1(VALU_DEP_4)
	v_mul_f32_e32 v103, 0x3fb8aa3b, v93
	v_cndmask_b32_e64 v38, 0, v38, s3
	v_cmp_ngt_f32_e64 s2, 0xc2ce8ed0, v93
	v_sub_f32_e32 v33, v39, v97
	v_and_b32_e32 v39, 0xffff, v100
	v_fma_f32 v100, 0x3fb8aa3b, v93, -v103
	v_fmac_f32_e32 v95, 0x32a5705f, v35
	v_rndne_f32_e32 v105, v103
	s_delay_alu instid0(VALU_DEP_4) | instskip(NEXT) | instid1(VALU_DEP_3)
	v_mul_u32_u24_e32 v39, 0x10001, v39
	v_dual_fmac_f32 v100, 0x32a5705f, v93 :: v_dual_add_f32 v33, v33, v95
	s_delay_alu instid0(VALU_DEP_3)
	v_sub_f32_e32 v95, v103, v105
	v_mul_f32_e32 v103, 0x3fb8aa3b, v34
	v_cndmask_b32_e32 v104, 0x7f800000, v38, vcc_lo
	v_cvt_i32_f32_e32 v38, v97
	v_exp_f32_e32 v33, v33
	v_add_f32_e32 v95, v95, v100
	v_pk_mul_f16 v114, v92, v39
	v_fma_f32 v92, 0x3fb8aa3b, v34, -v103
	v_rndne_f32_e32 v100, v103
	v_cmp_ngt_f32_e32 vcc_lo, 0xc2ce8ed0, v35
	v_pk_mul_f16 v91, v91, v39
	v_ldexp_f32 v33, v33, v38
	v_exp_f32_e32 v38, v95
	v_nop
	v_cvt_i32_f32_e32 v95, v105
	v_dual_fmac_f32 v92, 0x32a5705f, v34 :: v_dual_sub_f32 v97, v103, v100
	v_dual_sub_f32 v37, v37, v6 :: v_dual_cndmask_b32 v33, 0, v33, vcc_lo
	v_cmp_nlt_f32_e32 vcc_lo, 0x42b17218, v35
	s_delay_alu instid0(TRANS32_DEP_1) | instid1(VALU_DEP_4)
	v_ldexp_f32 v38, v38, v95
	s_delay_alu instid0(VALU_DEP_4) | instskip(NEXT) | instid1(VALU_DEP_4)
	v_add_f32_e32 v39, v97, v92
	v_mul_f32_e32 v35, 0x3fb8aa3b, v37
	v_cndmask_b32_e32 v97, 0x7f800000, v33, vcc_lo
	s_delay_alu instid0(VALU_DEP_4) | instskip(NEXT) | instid1(VALU_DEP_4)
	v_cndmask_b32_e64 v33, 0, v38, s2
	v_exp_f32_e32 v39, v39
	v_cmp_nlt_f32_e32 vcc_lo, 0x42b17218, v93
	v_fma_f32 v38, 0x3fb8aa3b, v37, -v35
	v_rndne_f32_e32 v92, v35
	v_cvt_i32_f32_e32 v93, v100
	v_cmp_ngt_f32_e64 s2, 0xc2ce8ed0, v37
	v_cndmask_b32_e32 v95, 0x7f800000, v33, vcc_lo
	s_delay_alu instid0(VALU_DEP_4) | instskip(NEXT) | instid1(VALU_DEP_4)
	v_dual_fmac_f32 v38, 0x32a5705f, v37 :: v_dual_sub_f32 v33, v35, v92
	v_ldexp_f32 v39, v39, v93
	v_cmp_ngt_f32_e32 vcc_lo, 0xc2ce8ed0, v34
	v_dual_sub_f32 v35, v36, v6 :: v_dual_sub_f32 v36, v102, v6
	v_cvt_i32_f32_e32 v92, v92
	s_delay_alu instid0(VALU_DEP_4) | instskip(NEXT) | instid1(VALU_DEP_3)
	v_dual_cndmask_b32 v39, 0, v39, vcc_lo :: v_dual_add_f32 v33, v33, v38
	v_mul_f32_e32 v38, 0x3fb8aa3b, v35
	s_delay_alu instid0(VALU_DEP_4) | instskip(SKIP_2) | instid1(VALU_DEP_4)
	v_mul_f32_e32 v100, 0x3fb8aa3b, v36
	v_cmp_nlt_f32_e32 vcc_lo, 0x42b17218, v34
	v_cmp_nlt_f32_e64 s4, 0x42b17218, v35
	v_fma_f32 v102, 0x3fb8aa3b, v35, -v38
	v_rndne_f32_e32 v116, v38
	v_fma_f32 v103, 0x3fb8aa3b, v36, -v100
	v_rndne_f32_e32 v115, v100
	v_cndmask_b32_e32 v105, 0x7f800000, v39, vcc_lo
	v_fmac_f32_e32 v102, 0x32a5705f, v35
	v_exp_f32_e32 v33, v33
	v_sub_f32_e32 v34, v38, v116
	v_dual_fmac_f32 v103, 0x32a5705f, v36 :: v_dual_sub_f32 v100, v100, v115
	v_cvt_i32_f32_e32 v39, v116
	v_cmp_nlt_f32_e32 vcc_lo, 0x42b17218, v37
	s_delay_alu instid0(VALU_DEP_4)
	v_add_f32_e32 v34, v34, v102
	v_cvt_f16_f32_e32 v93, v95
	v_ldexp_f32 v33, v33, v92
	v_add_f32_e32 v38, v100, v103
	v_cvt_i32_f32_e32 v37, v115
	v_exp_f32_e32 v34, v34
	v_and_b32_e32 v93, 0xffff, v93
	v_cndmask_b32_e64 v33, 0, v33, s2
	v_exp_f32_e32 v38, v38
	v_cmp_ngt_f32_e64 s2, 0xc2ce8ed0, v31
	s_delay_alu instid0(VALU_DEP_3) | instskip(NEXT) | instid1(TRANS32_DEP_2)
	v_mul_u32_u24_e32 v117, 0x10001, v93
	v_ldexp_f32 v34, v34, v39
	v_mul_f32_e32 v93, 0x3fb8aa3b, v31
	s_delay_alu instid0(VALU_DEP_3) | instskip(NEXT) | instid1(VALU_DEP_2)
	v_pk_mul_f16 v90, v90, v117
	v_rndne_f32_e32 v102, v93
	v_cndmask_b32_e32 v92, 0x7f800000, v33, vcc_lo
	v_ldexp_f32 v33, v38, v37
	v_cmp_ngt_f32_e32 vcc_lo, 0xc2ce8ed0, v36
	v_dual_mul_f32 v37, 0x3fb8aa3b, v32 :: v_dual_sub_f32 v38, v101, v7
	s_delay_alu instid0(VALU_DEP_3) | instskip(NEXT) | instid1(VALU_DEP_2)
	v_cndmask_b32_e32 v33, 0, v33, vcc_lo
	v_rndne_f32_e32 v101, v37
	s_delay_alu instid0(VALU_DEP_3) | instskip(SKIP_3) | instid1(VALU_DEP_4)
	v_mul_f32_e32 v100, 0x3fb8aa3b, v38
	v_cmp_nlt_f32_e32 vcc_lo, 0x42b17218, v36
	v_fma_f32 v39, 0x3fb8aa3b, v32, -v37
	v_cmp_ngt_f32_e64 s3, 0xc2ce8ed0, v38
	v_rndne_f32_e32 v115, v100
	v_fma_f32 v103, 0x3fb8aa3b, v38, -v100
	s_delay_alu instid0(VALU_DEP_2) | instskip(SKIP_2) | instid1(VALU_DEP_4)
	v_dual_sub_f32 v37, v37, v101 :: v_dual_sub_f32 v116, v100, v115
	v_cndmask_b32_e32 v100, 0x7f800000, v33, vcc_lo
	v_cmp_ngt_f32_e32 vcc_lo, 0xc2ce8ed0, v35
	v_fmac_f32_e32 v103, 0x32a5705f, v38
	v_cndmask_b32_e32 v34, 0, v34, vcc_lo
	v_fma_f32 v36, 0x3fb8aa3b, v31, -v93
	v_fmac_f32_e32 v39, 0x32a5705f, v32
	v_sub_f32_e32 v93, v93, v102
	v_cmp_ngt_f32_e32 vcc_lo, 0xc2ce8ed0, v32
	s_delay_alu instid0(VALU_DEP_4) | instskip(NEXT) | instid1(VALU_DEP_1)
	v_fmac_f32_e32 v36, 0x32a5705f, v31
	v_add_f32_e32 v33, v93, v36
	v_cvt_i32_f32_e32 v93, v102
	v_cndmask_b32_e64 v102, 0x7f800000, v34, s4
	v_cvt_pk_f16_f32 v34, v96, v97
	s_delay_alu instid0(VALU_DEP_4) | instskip(SKIP_1) | instid1(TRANS32_DEP_1)
	v_exp_f32_e32 v33, v33
	v_nop
	v_ldexp_f32 v33, v33, v93
	v_add_f32_e32 v37, v37, v39
	v_cvt_i32_f32_e32 v39, v101
	v_cvt_i32_f32_e32 v101, v115
	s_delay_alu instid0(VALU_DEP_3) | instskip(SKIP_1) | instid1(TRANS32_DEP_1)
	v_exp_f32_e32 v37, v37
	v_nop
	v_ldexp_f32 v37, v37, v39
	v_add_f32_e32 v36, v116, v103
	v_cvt_f16_f32_e32 v103, v100
	s_delay_alu instid0(VALU_DEP_3) | instskip(NEXT) | instid1(VALU_DEP_3)
	v_cndmask_b32_e32 v35, 0, v37, vcc_lo
	v_exp_f32_e32 v36, v36
	v_cmp_nlt_f32_e32 vcc_lo, 0x42b17218, v32
	v_cndmask_b32_e64 v32, 0, v33, s2
	v_cmp_nlt_f32_e64 s2, 0x42b17218, v31
	v_and_b32_e32 v31, 0xffff, v103
	v_cvt_pk_f16_f32 v37, v98, v99
	v_cndmask_b32_e32 v93, 0x7f800000, v35, vcc_lo
	v_ldexp_f32 v36, v36, v101
	v_cndmask_b32_e64 v103, 0x7f800000, v32, s2
	v_cvt_pk_f16_f32 v32, v18, v19
	v_pk_add_f32 v[18:19], v[18:19], v[20:21]
	v_cvt_pk_f16_f32 v35, v92, v93
	v_cndmask_b32_e64 v33, 0, v36, s3
	v_cmp_nlt_f32_e64 s3, 0x42b17218, v38
	v_cvt_pk_f16_f32 v39, v102, v103
	v_cvt_pk_f16_f32 v38, v104, v105
	;; [unrolled: 1-line block ×3, first 2 shown]
	v_pk_fma_f32 v[46:47], v[46:47], v[16:17], v[18:19]
	v_cndmask_b32_e64 v101, 0x7f800000, v33, s3
	v_cvt_pk_f16_f32 v33, v24, v25
	ds_store_b128 v84, v[32:35]
	ds_store_b128 v84, v[36:39] offset:512
	s_wait_loadcnt 0x1
	ds_store_b128 v81, v[8:11]
	s_wait_loadcnt 0x0
	ds_store_b128 v82, v[12:15]
	s_wait_dscnt 0x0
	s_barrier_signal -1
	s_barrier_wait -1
	ds_load_b128 v[8:11], v80
	v_cvt_f16_f32_e32 v115, v101
	v_pk_add_f32 v[12:13], v[92:93], v[102:103]
	v_pk_add_f32 v[24:25], v[24:25], v[98:99]
	v_mul_u32_u24_e32 v31, 0x10001, v31
	v_pk_mul_f16 v36, v89, v117
	v_and_b32_e32 v32, 0xffff, v115
	v_pk_fma_f32 v[40:41], v[40:41], v[100:101], v[12:13]
	v_pk_fma_f32 v[44:45], v[44:45], v[22:23], v[24:25]
	v_pk_mul_f16 v37, v87, v31
	v_pk_mul_f16 v31, v88, v31
	v_mul_u32_u24_e32 v20, 0x10001, v32
	s_or_b32 s2, s14, 32
	s_delay_alu instid0(SALU_CYCLE_1) | instskip(NEXT) | instid1(VALU_DEP_1)
	s_ashr_i32 s3, s2, 31
	v_pk_mul_f16 v24, v85, v20
	v_pk_mul_f16 v25, v86, v20
	s_mul_u64 s[2:3], s[2:3], s[20:21]
	s_wait_dscnt 0x0
	v_lshrrev_b32_e32 v38, 16, v8
	v_pk_add_f32 v[14:15], v[96:97], v[104:105]
	v_lshrrev_b32_e32 v86, 16, v11
	v_and_b32_e32 v11, 0xffff, v11
	v_and_b32_e32 v8, 0xffff, v8
	v_lshrrev_b32_e32 v39, 16, v9
	v_pk_fma_f32 v[42:43], v[42:43], v[94:95], v[14:15]
	ds_load_2addr_b64 v[12:15], v83 offset1:32
	ds_load_b128 v[16:19], v80 offset:16
	ds_load_b128 v[20:23], v80 offset:32
	;; [unrolled: 1-line block ×3, first 2 shown]
	v_lshrrev_b32_e32 v85, 16, v10
	v_and_b32_e32 v9, 0xffff, v9
	v_and_b32_e32 v10, 0xffff, v10
	v_mul_u32_u24_e32 v11, 0x10001, v11
	v_mul_u32_u24_e32 v8, 0x10001, v8
	;; [unrolled: 1-line block ×7, first 2 shown]
	s_lshl_b64 s[2:3], s[2:3], 2
	s_delay_alu instid0(SALU_CYCLE_1) | instskip(NEXT) | instid1(SALU_CYCLE_1)
	s_add_nc_u64 s[2:3], s[38:39], s[2:3]
	v_add_nc_u64_e32 v[118:119], s[2:3], v[56:57]
	v_add_nc_u64_e32 v[120:121], s[2:3], v[58:59]
	s_wait_dscnt 0x3
	v_pk_fma_f16 v37, v12, v11, v37
	v_pk_fma_f16 v31, v13, v11, v31
	s_wait_dscnt 0x2
	v_lshrrev_b32_e32 v11, 16, v16
	v_mul_u32_u24_e32 v85, 0x10001, v85
	v_pk_fma_f16 v87, v12, v8, v111
	v_pk_fma_f16 v88, v12, v38, v106
	v_pk_fma_f16 v89, v12, v9, v109
	v_pk_fma_f16 v92, v12, v39, v113
	v_pk_fma_f16 v93, v12, v10, v114
	v_pk_fma_f16 v90, v12, v85, v90
	v_pk_fma_f16 v12, v12, v86, v24
	v_pk_fma_f16 v8, v13, v8, v112
	v_pk_fma_f16 v24, v13, v38, v107
	v_pk_fma_f16 v9, v13, v9, v110
	v_pk_fma_f16 v38, v13, v39, v108
	v_pk_fma_f16 v10, v13, v10, v91
	v_pk_fma_f16 v36, v13, v85, v36
	v_pk_fma_f16 v13, v13, v86, v25
	v_and_b32_e32 v16, 0xffff, v16
	v_dual_lshrrev_b32 v25, 16, v17 :: v_dual_lshrrev_b32 v39, 16, v18
	v_lshrrev_b32_e32 v85, 16, v19
	v_and_b32_e32 v17, 0xffff, v17
	v_and_b32_e32 v18, 0xffff, v18
	;; [unrolled: 1-line block ×3, first 2 shown]
	v_mul_u32_u24_e32 v16, 0x10001, v16
	v_mul_u32_u24_e32 v11, 0x10001, v11
	;; [unrolled: 1-line block ×8, first 2 shown]
	v_pk_fma_f16 v86, v14, v16, v87
	v_pk_fma_f16 v87, v14, v11, v88
	;; [unrolled: 1-line block ×12, first 2 shown]
	ds_load_2addr_b64 v[8:11], v83 offset0:64 offset1:96
	v_pk_fma_f16 v24, v15, v25, v38
	v_pk_fma_f16 v25, v15, v39, v36
	;; [unrolled: 1-line block ×4, first 2 shown]
	s_wait_dscnt 0x2
	v_lshrrev_b32_e32 v15, 16, v20
	v_and_b32_e32 v20, 0xffff, v20
	v_dual_lshrrev_b32 v31, 16, v21 :: v_dual_lshrrev_b32 v38, 16, v23
	v_lshrrev_b32_e32 v36, 16, v22
	v_and_b32_e32 v21, 0xffff, v21
	v_and_b32_e32 v22, 0xffff, v22
	;; [unrolled: 1-line block ×3, first 2 shown]
	v_mul_u32_u24_e32 v20, 0x10001, v20
	v_mul_u32_u24_e32 v15, 0x10001, v15
	;; [unrolled: 1-line block ×8, first 2 shown]
	s_wait_dscnt 0x0
	v_pk_fma_f16 v39, v8, v20, v86
	v_pk_fma_f16 v85, v8, v15, v87
	;; [unrolled: 1-line block ×16, first 2 shown]
	v_dual_lshrrev_b32 v12, 16, v32 :: v_dual_lshrrev_b32 v14, 16, v33
	v_and_b32_e32 v13, 0xffff, v32
	v_dual_lshrrev_b32 v15, 16, v34 :: v_dual_lshrrev_b32 v19, 16, v35
	s_delay_alu instid0(VALU_DEP_3) | instskip(SKIP_1) | instid1(VALU_DEP_4)
	v_mul_u32_u24_e32 v31, 0x10001, v12
	v_and_b32_e32 v12, 0xffff, v35
	v_mul_u32_u24_e32 v25, 0x10001, v13
	v_and_b32_e32 v13, 0xffff, v34
	v_and_b32_e32 v24, 0xffff, v33
	v_mul_u32_u24_e32 v32, 0x10001, v14
	v_mul_u32_u24_e32 v34, 0x10001, v15
	;; [unrolled: 1-line block ×4, first 2 shown]
	ds_load_b128 v[12:15], v80 offset:64
	v_mul_u32_u24_e32 v24, 0x10001, v24
	v_mul_u32_u24_e32 v36, 0x10001, v19
	v_pk_fma_f16 v38, v10, v25, v39
	v_pk_fma_f16 v39, v10, v31, v85
	;; [unrolled: 1-line block ×14, first 2 shown]
	ds_load_2addr_b64 v[16:19], v83 offset0:128 offset1:160
	v_pk_fma_f16 v23, v11, v35, v23
	v_pk_fma_f16 v32, v11, v36, v9
	ds_load_b128 v[8:11], v80 offset:80
	s_wait_dscnt 0x2
	v_dual_lshrrev_b32 v35, 16, v14 :: v_dual_lshrrev_b32 v36, 16, v15
	v_and_b32_e32 v15, 0xffff, v15
	v_dual_lshrrev_b32 v33, 16, v12 :: v_dual_lshrrev_b32 v34, 16, v13
	v_and_b32_e32 v12, 0xffff, v12
	v_and_b32_e32 v13, 0xffff, v13
	;; [unrolled: 1-line block ×3, first 2 shown]
	v_mul_u32_u24_e32 v15, 0x10001, v15
	v_mul_u32_u24_e32 v33, 0x10001, v33
	;; [unrolled: 1-line block ×8, first 2 shown]
	s_wait_dscnt 0x1
	v_pk_fma_f16 v37, v16, v15, v37
	v_pk_fma_f16 v23, v17, v15, v23
	;; [unrolled: 1-line block ×3, first 2 shown]
	s_wait_dscnt 0x0
	v_lshrrev_b32_e32 v15, 16, v8
	v_and_b32_e32 v8, 0xffff, v8
	v_pk_fma_f16 v85, v16, v13, v85
	v_pk_fma_f16 v87, v16, v14, v87
	;; [unrolled: 1-line block ×9, first 2 shown]
	v_dual_lshrrev_b32 v24, 16, v9 :: v_dual_lshrrev_b32 v25, 16, v10
	v_lshrrev_b32_e32 v31, 16, v11
	v_and_b32_e32 v9, 0xffff, v9
	v_mul_u32_u24_e32 v32, 0x10001, v8
	v_and_b32_e32 v8, 0xffff, v10
	v_and_b32_e32 v10, 0xffff, v11
	v_pk_fma_f16 v39, v16, v33, v39
	v_pk_fma_f16 v86, v16, v34, v86
	;; [unrolled: 1-line block ×3, first 2 shown]
	v_mul_u32_u24_e32 v33, 0x10001, v9
	v_mul_u32_u24_e32 v34, 0x10001, v8
	;; [unrolled: 1-line block ×3, first 2 shown]
	ds_load_b128 v[8:11], v80 offset:96
	v_pk_fma_f16 v16, v16, v36, v89
	v_mul_u32_u24_e32 v15, 0x10001, v15
	v_mul_u32_u24_e32 v24, 0x10001, v24
	v_mul_u32_u24_e32 v25, 0x10001, v25
	v_mul_u32_u24_e32 v31, 0x10001, v31
	v_pk_fma_f16 v36, v18, v32, v38
	v_pk_fma_f16 v38, v18, v15, v39
	;; [unrolled: 1-line block ×14, first 2 shown]
	ds_load_2addr_b64 v[12:15], v83 offset0:192 offset1:224
	v_pk_fma_f16 v23, v19, v35, v23
	v_pk_fma_f16 v25, v19, v31, v17
	ds_load_b128 v[16:19], v80 offset:112
	s_wait_dscnt 0x2
	v_dual_lshrrev_b32 v31, 16, v8 :: v_dual_lshrrev_b32 v34, 16, v9
	v_and_b32_e32 v8, 0xffff, v8
	v_and_b32_e32 v9, 0xffff, v9
	v_dual_lshrrev_b32 v35, 16, v10 :: v_dual_lshrrev_b32 v89, 16, v11
	v_and_b32_e32 v10, 0xffff, v10
	s_delay_alu instid0(VALU_DEP_4)
	v_mul_u32_u24_e32 v8, 0x10001, v8
	v_mul_u32_u24_e32 v31, 0x10001, v31
	v_and_b32_e32 v11, 0xffff, v11
	v_mul_u32_u24_e32 v9, 0x10001, v9
	v_mul_u32_u24_e32 v34, 0x10001, v34
	;; [unrolled: 1-line block ×6, first 2 shown]
	s_wait_dscnt 0x1
	v_pk_fma_f16 v36, v12, v8, v36
	v_pk_fma_f16 v38, v12, v31, v38
	;; [unrolled: 1-line block ×6, first 2 shown]
	s_wait_dscnt 0x0
	v_lshrrev_b32_e32 v8, 16, v16
	v_and_b32_e32 v9, 0xffff, v16
	v_pk_fma_f16 v86, v12, v10, v86
	v_pk_fma_f16 v37, v12, v11, v37
	;; [unrolled: 1-line block ×7, first 2 shown]
	v_dual_lshrrev_b32 v10, 16, v17 :: v_dual_lshrrev_b32 v11, 16, v18
	v_lshrrev_b32_e32 v16, 16, v19
	v_mul_u32_u24_e32 v25, 0x10001, v9
	v_and_b32_e32 v9, 0xffff, v18
	v_mul_u32_u24_e32 v18, 0x10001, v8
	v_and_b32_e32 v8, 0xffff, v19
	v_pk_fma_f16 v85, v12, v34, v85
	v_pk_fma_f16 v87, v12, v35, v87
	v_and_b32_e32 v17, 0xffff, v17
	v_mul_u32_u24_e32 v19, 0x10001, v10
	v_mul_u32_u24_e32 v33, 0x10001, v9
	;; [unrolled: 1-line block ×4, first 2 shown]
	ds_load_b128 v[8:11], v80 offset:128
	v_pk_fma_f16 v12, v12, v89, v88
	v_mul_u32_u24_e32 v17, 0x10001, v17
	v_mul_u32_u24_e32 v88, 0x10001, v16
	v_pk_fma_f16 v36, v14, v25, v36
	v_pk_fma_f16 v25, v15, v25, v32
	v_pk_fma_f16 v32, v15, v18, v20
	v_add_nc_u32_e32 v20, 0x800, v83
	v_pk_fma_f16 v38, v14, v18, v38
	v_pk_fma_f16 v39, v14, v17, v39
	;; [unrolled: 1-line block ×11, first 2 shown]
	ds_load_2addr_b64 v[16:19], v20 offset1:32
	v_pk_fma_f16 v23, v15, v35, v23
	v_pk_fma_f16 v33, v15, v88, v13
	ds_load_b128 v[12:15], v80 offset:144
	s_wait_dscnt 0x2
	v_dual_lshrrev_b32 v34, 16, v8 :: v_dual_lshrrev_b32 v35, 16, v9
	v_and_b32_e32 v8, 0xffff, v8
	v_and_b32_e32 v9, 0xffff, v9
	v_dual_lshrrev_b32 v88, 16, v10 :: v_dual_lshrrev_b32 v90, 16, v11
	v_and_b32_e32 v10, 0xffff, v10
	s_delay_alu instid0(VALU_DEP_4)
	v_mul_u32_u24_e32 v8, 0x10001, v8
	v_and_b32_e32 v11, 0xffff, v11
	v_mul_u32_u24_e32 v9, 0x10001, v9
	v_mul_u32_u24_e32 v34, 0x10001, v34
	;; [unrolled: 1-line block ×7, first 2 shown]
	s_wait_dscnt 0x1
	v_pk_fma_f16 v36, v16, v8, v36
	v_pk_fma_f16 v39, v16, v9, v39
	;; [unrolled: 1-line block ×4, first 2 shown]
	s_wait_dscnt 0x0
	v_lshrrev_b32_e32 v8, 16, v12
	v_and_b32_e32 v9, 0xffff, v12
	v_pk_fma_f16 v86, v16, v10, v86
	v_pk_fma_f16 v37, v16, v11, v37
	;; [unrolled: 1-line block ×8, first 2 shown]
	v_dual_lshrrev_b32 v10, 16, v13 :: v_dual_lshrrev_b32 v11, 16, v14
	v_lshrrev_b32_e32 v12, 16, v15
	v_mul_u32_u24_e32 v33, 0x10001, v9
	v_and_b32_e32 v9, 0xffff, v14
	v_mul_u32_u24_e32 v14, 0x10001, v8
	v_and_b32_e32 v8, 0xffff, v15
	v_pk_fma_f16 v38, v16, v34, v38
	v_pk_fma_f16 v85, v16, v35, v85
	;; [unrolled: 1-line block ×3, first 2 shown]
	v_and_b32_e32 v13, 0xffff, v13
	v_mul_u32_u24_e32 v15, 0x10001, v10
	v_mul_u32_u24_e32 v34, 0x10001, v9
	;; [unrolled: 1-line block ×4, first 2 shown]
	ds_load_b128 v[8:11], v80 offset:160
	v_pk_fma_f16 v16, v16, v90, v89
	v_mul_u32_u24_e32 v13, 0x10001, v13
	v_mul_u32_u24_e32 v89, 0x10001, v12
	v_pk_fma_f16 v36, v18, v33, v36
	v_pk_fma_f16 v38, v18, v14, v38
	;; [unrolled: 1-line block ×14, first 2 shown]
	ds_load_2addr_b64 v[12:15], v20 offset0:64 offset1:96
	v_pk_fma_f16 v23, v19, v88, v23
	v_pk_fma_f16 v33, v19, v89, v17
	ds_load_b128 v[16:19], v80 offset:176
	s_wait_dscnt 0x2
	v_dual_lshrrev_b32 v34, 16, v8 :: v_dual_lshrrev_b32 v35, 16, v9
	v_and_b32_e32 v8, 0xffff, v8
	v_and_b32_e32 v9, 0xffff, v9
	v_dual_lshrrev_b32 v88, 16, v10 :: v_dual_lshrrev_b32 v89, 16, v11
	v_and_b32_e32 v10, 0xffff, v10
	s_delay_alu instid0(VALU_DEP_4)
	v_mul_u32_u24_e32 v8, 0x10001, v8
	v_and_b32_e32 v11, 0xffff, v11
	v_mul_u32_u24_e32 v9, 0x10001, v9
	v_mul_u32_u24_e32 v34, 0x10001, v34
	;; [unrolled: 1-line block ×7, first 2 shown]
	s_wait_dscnt 0x1
	v_pk_fma_f16 v36, v12, v8, v36
	v_pk_fma_f16 v39, v12, v9, v39
	;; [unrolled: 1-line block ×4, first 2 shown]
	s_wait_dscnt 0x0
	v_lshrrev_b32_e32 v8, 16, v16
	v_and_b32_e32 v9, 0xffff, v16
	v_pk_fma_f16 v86, v12, v10, v86
	v_pk_fma_f16 v37, v12, v11, v37
	;; [unrolled: 1-line block ×8, first 2 shown]
	v_dual_lshrrev_b32 v10, 16, v17 :: v_dual_lshrrev_b32 v11, 16, v18
	v_lshrrev_b32_e32 v16, 16, v19
	v_mul_u32_u24_e32 v33, 0x10001, v9
	v_and_b32_e32 v9, 0xffff, v18
	v_mul_u32_u24_e32 v18, 0x10001, v8
	v_and_b32_e32 v8, 0xffff, v19
	v_pk_fma_f16 v38, v12, v34, v38
	v_pk_fma_f16 v85, v12, v35, v85
	;; [unrolled: 1-line block ×3, first 2 shown]
	v_and_b32_e32 v17, 0xffff, v17
	v_mul_u32_u24_e32 v19, 0x10001, v10
	v_mul_u32_u24_e32 v34, 0x10001, v9
	;; [unrolled: 1-line block ×4, first 2 shown]
	ds_load_b128 v[8:11], v80 offset:192
	v_pk_fma_f16 v12, v12, v89, v90
	v_mul_u32_u24_e32 v17, 0x10001, v17
	v_mul_u32_u24_e32 v89, 0x10001, v16
	v_pk_fma_f16 v36, v14, v33, v36
	v_pk_fma_f16 v38, v14, v18, v38
	;; [unrolled: 1-line block ×14, first 2 shown]
	ds_load_2addr_b64 v[16:19], v20 offset0:128 offset1:160
	v_pk_fma_f16 v23, v15, v88, v23
	v_pk_fma_f16 v33, v15, v89, v13
	ds_load_b128 v[12:15], v80 offset:208
	s_wait_dscnt 0x2
	v_dual_lshrrev_b32 v34, 16, v8 :: v_dual_lshrrev_b32 v35, 16, v9
	v_and_b32_e32 v8, 0xffff, v8
	v_and_b32_e32 v9, 0xffff, v9
	v_dual_lshrrev_b32 v88, 16, v10 :: v_dual_lshrrev_b32 v89, 16, v11
	v_and_b32_e32 v10, 0xffff, v10
	s_delay_alu instid0(VALU_DEP_4)
	v_mul_u32_u24_e32 v8, 0x10001, v8
	v_and_b32_e32 v11, 0xffff, v11
	v_mul_u32_u24_e32 v9, 0x10001, v9
	v_mul_u32_u24_e32 v34, 0x10001, v34
	v_mul_u32_u24_e32 v35, 0x10001, v35
	v_mul_u32_u24_e32 v10, 0x10001, v10
	v_mul_u32_u24_e32 v88, 0x10001, v88
	v_mul_u32_u24_e32 v11, 0x10001, v11
	v_mul_u32_u24_e32 v89, 0x10001, v89
	s_wait_dscnt 0x1
	v_pk_fma_f16 v36, v16, v8, v36
	v_pk_fma_f16 v39, v16, v9, v39
	;; [unrolled: 1-line block ×4, first 2 shown]
	s_wait_dscnt 0x0
	v_lshrrev_b32_e32 v8, 16, v12
	v_and_b32_e32 v9, 0xffff, v12
	v_pk_fma_f16 v86, v16, v10, v86
	v_pk_fma_f16 v37, v16, v11, v37
	;; [unrolled: 1-line block ×8, first 2 shown]
	v_dual_lshrrev_b32 v10, 16, v13 :: v_dual_lshrrev_b32 v11, 16, v14
	v_lshrrev_b32_e32 v12, 16, v15
	v_mul_u32_u24_e32 v33, 0x10001, v9
	v_and_b32_e32 v9, 0xffff, v14
	v_mul_u32_u24_e32 v14, 0x10001, v8
	v_and_b32_e32 v8, 0xffff, v15
	v_pk_fma_f16 v38, v16, v34, v38
	v_pk_fma_f16 v85, v16, v35, v85
	;; [unrolled: 1-line block ×3, first 2 shown]
	v_and_b32_e32 v13, 0xffff, v13
	v_mul_u32_u24_e32 v15, 0x10001, v10
	v_mul_u32_u24_e32 v34, 0x10001, v9
	v_mul_u32_u24_e32 v35, 0x10001, v11
	v_mul_u32_u24_e32 v88, 0x10001, v8
	ds_load_b128 v[8:11], v80 offset:224
	v_pk_fma_f16 v16, v16, v89, v90
	v_mul_u32_u24_e32 v13, 0x10001, v13
	v_mul_u32_u24_e32 v89, 0x10001, v12
	v_pk_fma_f16 v36, v18, v33, v36
	v_pk_fma_f16 v38, v18, v14, v38
	;; [unrolled: 1-line block ×14, first 2 shown]
	ds_load_2addr_b64 v[12:15], v20 offset0:192 offset1:224
	v_pk_fma_f16 v23, v19, v88, v23
	v_pk_fma_f16 v33, v19, v89, v17
	ds_load_b128 v[16:19], v80 offset:240
	s_wait_dscnt 0x2
	v_dual_lshrrev_b32 v34, 16, v8 :: v_dual_lshrrev_b32 v35, 16, v9
	v_and_b32_e32 v8, 0xffff, v8
	v_and_b32_e32 v9, 0xffff, v9
	v_dual_lshrrev_b32 v88, 16, v10 :: v_dual_lshrrev_b32 v89, 16, v11
	v_and_b32_e32 v10, 0xffff, v10
	s_delay_alu instid0(VALU_DEP_4)
	v_mul_u32_u24_e32 v8, 0x10001, v8
	v_and_b32_e32 v11, 0xffff, v11
	v_mul_u32_u24_e32 v9, 0x10001, v9
	v_mul_u32_u24_e32 v34, 0x10001, v34
	v_mul_u32_u24_e32 v35, 0x10001, v35
	v_mul_u32_u24_e32 v10, 0x10001, v10
	v_mul_u32_u24_e32 v11, 0x10001, v11
	v_mul_u32_u24_e32 v88, 0x10001, v88
	v_mul_u32_u24_e32 v89, 0x10001, v89
	s_wait_dscnt 0x1
	v_pk_fma_f16 v36, v12, v8, v36
	v_pk_fma_f16 v39, v12, v9, v39
	;; [unrolled: 1-line block ×4, first 2 shown]
	s_wait_dscnt 0x0
	v_lshrrev_b32_e32 v8, 16, v16
	v_and_b32_e32 v9, 0xffff, v16
	v_pk_fma_f16 v38, v12, v34, v38
	v_pk_fma_f16 v86, v12, v10, v86
	v_pk_fma_f16 v37, v12, v11, v37
	v_pk_fma_f16 v32, v13, v34, v32
	v_pk_fma_f16 v34, v13, v35, v21
	v_pk_fma_f16 v24, v13, v10, v24
	v_pk_fma_f16 v23, v13, v11, v23
	v_dual_lshrrev_b32 v10, 16, v17 :: v_dual_lshrrev_b32 v11, 16, v18
	v_lshrrev_b32_e32 v16, 16, v19
	v_mul_u32_u24_e32 v21, 0x10001, v9
	v_and_b32_e32 v9, 0xffff, v18
	v_mul_u32_u24_e32 v18, 0x10001, v8
	v_and_b32_e32 v8, 0xffff, v19
	v_pk_fma_f16 v85, v12, v35, v85
	v_pk_fma_f16 v87, v12, v88, v87
	;; [unrolled: 1-line block ×4, first 2 shown]
	v_and_b32_e32 v17, 0xffff, v17
	v_mul_u32_u24_e32 v19, 0x10001, v10
	v_mul_u32_u24_e32 v33, 0x10001, v9
	v_mul_u32_u24_e32 v35, 0x10001, v11
	v_mul_u32_u24_e32 v88, 0x10001, v8
	ds_load_b128 v[8:11], v80 offset:256
	v_pk_fma_f16 v12, v12, v89, v90
	v_mul_u32_u24_e32 v17, 0x10001, v17
	v_mul_u32_u24_e32 v89, 0x10001, v16
	v_pk_fma_f16 v36, v14, v21, v36
	v_pk_fma_f16 v25, v15, v21, v25
	v_add_nc_u32_e32 v21, 0x1000, v83
	v_pk_fma_f16 v38, v14, v18, v38
	v_pk_fma_f16 v39, v14, v17, v39
	;; [unrolled: 1-line block ×12, first 2 shown]
	ds_load_2addr_b64 v[16:19], v21 offset1:32
	v_pk_fma_f16 v23, v15, v88, v23
	v_pk_fma_f16 v33, v15, v89, v13
	ds_load_b128 v[12:15], v80 offset:272
	s_wait_dscnt 0x2
	v_dual_lshrrev_b32 v35, 16, v8 :: v_dual_lshrrev_b32 v88, 16, v9
	v_and_b32_e32 v8, 0xffff, v8
	v_and_b32_e32 v9, 0xffff, v9
	v_dual_lshrrev_b32 v89, 16, v10 :: v_dual_lshrrev_b32 v91, 16, v11
	v_and_b32_e32 v10, 0xffff, v10
	s_delay_alu instid0(VALU_DEP_4)
	v_mul_u32_u24_e32 v8, 0x10001, v8
	v_and_b32_e32 v11, 0xffff, v11
	v_mul_u32_u24_e32 v9, 0x10001, v9
	v_mul_u32_u24_e32 v35, 0x10001, v35
	;; [unrolled: 1-line block ×7, first 2 shown]
	s_wait_dscnt 0x1
	v_pk_fma_f16 v36, v16, v8, v36
	v_pk_fma_f16 v39, v16, v9, v39
	;; [unrolled: 1-line block ×4, first 2 shown]
	s_wait_dscnt 0x0
	v_lshrrev_b32_e32 v8, 16, v12
	v_and_b32_e32 v9, 0xffff, v12
	v_pk_fma_f16 v86, v16, v10, v86
	v_pk_fma_f16 v37, v16, v11, v37
	;; [unrolled: 1-line block ×8, first 2 shown]
	v_dual_lshrrev_b32 v10, 16, v13 :: v_dual_lshrrev_b32 v11, 16, v14
	v_lshrrev_b32_e32 v12, 16, v15
	v_mul_u32_u24_e32 v33, 0x10001, v9
	v_and_b32_e32 v9, 0xffff, v14
	v_mul_u32_u24_e32 v14, 0x10001, v8
	v_and_b32_e32 v8, 0xffff, v15
	v_pk_fma_f16 v38, v16, v35, v38
	v_pk_fma_f16 v85, v16, v88, v85
	;; [unrolled: 1-line block ×3, first 2 shown]
	v_and_b32_e32 v13, 0xffff, v13
	v_mul_u32_u24_e32 v15, 0x10001, v10
	v_mul_u32_u24_e32 v35, 0x10001, v9
	;; [unrolled: 1-line block ×4, first 2 shown]
	ds_load_b128 v[8:11], v80 offset:288
	v_pk_fma_f16 v16, v16, v91, v90
	v_mul_u32_u24_e32 v13, 0x10001, v13
	v_mul_u32_u24_e32 v90, 0x10001, v12
	v_pk_fma_f16 v36, v18, v33, v36
	v_pk_fma_f16 v38, v18, v14, v38
	;; [unrolled: 1-line block ×14, first 2 shown]
	ds_load_2addr_b64 v[12:15], v21 offset0:64 offset1:96
	v_pk_fma_f16 v23, v19, v89, v23
	v_pk_fma_f16 v34, v19, v90, v17
	ds_load_b128 v[16:19], v80 offset:304
	s_wait_dscnt 0x2
	v_dual_lshrrev_b32 v89, 16, v10 :: v_dual_lshrrev_b32 v90, 16, v11
	v_and_b32_e32 v11, 0xffff, v11
	v_dual_lshrrev_b32 v35, 16, v8 :: v_dual_lshrrev_b32 v88, 16, v9
	v_and_b32_e32 v8, 0xffff, v8
	v_and_b32_e32 v9, 0xffff, v9
	;; [unrolled: 1-line block ×3, first 2 shown]
	v_mul_u32_u24_e32 v11, 0x10001, v11
	v_mul_u32_u24_e32 v35, 0x10001, v35
	;; [unrolled: 1-line block ×8, first 2 shown]
	s_wait_dscnt 0x1
	v_pk_fma_f16 v37, v12, v11, v37
	v_pk_fma_f16 v23, v13, v11, v23
	;; [unrolled: 1-line block ×3, first 2 shown]
	s_wait_dscnt 0x0
	v_lshrrev_b32_e32 v11, 16, v16
	v_and_b32_e32 v16, 0xffff, v16
	v_pk_fma_f16 v39, v12, v9, v39
	v_pk_fma_f16 v86, v12, v10, v86
	;; [unrolled: 1-line block ×9, first 2 shown]
	v_dual_lshrrev_b32 v24, 16, v17 :: v_dual_lshrrev_b32 v32, 16, v18
	v_lshrrev_b32_e32 v33, 16, v19
	v_and_b32_e32 v17, 0xffff, v17
	v_mul_u32_u24_e32 v34, 0x10001, v16
	v_and_b32_e32 v16, 0xffff, v18
	v_and_b32_e32 v18, 0xffff, v19
	v_pk_fma_f16 v38, v12, v35, v38
	v_pk_fma_f16 v85, v12, v88, v85
	;; [unrolled: 1-line block ×3, first 2 shown]
	v_mul_u32_u24_e32 v35, 0x10001, v17
	v_mul_u32_u24_e32 v88, 0x10001, v16
	;; [unrolled: 1-line block ×3, first 2 shown]
	ds_load_b128 v[16:19], v80 offset:320
	v_pk_fma_f16 v12, v12, v90, v91
	v_mul_u32_u24_e32 v11, 0x10001, v11
	v_mul_u32_u24_e32 v24, 0x10001, v24
	;; [unrolled: 1-line block ×4, first 2 shown]
	v_pk_fma_f16 v36, v14, v34, v36
	v_pk_fma_f16 v38, v14, v11, v38
	;; [unrolled: 1-line block ×14, first 2 shown]
	ds_load_2addr_b64 v[8:11], v21 offset0:128 offset1:160
	v_pk_fma_f16 v23, v15, v89, v23
	v_pk_fma_f16 v32, v15, v33, v13
	ds_load_b128 v[12:15], v80 offset:336
	s_wait_dscnt 0x2
	v_dual_lshrrev_b32 v33, 16, v16 :: v_dual_lshrrev_b32 v88, 16, v17
	v_and_b32_e32 v16, 0xffff, v16
	v_dual_lshrrev_b32 v89, 16, v18 :: v_dual_lshrrev_b32 v91, 16, v19
	v_and_b32_e32 v17, 0xffff, v17
	v_and_b32_e32 v18, 0xffff, v18
	;; [unrolled: 1-line block ×3, first 2 shown]
	v_mul_u32_u24_e32 v16, 0x10001, v16
	v_mul_u32_u24_e32 v33, 0x10001, v33
	;; [unrolled: 1-line block ×8, first 2 shown]
	s_wait_dscnt 0x1
	v_pk_fma_f16 v36, v8, v16, v36
	v_pk_fma_f16 v38, v8, v33, v38
	;; [unrolled: 1-line block ×8, first 2 shown]
	s_wait_dscnt 0x0
	v_lshrrev_b32_e32 v8, 16, v12
	v_pk_fma_f16 v142, v9, v16, v34
	v_and_b32_e32 v12, 0xffff, v12
	v_lshrrev_b32_e32 v16, 16, v13
	v_and_b32_e32 v13, 0xffff, v13
	v_mul_u32_u24_e32 v149, 0x10001, v8
	v_and_b32_e32 v8, 0xffff, v15
	v_add_nc_u64_e32 v[134:135], v[118:119], v[48:49]
	v_add_nc_u64_e32 v[136:137], v[120:121], v[48:49]
	v_pk_fma_f16 v144, v9, v17, v35
	v_pk_fma_f16 v31, v9, v18, v31
	v_dual_lshrrev_b32 v17, 16, v14 :: v_dual_lshrrev_b32 v18, 16, v15
	v_mul_u32_u24_e32 v148, 0x10001, v12
	v_and_b32_e32 v12, 0xffff, v14
	v_mul_u32_u24_e32 v150, 0x10001, v13
	v_mul_u32_u24_e32 v154, 0x10001, v8
	v_add_nc_u32_e32 v8, 0x1800, v83
	v_pk_fma_f16 v143, v9, v33, v25
	v_pk_fma_f16 v145, v9, v88, v24
	;; [unrolled: 1-line block ×5, first 2 shown]
	v_mul_u32_u24_e32 v151, 0x10001, v16
	v_mul_u32_u24_e32 v152, 0x10001, v12
	;; [unrolled: 1-line block ×4, first 2 shown]
	v_pk_fma_f16 v156, v10, v148, v36
	v_pk_fma_f16 v157, v10, v149, v38
	v_pk_fma_f16 v158, v10, v150, v39
	ds_load_2addr_b64 v[12:15], v21 offset0:192 offset1:224
	ds_load_b128 v[22:25], v80 offset:352
	ds_load_b128 v[32:35], v80 offset:368
	ds_load_2addr_b64 v[36:39], v8 offset1:32
	ds_load_b128 v[86:89], v80 offset:384
	ds_load_b128 v[90:93], v80 offset:400
	ds_load_2addr_b64 v[94:97], v8 offset0:64 offset1:96
	ds_load_b128 v[98:101], v80 offset:416
	ds_load_b128 v[102:105], v80 offset:432
	ds_load_2addr_b64 v[106:109], v8 offset0:128 offset1:160
	;; [unrolled: 3-line block ×3, first 2 shown]
	ds_load_b128 v[118:121], v80 offset:480
	ds_load_b128 v[122:125], v80 offset:496
	s_wait_dscnt 0x0
	s_barrier_signal -1
	s_barrier_wait -1
	s_clause 0x1
	global_load_b128 v[126:129], v[134:135], off
	global_load_b128 v[130:133], v[136:137], off
	v_pk_fma_f16 v85, v10, v151, v85
	s_wait_xcnt 0x1
	v_pk_fma_f16 v134, v10, v152, v138
	v_pk_fma_f16 v135, v10, v153, v139
	s_wait_xcnt 0x0
	v_pk_fma_f16 v136, v10, v154, v140
	v_pk_fma_f16 v10, v10, v155, v141
	v_pk_fma_f16 v137, v11, v148, v142
	v_pk_fma_f16 v138, v11, v149, v143
	v_pk_fma_f16 v139, v11, v150, v144
	v_pk_fma_f16 v140, v11, v151, v145
	v_pk_fma_f16 v31, v11, v152, v31
	v_pk_fma_f16 v141, v11, v153, v146
	v_pk_fma_f16 v142, v11, v154, v147
	v_pk_fma_f16 v9, v11, v155, v9
	v_dual_lshrrev_b32 v11, 16, v22 :: v_dual_lshrrev_b32 v143, 16, v23
	v_and_b32_e32 v22, 0xffff, v22
	v_dual_lshrrev_b32 v144, 16, v24 :: v_dual_lshrrev_b32 v145, 16, v25
	v_and_b32_e32 v23, 0xffff, v23
	v_and_b32_e32 v24, 0xffff, v24
	v_and_b32_e32 v25, 0xffff, v25
	v_mul_u32_u24_e32 v22, 0x10001, v22
	v_mul_u32_u24_e32 v11, 0x10001, v11
	v_mul_u32_u24_e32 v23, 0x10001, v23
	v_mul_u32_u24_e32 v143, 0x10001, v143
	v_mul_u32_u24_e32 v24, 0x10001, v24
	v_mul_u32_u24_e32 v144, 0x10001, v144
	v_mul_u32_u24_e32 v25, 0x10001, v25
	v_mul_u32_u24_e32 v145, 0x10001, v145
	v_pk_fma_f16 v146, v12, v22, v156
	v_pk_fma_f16 v147, v12, v11, v157
	v_pk_fma_f16 v148, v12, v23, v158
	v_pk_fma_f16 v85, v12, v143, v85
	v_pk_fma_f16 v134, v12, v24, v134
	v_pk_fma_f16 v135, v12, v144, v135
	v_pk_fma_f16 v136, v12, v25, v136
	v_pk_fma_f16 v10, v12, v145, v10
	v_pk_fma_f16 v12, v13, v22, v137
	v_pk_fma_f16 v11, v13, v11, v138
	v_pk_fma_f16 v22, v13, v23, v139
	v_pk_fma_f16 v23, v13, v143, v140
	v_pk_fma_f16 v24, v13, v24, v31
	v_pk_fma_f16 v31, v13, v144, v141
	v_pk_fma_f16 v25, v13, v25, v142
	v_pk_fma_f16 v9, v13, v145, v9
	v_dual_lshrrev_b32 v13, 16, v32 :: v_dual_lshrrev_b32 v137, 16, v33
	v_and_b32_e32 v32, 0xffff, v32
	v_dual_lshrrev_b32 v138, 16, v34 :: v_dual_lshrrev_b32 v139, 16, v35
	v_and_b32_e32 v33, 0xffff, v33
	v_and_b32_e32 v34, 0xffff, v34
	v_and_b32_e32 v35, 0xffff, v35
	v_mul_u32_u24_e32 v32, 0x10001, v32
	v_mul_u32_u24_e32 v13, 0x10001, v13
	v_mul_u32_u24_e32 v33, 0x10001, v33
	v_mul_u32_u24_e32 v137, 0x10001, v137
	v_mul_u32_u24_e32 v34, 0x10001, v34
	v_mul_u32_u24_e32 v138, 0x10001, v138
	v_mul_u32_u24_e32 v35, 0x10001, v35
	v_mul_u32_u24_e32 v139, 0x10001, v139
	v_pk_fma_f16 v140, v14, v32, v146
	v_pk_fma_f16 v141, v14, v13, v147
	v_pk_fma_f16 v142, v14, v33, v148
	v_pk_fma_f16 v85, v14, v137, v85
	v_pk_fma_f16 v134, v14, v34, v134
	v_pk_fma_f16 v135, v14, v138, v135
	;; [unrolled: 30-line block ×9, first 2 shown]
	v_pk_fma_f16 v88, v16, v36, v88
	v_pk_fma_f16 v16, v16, v33, v10
	;; [unrolled: 1-line block ×3, first 2 shown]
	v_lshrrev_b32_e32 v10, 16, v122
	v_and_b32_e32 v11, 0xffff, v122
	v_pk_fma_f16 v25, v17, v25, v12
	v_pk_fma_f16 v34, v17, v34, v13
	v_pk_fma_f16 v22, v17, v32, v22
	v_pk_fma_f16 v9, v17, v33, v9
	v_dual_lshrrev_b32 v12, 16, v123 :: v_dual_lshrrev_b32 v13, 16, v124
	v_mul_u32_u24_e32 v32, 0x10001, v11
	v_and_b32_e32 v11, 0xffff, v124
	v_mul_u32_u24_e32 v33, 0x10001, v10
	v_and_b32_e32 v10, 0xffff, v125
	v_pk_fma_f16 v14, v17, v31, v14
	v_pk_fma_f16 v15, v17, v35, v15
	;; [unrolled: 1-line block ×3, first 2 shown]
	v_lshrrev_b32_e32 v17, 16, v125
	v_mul_u32_u24_e32 v35, 0x10001, v12
	v_mul_u32_u24_e32 v36, 0x10001, v11
	;; [unrolled: 1-line block ×4, first 2 shown]
	s_wait_loadcnt 0x1
	ds_store_b128 v81, v[126:129]
	s_wait_loadcnt 0x0
	ds_store_b128 v82, v[130:133]
	s_wait_dscnt 0x0
	s_barrier_signal -1
	s_barrier_wait -1
	ds_load_b128 v[10:13], v80 offset:512
	v_and_b32_e32 v31, 0xffff, v123
	v_mul_u32_u24_e32 v17, 0x10001, v17
	v_pk_fma_f16 v91, v18, v32, v37
	v_pk_fma_f16 v92, v18, v33, v38
	;; [unrolled: 1-line block ×3, first 2 shown]
	v_mul_u32_u24_e32 v31, 0x10001, v31
	v_pk_fma_f16 v86, v18, v36, v86
	v_pk_fma_f16 v87, v18, v89, v87
	;; [unrolled: 1-line block ×13, first 2 shown]
	ds_load_2addr_b64 v[14:17], v83 offset1:32
	ds_load_b128 v[22:25], v80 offset:528
	ds_load_b128 v[32:35], v80 offset:544
	;; [unrolled: 1-line block ×3, first 2 shown]
	s_wait_dscnt 0x4
	v_dual_lshrrev_b32 v19, 16, v10 :: v_dual_lshrrev_b32 v98, 16, v11
	v_and_b32_e32 v10, 0xffff, v10
	v_dual_lshrrev_b32 v99, 16, v12 :: v_dual_lshrrev_b32 v100, 16, v13
	v_and_b32_e32 v11, 0xffff, v11
	v_and_b32_e32 v12, 0xffff, v12
	;; [unrolled: 1-line block ×3, first 2 shown]
	v_mul_u32_u24_e32 v10, 0x10001, v10
	v_mul_u32_u24_e32 v19, 0x10001, v19
	;; [unrolled: 1-line block ×8, first 2 shown]
	s_wait_dscnt 0x3
	v_pk_fma_f16 v91, v14, v10, v91
	v_pk_fma_f16 v92, v14, v19, v92
	;; [unrolled: 1-line block ×16, first 2 shown]
	s_wait_dscnt 0x2
	v_lshrrev_b32_e32 v13, 16, v22
	v_and_b32_e32 v15, 0xffff, v22
	v_dual_lshrrev_b32 v22, 16, v23 :: v_dual_lshrrev_b32 v90, 16, v24
	v_lshrrev_b32_e32 v94, 16, v25
	v_and_b32_e32 v23, 0xffff, v23
	v_and_b32_e32 v24, 0xffff, v24
	;; [unrolled: 1-line block ×3, first 2 shown]
	v_mul_u32_u24_e32 v15, 0x10001, v15
	v_mul_u32_u24_e32 v13, 0x10001, v13
	;; [unrolled: 1-line block ×8, first 2 shown]
	v_pk_fma_f16 v91, v16, v15, v91
	v_pk_fma_f16 v92, v16, v13, v92
	;; [unrolled: 1-line block ×13, first 2 shown]
	ds_load_2addr_b64 v[10:13], v83 offset0:64 offset1:96
	v_pk_fma_f16 v23, v17, v90, v31
	v_pk_fma_f16 v24, v17, v25, v89
	;; [unrolled: 1-line block ×3, first 2 shown]
	s_wait_dscnt 0x2
	v_dual_lshrrev_b32 v17, 16, v32 :: v_dual_lshrrev_b32 v31, 16, v33
	v_and_b32_e32 v25, 0xffff, v32
	v_dual_lshrrev_b32 v32, 16, v34 :: v_dual_lshrrev_b32 v89, 16, v35
	v_and_b32_e32 v33, 0xffff, v33
	v_and_b32_e32 v34, 0xffff, v34
	;; [unrolled: 1-line block ×3, first 2 shown]
	v_mul_u32_u24_e32 v25, 0x10001, v25
	v_mul_u32_u24_e32 v17, 0x10001, v17
	;; [unrolled: 1-line block ×8, first 2 shown]
	s_wait_dscnt 0x0
	v_pk_fma_f16 v90, v10, v25, v91
	v_pk_fma_f16 v91, v10, v17, v92
	;; [unrolled: 1-line block ×8, first 2 shown]
	v_and_b32_e32 v14, 0xffff, v36
	v_pk_fma_f16 v25, v11, v25, v15
	v_pk_fma_f16 v93, v11, v17, v16
	;; [unrolled: 1-line block ×8, first 2 shown]
	v_dual_lshrrev_b32 v11, 16, v36 :: v_dual_lshrrev_b32 v15, 16, v37
	v_dual_lshrrev_b32 v16, 16, v38 :: v_dual_lshrrev_b32 v24, 16, v39
	v_and_b32_e32 v17, 0xffff, v37
	v_mul_u32_u24_e32 v32, 0x10001, v14
	v_and_b32_e32 v14, 0xffff, v38
	v_and_b32_e32 v33, 0xffff, v39
	v_mul_u32_u24_e32 v35, 0x10001, v15
	v_mul_u32_u24_e32 v34, 0x10001, v17
	;; [unrolled: 1-line block ×4, first 2 shown]
	ds_load_b128 v[14:17], v80 offset:576
	v_mul_u32_u24_e32 v11, 0x10001, v11
	v_mul_u32_u24_e32 v33, 0x10001, v33
	;; [unrolled: 1-line block ×3, first 2 shown]
	v_pk_fma_f16 v39, v12, v32, v90
	v_pk_fma_f16 v90, v12, v34, v92
	;; [unrolled: 1-line block ×14, first 2 shown]
	ds_load_2addr_b64 v[22:25], v83 offset0:128 offset1:160
	v_pk_fma_f16 v31, v13, v33, v31
	v_pk_fma_f16 v9, v13, v38, v9
	ds_load_b128 v[10:13], v80 offset:592
	s_wait_dscnt 0x2
	v_dual_lshrrev_b32 v37, 16, v16 :: v_dual_lshrrev_b32 v38, 16, v17
	v_and_b32_e32 v17, 0xffff, v17
	v_dual_lshrrev_b32 v33, 16, v14 :: v_dual_lshrrev_b32 v36, 16, v15
	v_and_b32_e32 v14, 0xffff, v14
	v_and_b32_e32 v15, 0xffff, v15
	;; [unrolled: 1-line block ×3, first 2 shown]
	v_mul_u32_u24_e32 v17, 0x10001, v17
	v_mul_u32_u24_e32 v33, 0x10001, v33
	;; [unrolled: 1-line block ×8, first 2 shown]
	s_wait_dscnt 0x1
	v_pk_fma_f16 v88, v22, v17, v88
	v_pk_fma_f16 v31, v23, v17, v31
	;; [unrolled: 1-line block ×3, first 2 shown]
	s_wait_dscnt 0x0
	v_lshrrev_b32_e32 v17, 16, v10
	v_and_b32_e32 v10, 0xffff, v10
	v_pk_fma_f16 v89, v22, v33, v89
	v_pk_fma_f16 v90, v22, v15, v90
	;; [unrolled: 1-line block ×10, first 2 shown]
	v_dual_lshrrev_b32 v23, 16, v11 :: v_dual_lshrrev_b32 v33, 16, v12
	v_lshrrev_b32_e32 v34, 16, v13
	v_and_b32_e32 v11, 0xffff, v11
	v_mul_u32_u24_e32 v35, 0x10001, v10
	v_and_b32_e32 v10, 0xffff, v12
	v_and_b32_e32 v12, 0xffff, v13
	v_pk_fma_f16 v85, v22, v36, v85
	v_pk_fma_f16 v87, v22, v37, v87
	;; [unrolled: 1-line block ×3, first 2 shown]
	v_mul_u32_u24_e32 v36, 0x10001, v11
	v_mul_u32_u24_e32 v37, 0x10001, v10
	;; [unrolled: 1-line block ×3, first 2 shown]
	ds_load_b128 v[10:13], v80 offset:608
	v_mul_u32_u24_e32 v17, 0x10001, v17
	v_mul_u32_u24_e32 v23, 0x10001, v23
	;; [unrolled: 1-line block ×4, first 2 shown]
	v_pk_fma_f16 v39, v24, v35, v39
	v_pk_fma_f16 v89, v24, v17, v89
	;; [unrolled: 1-line block ×14, first 2 shown]
	ds_load_2addr_b64 v[14:17], v83 offset0:192 offset1:224
	v_pk_fma_f16 v31, v25, v38, v31
	v_pk_fma_f16 v9, v25, v34, v9
	ds_load_b128 v[22:25], v80 offset:624
	s_wait_dscnt 0x2
	v_dual_lshrrev_b32 v33, 16, v10 :: v_dual_lshrrev_b32 v34, 16, v11
	v_and_b32_e32 v10, 0xffff, v10
	v_and_b32_e32 v11, 0xffff, v11
	v_dual_lshrrev_b32 v38, 16, v12 :: v_dual_lshrrev_b32 v92, 16, v13
	v_and_b32_e32 v12, 0xffff, v12
	s_delay_alu instid0(VALU_DEP_4)
	v_mul_u32_u24_e32 v10, 0x10001, v10
	v_mul_u32_u24_e32 v33, 0x10001, v33
	v_and_b32_e32 v13, 0xffff, v13
	v_mul_u32_u24_e32 v11, 0x10001, v11
	v_mul_u32_u24_e32 v34, 0x10001, v34
	;; [unrolled: 1-line block ×6, first 2 shown]
	s_wait_dscnt 0x1
	v_pk_fma_f16 v39, v14, v10, v39
	v_pk_fma_f16 v89, v14, v33, v89
	;; [unrolled: 1-line block ×6, first 2 shown]
	s_wait_dscnt 0x0
	v_lshrrev_b32_e32 v10, 16, v22
	v_and_b32_e32 v11, 0xffff, v22
	v_pk_fma_f16 v85, v14, v34, v85
	v_pk_fma_f16 v86, v14, v12, v86
	;; [unrolled: 1-line block ×6, first 2 shown]
	v_dual_lshrrev_b32 v12, 16, v23 :: v_dual_lshrrev_b32 v13, 16, v24
	v_and_b32_e32 v22, 0xffff, v23
	v_mul_u32_u24_e32 v23, 0x10001, v11
	v_and_b32_e32 v11, 0xffff, v24
	v_mul_u32_u24_e32 v24, 0x10001, v10
	v_and_b32_e32 v10, 0xffff, v25
	v_pk_fma_f16 v87, v14, v38, v87
	v_pk_fma_f16 v19, v15, v38, v19
	;; [unrolled: 1-line block ×3, first 2 shown]
	v_lshrrev_b32_e32 v15, 16, v25
	v_mul_u32_u24_e32 v25, 0x10001, v12
	v_mul_u32_u24_e32 v36, 0x10001, v11
	;; [unrolled: 1-line block ×4, first 2 shown]
	ds_load_b128 v[10:13], v80 offset:640
	v_pk_fma_f16 v14, v14, v92, v91
	v_mul_u32_u24_e32 v22, 0x10001, v22
	v_mul_u32_u24_e32 v15, 0x10001, v15
	v_pk_fma_f16 v39, v16, v23, v39
	v_pk_fma_f16 v89, v16, v24, v89
	;; [unrolled: 1-line block ×14, first 2 shown]
	ds_load_2addr_b64 v[22:25], v20 offset1:32
	v_pk_fma_f16 v31, v17, v38, v31
	v_pk_fma_f16 v9, v17, v15, v9
	ds_load_b128 v[14:17], v80 offset:656
	s_wait_dscnt 0x2
	v_dual_lshrrev_b32 v36, 16, v10 :: v_dual_lshrrev_b32 v37, 16, v11
	v_and_b32_e32 v10, 0xffff, v10
	v_and_b32_e32 v11, 0xffff, v11
	v_dual_lshrrev_b32 v38, 16, v12 :: v_dual_lshrrev_b32 v92, 16, v13
	v_and_b32_e32 v12, 0xffff, v12
	s_delay_alu instid0(VALU_DEP_4)
	v_mul_u32_u24_e32 v10, 0x10001, v10
	v_and_b32_e32 v13, 0xffff, v13
	v_mul_u32_u24_e32 v11, 0x10001, v11
	v_mul_u32_u24_e32 v36, 0x10001, v36
	;; [unrolled: 1-line block ×7, first 2 shown]
	s_wait_dscnt 0x1
	v_pk_fma_f16 v39, v22, v10, v39
	v_pk_fma_f16 v90, v22, v11, v90
	;; [unrolled: 1-line block ×4, first 2 shown]
	s_wait_dscnt 0x0
	v_lshrrev_b32_e32 v10, 16, v14
	v_and_b32_e32 v11, 0xffff, v14
	v_pk_fma_f16 v86, v22, v12, v86
	v_pk_fma_f16 v88, v22, v13, v88
	;; [unrolled: 1-line block ×8, first 2 shown]
	v_dual_lshrrev_b32 v12, 16, v15 :: v_dual_lshrrev_b32 v13, 16, v16
	v_lshrrev_b32_e32 v14, 16, v17
	v_mul_u32_u24_e32 v23, 0x10001, v11
	v_and_b32_e32 v11, 0xffff, v16
	v_mul_u32_u24_e32 v16, 0x10001, v10
	v_and_b32_e32 v10, 0xffff, v17
	v_pk_fma_f16 v89, v22, v36, v89
	v_pk_fma_f16 v85, v22, v37, v85
	;; [unrolled: 1-line block ×3, first 2 shown]
	v_and_b32_e32 v15, 0xffff, v15
	v_mul_u32_u24_e32 v17, 0x10001, v12
	v_mul_u32_u24_e32 v36, 0x10001, v11
	;; [unrolled: 1-line block ×4, first 2 shown]
	ds_load_b128 v[10:13], v80 offset:672
	v_pk_fma_f16 v22, v22, v92, v91
	v_mul_u32_u24_e32 v15, 0x10001, v15
	v_mul_u32_u24_e32 v91, 0x10001, v14
	v_pk_fma_f16 v39, v24, v23, v39
	v_pk_fma_f16 v89, v24, v16, v89
	;; [unrolled: 1-line block ×14, first 2 shown]
	ds_load_2addr_b64 v[14:17], v20 offset0:64 offset1:96
	v_pk_fma_f16 v31, v25, v38, v31
	v_pk_fma_f16 v9, v25, v91, v9
	ds_load_b128 v[22:25], v80 offset:688
	s_wait_dscnt 0x2
	v_dual_lshrrev_b32 v36, 16, v10 :: v_dual_lshrrev_b32 v37, 16, v11
	v_and_b32_e32 v10, 0xffff, v10
	v_and_b32_e32 v11, 0xffff, v11
	v_dual_lshrrev_b32 v38, 16, v12 :: v_dual_lshrrev_b32 v91, 16, v13
	v_and_b32_e32 v12, 0xffff, v12
	s_delay_alu instid0(VALU_DEP_4)
	v_mul_u32_u24_e32 v10, 0x10001, v10
	v_and_b32_e32 v13, 0xffff, v13
	v_mul_u32_u24_e32 v11, 0x10001, v11
	v_mul_u32_u24_e32 v36, 0x10001, v36
	;; [unrolled: 1-line block ×7, first 2 shown]
	s_wait_dscnt 0x1
	v_pk_fma_f16 v39, v14, v10, v39
	v_pk_fma_f16 v90, v14, v11, v90
	v_pk_fma_f16 v35, v15, v10, v35
	v_pk_fma_f16 v33, v15, v11, v33
	s_wait_dscnt 0x0
	v_lshrrev_b32_e32 v10, 16, v22
	v_and_b32_e32 v11, 0xffff, v22
	v_pk_fma_f16 v86, v14, v12, v86
	v_pk_fma_f16 v88, v14, v13, v88
	;; [unrolled: 1-line block ×4, first 2 shown]
	v_dual_lshrrev_b32 v12, 16, v23 :: v_dual_lshrrev_b32 v13, 16, v24
	v_and_b32_e32 v22, 0xffff, v23
	v_mul_u32_u24_e32 v23, 0x10001, v11
	v_and_b32_e32 v11, 0xffff, v24
	v_mul_u32_u24_e32 v24, 0x10001, v10
	v_and_b32_e32 v10, 0xffff, v25
	v_pk_fma_f16 v89, v14, v36, v89
	v_pk_fma_f16 v85, v14, v37, v85
	;; [unrolled: 1-line block ×7, first 2 shown]
	v_lshrrev_b32_e32 v15, 16, v25
	v_mul_u32_u24_e32 v25, 0x10001, v12
	v_mul_u32_u24_e32 v36, 0x10001, v11
	;; [unrolled: 1-line block ×4, first 2 shown]
	ds_load_b128 v[10:13], v80 offset:704
	v_pk_fma_f16 v14, v14, v91, v92
	v_mul_u32_u24_e32 v22, 0x10001, v22
	v_mul_u32_u24_e32 v15, 0x10001, v15
	v_pk_fma_f16 v39, v16, v23, v39
	v_pk_fma_f16 v89, v16, v24, v89
	;; [unrolled: 1-line block ×14, first 2 shown]
	ds_load_2addr_b64 v[22:25], v20 offset0:128 offset1:160
	v_pk_fma_f16 v31, v17, v38, v31
	v_pk_fma_f16 v9, v17, v15, v9
	ds_load_b128 v[14:17], v80 offset:720
	s_wait_dscnt 0x2
	v_dual_lshrrev_b32 v36, 16, v10 :: v_dual_lshrrev_b32 v37, 16, v11
	v_and_b32_e32 v10, 0xffff, v10
	v_and_b32_e32 v11, 0xffff, v11
	v_dual_lshrrev_b32 v38, 16, v12 :: v_dual_lshrrev_b32 v92, 16, v13
	v_and_b32_e32 v12, 0xffff, v12
	s_delay_alu instid0(VALU_DEP_4)
	v_mul_u32_u24_e32 v10, 0x10001, v10
	v_and_b32_e32 v13, 0xffff, v13
	v_mul_u32_u24_e32 v11, 0x10001, v11
	v_mul_u32_u24_e32 v36, 0x10001, v36
	v_mul_u32_u24_e32 v37, 0x10001, v37
	v_mul_u32_u24_e32 v12, 0x10001, v12
	v_mul_u32_u24_e32 v38, 0x10001, v38
	v_mul_u32_u24_e32 v13, 0x10001, v13
	v_mul_u32_u24_e32 v92, 0x10001, v92
	s_wait_dscnt 0x1
	v_pk_fma_f16 v39, v22, v10, v39
	v_pk_fma_f16 v90, v22, v11, v90
	;; [unrolled: 1-line block ×4, first 2 shown]
	s_wait_dscnt 0x0
	v_lshrrev_b32_e32 v10, 16, v14
	v_and_b32_e32 v11, 0xffff, v14
	v_pk_fma_f16 v86, v22, v12, v86
	v_pk_fma_f16 v88, v22, v13, v88
	v_pk_fma_f16 v32, v23, v36, v32
	v_pk_fma_f16 v18, v23, v37, v18
	v_pk_fma_f16 v34, v23, v12, v34
	v_pk_fma_f16 v19, v23, v38, v19
	v_pk_fma_f16 v31, v23, v13, v31
	v_pk_fma_f16 v9, v23, v92, v9
	v_dual_lshrrev_b32 v12, 16, v15 :: v_dual_lshrrev_b32 v13, 16, v16
	v_lshrrev_b32_e32 v14, 16, v17
	v_mul_u32_u24_e32 v23, 0x10001, v11
	v_and_b32_e32 v11, 0xffff, v16
	v_mul_u32_u24_e32 v16, 0x10001, v10
	v_and_b32_e32 v10, 0xffff, v17
	v_pk_fma_f16 v89, v22, v36, v89
	v_pk_fma_f16 v85, v22, v37, v85
	;; [unrolled: 1-line block ×3, first 2 shown]
	v_and_b32_e32 v15, 0xffff, v15
	v_mul_u32_u24_e32 v17, 0x10001, v12
	v_mul_u32_u24_e32 v36, 0x10001, v11
	;; [unrolled: 1-line block ×4, first 2 shown]
	ds_load_b128 v[10:13], v80 offset:736
	v_pk_fma_f16 v22, v22, v92, v91
	v_mul_u32_u24_e32 v15, 0x10001, v15
	v_mul_u32_u24_e32 v91, 0x10001, v14
	v_pk_fma_f16 v39, v24, v23, v39
	v_pk_fma_f16 v89, v24, v16, v89
	v_pk_fma_f16 v85, v24, v17, v85
	v_pk_fma_f16 v90, v24, v15, v90
	v_pk_fma_f16 v86, v24, v36, v86
	v_pk_fma_f16 v87, v24, v37, v87
	v_pk_fma_f16 v88, v24, v38, v88
	v_pk_fma_f16 v92, v24, v91, v22
	v_pk_fma_f16 v35, v25, v23, v35
	v_pk_fma_f16 v32, v25, v16, v32
	v_pk_fma_f16 v33, v25, v15, v33
	v_pk_fma_f16 v18, v25, v17, v18
	v_pk_fma_f16 v34, v25, v36, v34
	v_pk_fma_f16 v19, v25, v37, v19
	ds_load_2addr_b64 v[14:17], v20 offset0:192 offset1:224
	v_pk_fma_f16 v20, v25, v38, v31
	v_pk_fma_f16 v9, v25, v91, v9
	ds_load_b128 v[22:25], v80 offset:752
	s_wait_dscnt 0x2
	v_dual_lshrrev_b32 v31, 16, v10 :: v_dual_lshrrev_b32 v36, 16, v11
	v_and_b32_e32 v10, 0xffff, v10
	v_and_b32_e32 v11, 0xffff, v11
	v_dual_lshrrev_b32 v37, 16, v12 :: v_dual_lshrrev_b32 v38, 16, v13
	v_and_b32_e32 v12, 0xffff, v12
	s_delay_alu instid0(VALU_DEP_4)
	v_mul_u32_u24_e32 v10, 0x10001, v10
	v_mul_u32_u24_e32 v31, 0x10001, v31
	v_and_b32_e32 v13, 0xffff, v13
	v_mul_u32_u24_e32 v11, 0x10001, v11
	v_mul_u32_u24_e32 v12, 0x10001, v12
	;; [unrolled: 1-line block ×6, first 2 shown]
	s_wait_dscnt 0x1
	v_pk_fma_f16 v39, v14, v10, v39
	v_pk_fma_f16 v89, v14, v31, v89
	;; [unrolled: 1-line block ×6, first 2 shown]
	s_wait_dscnt 0x0
	v_lshrrev_b32_e32 v10, 16, v22
	v_and_b32_e32 v11, 0xffff, v22
	v_pk_fma_f16 v86, v14, v12, v86
	v_pk_fma_f16 v88, v14, v13, v88
	;; [unrolled: 1-line block ×4, first 2 shown]
	v_dual_lshrrev_b32 v12, 16, v23 :: v_dual_lshrrev_b32 v13, 16, v24
	v_and_b32_e32 v22, 0xffff, v23
	v_mul_u32_u24_e32 v23, 0x10001, v11
	v_and_b32_e32 v11, 0xffff, v24
	v_mul_u32_u24_e32 v24, 0x10001, v10
	v_and_b32_e32 v10, 0xffff, v25
	v_pk_fma_f16 v85, v14, v36, v85
	v_pk_fma_f16 v87, v14, v37, v87
	;; [unrolled: 1-line block ×5, first 2 shown]
	v_lshrrev_b32_e32 v15, 16, v25
	v_mul_u32_u24_e32 v25, 0x10001, v12
	v_mul_u32_u24_e32 v34, 0x10001, v11
	;; [unrolled: 1-line block ×4, first 2 shown]
	ds_load_b128 v[10:13], v80 offset:768
	v_pk_fma_f16 v14, v14, v38, v92
	v_mul_u32_u24_e32 v22, 0x10001, v22
	v_mul_u32_u24_e32 v15, 0x10001, v15
	v_pk_fma_f16 v38, v16, v23, v39
	v_pk_fma_f16 v39, v16, v24, v89
	;; [unrolled: 1-line block ×14, first 2 shown]
	ds_load_2addr_b64 v[22:25], v21 offset1:32
	v_pk_fma_f16 v20, v17, v37, v20
	v_pk_fma_f16 v9, v17, v15, v9
	ds_load_b128 v[14:17], v80 offset:784
	s_wait_dscnt 0x2
	v_dual_lshrrev_b32 v34, 16, v10 :: v_dual_lshrrev_b32 v36, 16, v11
	v_and_b32_e32 v10, 0xffff, v10
	v_and_b32_e32 v11, 0xffff, v11
	v_dual_lshrrev_b32 v37, 16, v12 :: v_dual_lshrrev_b32 v91, 16, v13
	v_and_b32_e32 v12, 0xffff, v12
	s_delay_alu instid0(VALU_DEP_4)
	v_mul_u32_u24_e32 v10, 0x10001, v10
	v_and_b32_e32 v13, 0xffff, v13
	v_mul_u32_u24_e32 v11, 0x10001, v11
	v_mul_u32_u24_e32 v34, 0x10001, v34
	;; [unrolled: 1-line block ×7, first 2 shown]
	s_wait_dscnt 0x1
	v_pk_fma_f16 v38, v22, v10, v38
	v_pk_fma_f16 v89, v22, v11, v89
	;; [unrolled: 1-line block ×4, first 2 shown]
	s_wait_dscnt 0x0
	v_lshrrev_b32_e32 v10, 16, v14
	v_and_b32_e32 v11, 0xffff, v14
	v_pk_fma_f16 v86, v22, v12, v86
	v_pk_fma_f16 v88, v22, v13, v88
	;; [unrolled: 1-line block ×8, first 2 shown]
	v_dual_lshrrev_b32 v12, 16, v15 :: v_dual_lshrrev_b32 v13, 16, v16
	v_lshrrev_b32_e32 v14, 16, v17
	v_mul_u32_u24_e32 v23, 0x10001, v11
	v_and_b32_e32 v11, 0xffff, v16
	v_mul_u32_u24_e32 v16, 0x10001, v10
	v_and_b32_e32 v10, 0xffff, v17
	v_pk_fma_f16 v39, v22, v34, v39
	v_pk_fma_f16 v85, v22, v36, v85
	;; [unrolled: 1-line block ×3, first 2 shown]
	v_and_b32_e32 v15, 0xffff, v15
	v_mul_u32_u24_e32 v17, 0x10001, v12
	v_mul_u32_u24_e32 v34, 0x10001, v11
	;; [unrolled: 1-line block ×4, first 2 shown]
	ds_load_b128 v[10:13], v80 offset:800
	v_pk_fma_f16 v22, v22, v91, v90
	v_mul_u32_u24_e32 v15, 0x10001, v15
	v_mul_u32_u24_e32 v90, 0x10001, v14
	v_pk_fma_f16 v38, v24, v23, v38
	v_pk_fma_f16 v39, v24, v16, v39
	;; [unrolled: 1-line block ×14, first 2 shown]
	ds_load_2addr_b64 v[14:17], v21 offset0:64 offset1:96
	v_pk_fma_f16 v20, v25, v37, v20
	v_pk_fma_f16 v9, v25, v90, v9
	ds_load_b128 v[22:25], v80 offset:816
	s_wait_dscnt 0x2
	v_dual_lshrrev_b32 v34, 16, v10 :: v_dual_lshrrev_b32 v36, 16, v11
	v_and_b32_e32 v10, 0xffff, v10
	v_and_b32_e32 v11, 0xffff, v11
	v_dual_lshrrev_b32 v37, 16, v12 :: v_dual_lshrrev_b32 v90, 16, v13
	v_and_b32_e32 v12, 0xffff, v12
	s_delay_alu instid0(VALU_DEP_4)
	v_mul_u32_u24_e32 v10, 0x10001, v10
	v_and_b32_e32 v13, 0xffff, v13
	v_mul_u32_u24_e32 v11, 0x10001, v11
	v_mul_u32_u24_e32 v34, 0x10001, v34
	v_mul_u32_u24_e32 v12, 0x10001, v12
	v_mul_u32_u24_e32 v36, 0x10001, v36
	v_mul_u32_u24_e32 v13, 0x10001, v13
	v_mul_u32_u24_e32 v37, 0x10001, v37
	v_mul_u32_u24_e32 v90, 0x10001, v90
	s_wait_dscnt 0x1
	v_pk_fma_f16 v38, v14, v10, v38
	v_pk_fma_f16 v89, v14, v11, v89
	v_pk_fma_f16 v35, v15, v10, v35
	v_pk_fma_f16 v32, v15, v11, v32
	s_wait_dscnt 0x0
	v_lshrrev_b32_e32 v10, 16, v22
	v_and_b32_e32 v11, 0xffff, v22
	v_pk_fma_f16 v86, v14, v12, v86
	v_pk_fma_f16 v88, v14, v13, v88
	;; [unrolled: 1-line block ×4, first 2 shown]
	v_dual_lshrrev_b32 v12, 16, v23 :: v_dual_lshrrev_b32 v13, 16, v24
	v_and_b32_e32 v22, 0xffff, v23
	v_mul_u32_u24_e32 v23, 0x10001, v11
	v_and_b32_e32 v11, 0xffff, v24
	v_mul_u32_u24_e32 v24, 0x10001, v10
	v_and_b32_e32 v10, 0xffff, v25
	v_pk_fma_f16 v39, v14, v34, v39
	v_pk_fma_f16 v85, v14, v36, v85
	;; [unrolled: 1-line block ×7, first 2 shown]
	v_lshrrev_b32_e32 v15, 16, v25
	v_mul_u32_u24_e32 v25, 0x10001, v12
	v_mul_u32_u24_e32 v34, 0x10001, v11
	v_mul_u32_u24_e32 v36, 0x10001, v13
	v_mul_u32_u24_e32 v37, 0x10001, v10
	ds_load_b128 v[10:13], v80 offset:832
	v_pk_fma_f16 v14, v14, v90, v91
	v_mul_u32_u24_e32 v22, 0x10001, v22
	v_mul_u32_u24_e32 v15, 0x10001, v15
	v_pk_fma_f16 v38, v16, v23, v38
	v_pk_fma_f16 v39, v16, v24, v39
	;; [unrolled: 1-line block ×14, first 2 shown]
	ds_load_2addr_b64 v[22:25], v21 offset0:128 offset1:160
	v_pk_fma_f16 v20, v17, v37, v20
	v_pk_fma_f16 v9, v17, v15, v9
	ds_load_b128 v[14:17], v80 offset:848
	s_wait_dscnt 0x2
	v_dual_lshrrev_b32 v34, 16, v10 :: v_dual_lshrrev_b32 v36, 16, v11
	v_and_b32_e32 v10, 0xffff, v10
	v_and_b32_e32 v11, 0xffff, v11
	v_dual_lshrrev_b32 v37, 16, v12 :: v_dual_lshrrev_b32 v91, 16, v13
	v_and_b32_e32 v12, 0xffff, v12
	s_delay_alu instid0(VALU_DEP_4)
	v_mul_u32_u24_e32 v10, 0x10001, v10
	v_and_b32_e32 v13, 0xffff, v13
	v_mul_u32_u24_e32 v11, 0x10001, v11
	v_mul_u32_u24_e32 v34, 0x10001, v34
	;; [unrolled: 1-line block ×7, first 2 shown]
	s_wait_dscnt 0x1
	v_pk_fma_f16 v38, v22, v10, v38
	v_pk_fma_f16 v89, v22, v11, v89
	;; [unrolled: 1-line block ×4, first 2 shown]
	s_wait_dscnt 0x0
	v_lshrrev_b32_e32 v10, 16, v14
	v_and_b32_e32 v11, 0xffff, v14
	v_pk_fma_f16 v86, v22, v12, v86
	v_pk_fma_f16 v88, v22, v13, v88
	;; [unrolled: 1-line block ×8, first 2 shown]
	v_dual_lshrrev_b32 v12, 16, v15 :: v_dual_lshrrev_b32 v13, 16, v16
	v_lshrrev_b32_e32 v14, 16, v17
	v_mul_u32_u24_e32 v23, 0x10001, v11
	v_and_b32_e32 v11, 0xffff, v16
	v_mul_u32_u24_e32 v16, 0x10001, v10
	v_and_b32_e32 v10, 0xffff, v17
	v_pk_fma_f16 v39, v22, v34, v39
	v_pk_fma_f16 v85, v22, v36, v85
	;; [unrolled: 1-line block ×3, first 2 shown]
	v_and_b32_e32 v15, 0xffff, v15
	v_mul_u32_u24_e32 v17, 0x10001, v12
	v_mul_u32_u24_e32 v34, 0x10001, v11
	;; [unrolled: 1-line block ×4, first 2 shown]
	ds_load_b128 v[10:13], v80 offset:864
	v_pk_fma_f16 v22, v22, v91, v90
	v_mul_u32_u24_e32 v15, 0x10001, v15
	v_mul_u32_u24_e32 v90, 0x10001, v14
	v_pk_fma_f16 v38, v24, v23, v38
	v_pk_fma_f16 v39, v24, v16, v39
	v_pk_fma_f16 v85, v24, v17, v85
	v_pk_fma_f16 v89, v24, v15, v89
	v_pk_fma_f16 v86, v24, v34, v86
	v_pk_fma_f16 v87, v24, v36, v87
	v_pk_fma_f16 v88, v24, v37, v88
	v_pk_fma_f16 v22, v24, v90, v22
	v_pk_fma_f16 v23, v25, v23, v35
	v_pk_fma_f16 v24, v25, v16, v31
	v_pk_fma_f16 v31, v25, v15, v32
	v_pk_fma_f16 v32, v25, v17, v18
	v_pk_fma_f16 v33, v25, v34, v33
	v_pk_fma_f16 v34, v25, v36, v19
	ds_load_2addr_b64 v[14:17], v21 offset0:192 offset1:224
	v_pk_fma_f16 v35, v25, v37, v20
	ds_load_b128 v[18:21], v80 offset:880
	v_pk_fma_f16 v9, v25, v90, v9
	s_wait_dscnt 0x2
	v_dual_lshrrev_b32 v25, 16, v10 :: v_dual_lshrrev_b32 v36, 16, v11
	v_and_b32_e32 v10, 0xffff, v10
	v_dual_lshrrev_b32 v37, 16, v12 :: v_dual_lshrrev_b32 v90, 16, v13
	v_and_b32_e32 v11, 0xffff, v11
	v_and_b32_e32 v12, 0xffff, v12
	;; [unrolled: 1-line block ×3, first 2 shown]
	v_mul_u32_u24_e32 v10, 0x10001, v10
	v_mul_u32_u24_e32 v25, 0x10001, v25
	v_mul_u32_u24_e32 v11, 0x10001, v11
	v_mul_u32_u24_e32 v36, 0x10001, v36
	v_mul_u32_u24_e32 v12, 0x10001, v12
	v_mul_u32_u24_e32 v37, 0x10001, v37
	v_mul_u32_u24_e32 v13, 0x10001, v13
	v_mul_u32_u24_e32 v90, 0x10001, v90
	s_wait_dscnt 0x1
	v_pk_fma_f16 v38, v14, v10, v38
	v_pk_fma_f16 v39, v14, v25, v39
	;; [unrolled: 1-line block ×11, first 2 shown]
	s_wait_dscnt 0x0
	v_lshrrev_b32_e32 v10, 16, v18
	v_and_b32_e32 v11, 0xffff, v18
	v_pk_fma_f16 v31, v15, v12, v33
	v_pk_fma_f16 v33, v15, v13, v35
	v_dual_lshrrev_b32 v12, 16, v19 :: v_dual_lshrrev_b32 v13, 16, v20
	v_and_b32_e32 v18, 0xffff, v19
	v_mul_u32_u24_e32 v19, 0x10001, v11
	v_and_b32_e32 v11, 0xffff, v20
	v_mul_u32_u24_e32 v20, 0x10001, v10
	v_and_b32_e32 v10, 0xffff, v21
	v_pk_fma_f16 v25, v15, v36, v32
	v_pk_fma_f16 v32, v15, v37, v34
	;; [unrolled: 1-line block ×3, first 2 shown]
	v_lshrrev_b32_e32 v15, 16, v21
	v_mul_u32_u24_e32 v21, 0x10001, v12
	v_mul_u32_u24_e32 v34, 0x10001, v11
	;; [unrolled: 1-line block ×4, first 2 shown]
	ds_load_b128 v[10:13], v80 offset:896
	v_mul_u32_u24_e32 v18, 0x10001, v18
	v_mul_u32_u24_e32 v15, 0x10001, v15
	v_pk_fma_f16 v37, v16, v19, v38
	v_pk_fma_f16 v38, v16, v20, v39
	;; [unrolled: 1-line block ×14, first 2 shown]
	ds_load_2addr_b64 v[18:21], v8 offset1:32
	v_pk_fma_f16 v33, v17, v36, v33
	v_pk_fma_f16 v9, v17, v15, v9
	ds_load_b128 v[14:17], v80 offset:912
	s_wait_dscnt 0x2
	v_dual_lshrrev_b32 v34, 16, v10 :: v_dual_lshrrev_b32 v35, 16, v11
	v_and_b32_e32 v10, 0xffff, v10
	v_and_b32_e32 v11, 0xffff, v11
	v_dual_lshrrev_b32 v36, 16, v12 :: v_dual_lshrrev_b32 v90, 16, v13
	v_and_b32_e32 v12, 0xffff, v12
	s_delay_alu instid0(VALU_DEP_4)
	v_mul_u32_u24_e32 v10, 0x10001, v10
	v_and_b32_e32 v13, 0xffff, v13
	v_mul_u32_u24_e32 v11, 0x10001, v11
	v_mul_u32_u24_e32 v34, 0x10001, v34
	;; [unrolled: 1-line block ×7, first 2 shown]
	s_wait_dscnt 0x1
	v_pk_fma_f16 v37, v18, v10, v37
	v_pk_fma_f16 v39, v18, v11, v39
	;; [unrolled: 1-line block ×4, first 2 shown]
	s_wait_dscnt 0x0
	v_lshrrev_b32_e32 v10, 16, v14
	v_and_b32_e32 v11, 0xffff, v14
	v_pk_fma_f16 v86, v18, v12, v86
	v_pk_fma_f16 v88, v18, v13, v88
	;; [unrolled: 1-line block ×8, first 2 shown]
	v_dual_lshrrev_b32 v12, 16, v15 :: v_dual_lshrrev_b32 v13, 16, v16
	v_lshrrev_b32_e32 v14, 16, v17
	v_mul_u32_u24_e32 v19, 0x10001, v11
	v_and_b32_e32 v11, 0xffff, v16
	v_mul_u32_u24_e32 v16, 0x10001, v10
	v_and_b32_e32 v10, 0xffff, v17
	v_pk_fma_f16 v38, v18, v34, v38
	v_pk_fma_f16 v85, v18, v35, v85
	;; [unrolled: 1-line block ×3, first 2 shown]
	v_and_b32_e32 v15, 0xffff, v15
	v_mul_u32_u24_e32 v17, 0x10001, v12
	v_mul_u32_u24_e32 v34, 0x10001, v11
	;; [unrolled: 1-line block ×4, first 2 shown]
	ds_load_b128 v[10:13], v80 offset:928
	v_pk_fma_f16 v18, v18, v90, v89
	v_mul_u32_u24_e32 v15, 0x10001, v15
	v_mul_u32_u24_e32 v89, 0x10001, v14
	v_pk_fma_f16 v37, v20, v19, v37
	v_pk_fma_f16 v38, v20, v16, v38
	;; [unrolled: 1-line block ×14, first 2 shown]
	ds_load_2addr_b64 v[14:17], v8 offset0:64 offset1:96
	v_pk_fma_f16 v33, v21, v36, v33
	v_pk_fma_f16 v9, v21, v89, v9
	ds_load_b128 v[18:21], v80 offset:944
	s_wait_dscnt 0x2
	v_dual_lshrrev_b32 v34, 16, v10 :: v_dual_lshrrev_b32 v35, 16, v11
	v_and_b32_e32 v10, 0xffff, v10
	v_and_b32_e32 v11, 0xffff, v11
	v_dual_lshrrev_b32 v36, 16, v12 :: v_dual_lshrrev_b32 v89, 16, v13
	v_and_b32_e32 v12, 0xffff, v12
	s_delay_alu instid0(VALU_DEP_4)
	v_mul_u32_u24_e32 v10, 0x10001, v10
	v_and_b32_e32 v13, 0xffff, v13
	v_mul_u32_u24_e32 v11, 0x10001, v11
	v_mul_u32_u24_e32 v34, 0x10001, v34
	;; [unrolled: 1-line block ×7, first 2 shown]
	s_wait_dscnt 0x1
	v_pk_fma_f16 v37, v14, v10, v37
	v_pk_fma_f16 v39, v14, v11, v39
	;; [unrolled: 1-line block ×4, first 2 shown]
	s_wait_dscnt 0x0
	v_lshrrev_b32_e32 v10, 16, v18
	v_and_b32_e32 v11, 0xffff, v18
	v_pk_fma_f16 v86, v14, v12, v86
	v_pk_fma_f16 v88, v14, v13, v88
	v_pk_fma_f16 v31, v15, v12, v31
	v_pk_fma_f16 v33, v15, v13, v33
	v_dual_lshrrev_b32 v12, 16, v19 :: v_dual_lshrrev_b32 v13, 16, v20
	v_and_b32_e32 v18, 0xffff, v19
	v_mul_u32_u24_e32 v19, 0x10001, v11
	v_and_b32_e32 v11, 0xffff, v20
	v_mul_u32_u24_e32 v20, 0x10001, v10
	v_and_b32_e32 v10, 0xffff, v21
	v_pk_fma_f16 v38, v14, v34, v38
	v_pk_fma_f16 v85, v14, v35, v85
	v_pk_fma_f16 v87, v14, v36, v87
	v_pk_fma_f16 v23, v15, v34, v23
	v_pk_fma_f16 v25, v15, v35, v25
	v_pk_fma_f16 v32, v15, v36, v32
	v_pk_fma_f16 v9, v15, v89, v9
	v_lshrrev_b32_e32 v15, 16, v21
	v_mul_u32_u24_e32 v21, 0x10001, v12
	v_mul_u32_u24_e32 v34, 0x10001, v11
	;; [unrolled: 1-line block ×4, first 2 shown]
	ds_load_b128 v[10:13], v80 offset:960
	v_pk_fma_f16 v14, v14, v89, v90
	v_mul_u32_u24_e32 v18, 0x10001, v18
	v_mul_u32_u24_e32 v15, 0x10001, v15
	v_pk_fma_f16 v37, v16, v19, v37
	v_pk_fma_f16 v38, v16, v20, v38
	;; [unrolled: 1-line block ×14, first 2 shown]
	ds_load_2addr_b64 v[18:21], v8 offset0:128 offset1:160
	v_pk_fma_f16 v33, v17, v36, v33
	v_pk_fma_f16 v9, v17, v15, v9
	ds_load_b128 v[14:17], v80 offset:976
	s_wait_dscnt 0x2
	v_dual_lshrrev_b32 v34, 16, v10 :: v_dual_lshrrev_b32 v35, 16, v11
	v_and_b32_e32 v10, 0xffff, v10
	v_and_b32_e32 v11, 0xffff, v11
	v_dual_lshrrev_b32 v36, 16, v12 :: v_dual_lshrrev_b32 v90, 16, v13
	v_and_b32_e32 v12, 0xffff, v12
	s_delay_alu instid0(VALU_DEP_4)
	v_mul_u32_u24_e32 v10, 0x10001, v10
	v_and_b32_e32 v13, 0xffff, v13
	v_mul_u32_u24_e32 v11, 0x10001, v11
	v_mul_u32_u24_e32 v34, 0x10001, v34
	;; [unrolled: 1-line block ×7, first 2 shown]
	s_wait_dscnt 0x1
	v_pk_fma_f16 v37, v18, v10, v37
	v_pk_fma_f16 v39, v18, v11, v39
	;; [unrolled: 1-line block ×4, first 2 shown]
	s_wait_dscnt 0x0
	v_lshrrev_b32_e32 v10, 16, v14
	v_and_b32_e32 v11, 0xffff, v14
	v_pk_fma_f16 v86, v18, v12, v86
	v_pk_fma_f16 v88, v18, v13, v88
	v_pk_fma_f16 v23, v19, v34, v23
	v_pk_fma_f16 v25, v19, v35, v25
	v_pk_fma_f16 v31, v19, v12, v31
	v_pk_fma_f16 v32, v19, v36, v32
	v_pk_fma_f16 v33, v19, v13, v33
	v_pk_fma_f16 v9, v19, v90, v9
	v_dual_lshrrev_b32 v12, 16, v15 :: v_dual_lshrrev_b32 v13, 16, v16
	v_lshrrev_b32_e32 v14, 16, v17
	v_mul_u32_u24_e32 v19, 0x10001, v11
	v_and_b32_e32 v11, 0xffff, v16
	v_mul_u32_u24_e32 v16, 0x10001, v10
	v_and_b32_e32 v10, 0xffff, v17
	v_pk_fma_f16 v38, v18, v34, v38
	v_pk_fma_f16 v85, v18, v35, v85
	;; [unrolled: 1-line block ×3, first 2 shown]
	v_and_b32_e32 v15, 0xffff, v15
	v_mul_u32_u24_e32 v17, 0x10001, v12
	v_mul_u32_u24_e32 v34, 0x10001, v11
	;; [unrolled: 1-line block ×4, first 2 shown]
	ds_load_b128 v[10:13], v80 offset:992
	v_pk_fma_f16 v18, v18, v90, v89
	v_mul_u32_u24_e32 v15, 0x10001, v15
	v_mul_u32_u24_e32 v89, 0x10001, v14
	v_pk_fma_f16 v37, v20, v19, v37
	v_pk_fma_f16 v38, v20, v16, v38
	;; [unrolled: 1-line block ×14, first 2 shown]
	ds_load_2addr_b64 v[14:17], v8 offset0:192 offset1:224
	v_pk_fma_f16 v8, v21, v36, v33
	v_pk_fma_f16 v9, v21, v89, v9
	ds_load_b128 v[18:21], v80 offset:1008
	s_wait_dscnt 0x0
	s_barrier_signal -1
	s_barrier_wait -1
	s_load_b32 s2, s[40:41], 0x4
	v_dual_lshrrev_b32 v33, 16, v10 :: v_dual_lshrrev_b32 v34, 16, v11
	v_and_b32_e32 v10, 0xffff, v10
	v_dual_lshrrev_b32 v35, 16, v12 :: v_dual_lshrrev_b32 v36, 16, v13
	v_and_b32_e32 v11, 0xffff, v11
	v_and_b32_e32 v12, 0xffff, v12
	;; [unrolled: 1-line block ×3, first 2 shown]
	v_mul_u32_u24_e32 v10, 0x10001, v10
	v_mul_u32_u24_e32 v33, 0x10001, v33
	;; [unrolled: 1-line block ×8, first 2 shown]
	v_pk_fma_f16 v37, v14, v10, v37
	v_pk_fma_f16 v39, v14, v11, v39
	;; [unrolled: 1-line block ×12, first 2 shown]
	v_lshrrev_b32_e32 v13, 16, v18
	v_and_b32_e32 v15, 0xffff, v18
	v_lshrrev_b32_e32 v18, 16, v19
	v_and_b32_e32 v19, 0xffff, v19
	v_dual_lshrrev_b32 v25, 16, v20 :: v_dual_lshrrev_b32 v31, 16, v21
	v_and_b32_e32 v20, 0xffff, v20
	v_and_b32_e32 v21, 0xffff, v21
	v_pk_fma_f16 v38, v14, v33, v38
	v_pk_fma_f16 v85, v14, v34, v85
	;; [unrolled: 1-line block ×4, first 2 shown]
	v_mul_u32_u24_e32 v15, 0x10001, v15
	v_mul_u32_u24_e32 v13, 0x10001, v13
	;; [unrolled: 1-line block ×8, first 2 shown]
	s_wait_kmcnt 0x0
	s_lshl_b32 s2, s2, 6
	v_pk_fma_f16 v99, v16, v15, v37
	v_pk_fma_f16 v98, v16, v13, v38
	v_pk_fma_f16 v96, v16, v19, v39
	v_pk_fma_f16 v94, v16, v18, v85
	v_pk_fma_f16 v92, v16, v20, v86
	v_pk_fma_f16 v90, v16, v25, v87
	v_pk_fma_f16 v87, v16, v21, v88
	v_pk_fma_f16 v85, v16, v31, v14
	v_pk_fma_f16 v100, v17, v15, v10
	v_pk_fma_f16 v97, v17, v13, v22
	v_pk_fma_f16 v95, v17, v19, v11
	v_pk_fma_f16 v93, v17, v18, v23
	v_pk_fma_f16 v91, v17, v20, v12
	v_pk_fma_f16 v89, v17, v25, v24
	v_pk_fma_f16 v88, v17, v21, v8
	v_pk_fma_f16 v86, v17, v31, v9
	s_add_co_i32 s14, s2, s14
	s_delay_alu instid0(SALU_CYCLE_1)
	s_cmp_ge_i32 s14, s34
	s_cbranch_scc1 .LBB75_75
; %bb.74:                               ;   in Loop: Header=BB75_9 Depth=1
	v_dual_mov_b32 v106, v0 :: v_dual_mov_b32 v108, v1
	v_dual_mov_b32 v107, v2 :: v_dual_mov_b32 v105, v3
	;; [unrolled: 1-line block ×4, first 2 shown]
	s_branch .LBB75_9
.LBB75_75:
	v_mov_b32_e32 v8, v74
.LBB75_76:
	v_cmp_lt_i32_e32 vcc_lo, v30, v73
	s_cmp_lg_u64 s[12:13], 0
	s_cselect_b32 s2, -1, 0
	s_cmp_eq_u32 s33, 0
	v_cndmask_b32_e32 v9, v8, v30, vcc_lo
	v_cmp_lt_i32_e32 vcc_lo, v29, v73
	s_cselect_b32 s3, -1, 0
	s_delay_alu instid0(SALU_CYCLE_1) | instskip(NEXT) | instid1(VALU_DEP_2)
	s_and_b32 s2, s3, s2
	v_lshlrev_b32_e32 v9, 2, v9
	ds_bpermute_b32 v10, v9, v46
	ds_bpermute_b32 v11, v9, v47
	;; [unrolled: 1-line block ×8, first 2 shown]
	v_cndmask_b32_e32 v9, v8, v29, vcc_lo
	v_cmp_lt_i32_e32 vcc_lo, v28, v73
	s_delay_alu instid0(VALU_DEP_2)
	v_lshlrev_b32_e32 v9, 2, v9
	s_wait_dscnt 0x6
	v_pk_add_f32 v[10:11], v[46:47], v[10:11]
	s_wait_dscnt 0x4
	v_pk_add_f32 v[12:13], v[44:45], v[12:13]
	;; [unrolled: 2-line block ×3, first 2 shown]
	ds_bpermute_b32 v18, v9, v10
	s_wait_dscnt 0x1
	v_pk_add_f32 v[16:17], v[40:41], v[16:17]
	ds_bpermute_b32 v19, v9, v11
	ds_bpermute_b32 v20, v9, v12
	;; [unrolled: 1-line block ×7, first 2 shown]
	v_cndmask_b32_e32 v9, v8, v28, vcc_lo
	v_cmp_lt_i32_e32 vcc_lo, v27, v73
	s_delay_alu instid0(VALU_DEP_2)
	v_lshlrev_b32_e32 v9, 2, v9
	s_wait_dscnt 0x6
	v_pk_add_f32 v[10:11], v[10:11], v[18:19]
	s_wait_dscnt 0x4
	v_pk_add_f32 v[12:13], v[12:13], v[20:21]
	s_wait_dscnt 0x2
	v_pk_add_f32 v[14:15], v[14:15], v[22:23]
	ds_bpermute_b32 v18, v9, v10
	s_wait_dscnt 0x1
	v_pk_add_f32 v[16:17], v[16:17], v[24:25]
	ds_bpermute_b32 v19, v9, v11
	ds_bpermute_b32 v20, v9, v12
	;; [unrolled: 1-line block ×7, first 2 shown]
	v_cndmask_b32_e32 v9, v8, v27, vcc_lo
	v_cmp_lt_i32_e32 vcc_lo, v26, v73
	s_delay_alu instid0(VALU_DEP_2) | instskip(SKIP_1) | instid1(VALU_DEP_1)
	v_dual_cndmask_b32 v8, v8, v26 :: v_dual_lshlrev_b32 v9, 2, v9
	s_and_b32 vcc_lo, exec_lo, s2
	v_lshlrev_b32_e32 v26, 2, v8
	s_wait_dscnt 0x6
	v_pk_add_f32 v[10:11], v[10:11], v[18:19]
	s_wait_dscnt 0x4
	v_pk_add_f32 v[12:13], v[12:13], v[20:21]
	;; [unrolled: 2-line block ×3, first 2 shown]
	ds_bpermute_b32 v18, v9, v10
	s_wait_dscnt 0x1
	v_pk_add_f32 v[16:17], v[16:17], v[24:25]
	ds_bpermute_b32 v19, v9, v11
	ds_bpermute_b32 v20, v9, v12
	;; [unrolled: 1-line block ×7, first 2 shown]
	s_wait_dscnt 0x6
	v_pk_add_f32 v[8:9], v[10:11], v[18:19]
	s_wait_dscnt 0x4
	v_pk_add_f32 v[10:11], v[12:13], v[20:21]
	s_wait_dscnt 0x2
	v_pk_add_f32 v[18:19], v[14:15], v[22:23]
	ds_bpermute_b32 v12, v26, v8
	s_wait_dscnt 0x1
	v_pk_add_f32 v[16:17], v[16:17], v[24:25]
	ds_bpermute_b32 v13, v26, v9
	ds_bpermute_b32 v20, v26, v10
	;; [unrolled: 1-line block ×7, first 2 shown]
	s_wait_dscnt 0x6
	v_pk_add_f32 v[14:15], v[8:9], v[12:13]
	s_wait_dscnt 0x4
	v_pk_add_f32 v[12:13], v[10:11], v[20:21]
	s_wait_dscnt 0x2
	v_pk_add_f32 v[10:11], v[18:19], v[22:23]
	s_wait_dscnt 0x0
	v_pk_add_f32 v[8:9], v[16:17], v[24:25]
	s_cbranch_vccz .LBB75_78
; %bb.77:
	s_ashr_i32 s29, s28, 31
	v_dual_mov_b32 v16, 0 :: v_dual_max_num_f32 v17, v1, v1
	s_lshl_b64 s[2:3], s[28:29], 2
	v_dual_max_num_f32 v19, v3, v3 :: v_dual_max_num_f32 v20, v4, v4
	s_add_nc_u64 s[2:3], s[12:13], s[2:3]
	v_max_num_f32_e32 v18, v2, v2
	global_load_b128 v[24:27], v16, s[2:3]
	s_wait_xcnt 0x0
	v_dual_max_num_f32 v16, v0, v0 :: v_dual_max_num_f32 v21, v5, v5
	s_wait_loadcnt 0x0
	v_dual_max_num_f32 v22, v6, v6 :: v_dual_max_num_f32 v23, v24, v24
	v_dual_max_num_f32 v28, v25, v25 :: v_dual_max_num_f32 v29, v26, v26
	v_max_num_f32_e32 v30, v27, v27
	v_max_num_f32_e32 v31, v7, v7
	s_delay_alu instid0(VALU_DEP_3) | instskip(NEXT) | instid1(VALU_DEP_3)
	v_dual_max_num_f32 v16, v16, v23 :: v_dual_max_num_f32 v17, v17, v28
	v_dual_max_num_f32 v18, v18, v29 :: v_dual_max_num_f32 v19, v19, v30
	s_delay_alu instid0(VALU_DEP_3) | instskip(NEXT) | instid1(VALU_DEP_3)
	v_dual_max_num_f32 v20, v20, v23 :: v_dual_max_num_f32 v23, v31, v30
	v_sub_f32_e32 v0, v0, v16
	v_dual_max_num_f32 v21, v21, v28 :: v_dual_max_num_f32 v22, v22, v29
	v_dual_sub_f32 v28, v24, v16 :: v_dual_sub_f32 v1, v1, v17
	v_dual_sub_f32 v29, v25, v17 :: v_dual_sub_f32 v30, v2, v18
	s_delay_alu instid0(VALU_DEP_4)
	v_dual_sub_f32 v41, v27, v23 :: v_dual_mul_f32 v2, 0x3fb8aa3b, v0
	v_dual_sub_f32 v31, v26, v18 :: v_dual_sub_f32 v32, v3, v19
	v_dual_sub_f32 v35, v24, v20 :: v_dual_sub_f32 v36, v5, v21
	v_mul_f32_e32 v3, 0x3fb8aa3b, v28
	v_mul_f32_e32 v5, 0x3fb8aa3b, v29
	v_fma_f32 v48, 0x3fb8aa3b, v0, -v2
	v_rndne_f32_e32 v49, v2
	v_dual_sub_f32 v33, v27, v19 :: v_dual_sub_f32 v34, v4, v20
	v_dual_sub_f32 v37, v25, v21 :: v_dual_sub_f32 v38, v6, v22
	;; [unrolled: 1-line block ×3, first 2 shown]
	v_mul_f32_e32 v4, 0x3fb8aa3b, v1
	v_dual_mul_f32 v6, 0x3fb8aa3b, v30 :: v_dual_mul_f32 v7, 0x3fb8aa3b, v31
	v_mul_f32_e32 v24, 0x3fb8aa3b, v32
	v_fma_f32 v50, 0x3fb8aa3b, v28, -v3
	v_rndne_f32_e32 v51, v3
	v_rndne_f32_e32 v55, v5
	v_fmac_f32_e32 v48, 0x32a5705f, v0
	v_sub_f32_e32 v2, v2, v49
	v_dual_mul_f32 v25, 0x3fb8aa3b, v33 :: v_dual_mul_f32 v26, 0x3fb8aa3b, v34
	v_dual_mul_f32 v27, 0x3fb8aa3b, v35 :: v_dual_mul_f32 v42, 0x3fb8aa3b, v36
	v_fma_f32 v52, 0x3fb8aa3b, v1, -v4
	v_rndne_f32_e32 v53, v4
	v_fma_f32 v54, 0x3fb8aa3b, v29, -v5
	v_fma_f32 v58, 0x3fb8aa3b, v31, -v7
	v_rndne_f32_e32 v59, v7
	v_dual_fmac_f32 v50, 0x32a5705f, v28 :: v_dual_sub_f32 v3, v3, v51
	v_sub_f32_e32 v5, v5, v55
	v_dual_mul_f32 v47, 0x3fb8aa3b, v41 :: v_dual_add_f32 v2, v2, v48
	v_dual_mul_f32 v43, 0x3fb8aa3b, v37 :: v_dual_mul_f32 v44, 0x3fb8aa3b, v38
	v_dual_mul_f32 v45, 0x3fb8aa3b, v39 :: v_dual_mul_f32 v46, 0x3fb8aa3b, v40
	v_fma_f32 v56, 0x3fb8aa3b, v30, -v6
	v_rndne_f32_e32 v57, v6
	v_fma_f32 v74, 0x3fb8aa3b, v33, -v25
	v_rndne_f32_e32 v75, v25
	v_rndne_f32_e32 v77, v26
	;; [unrolled: 1-line block ×3, first 2 shown]
	v_fmac_f32_e32 v52, 0x32a5705f, v1
	v_dual_sub_f32 v4, v4, v53 :: v_dual_sub_f32 v7, v7, v59
	v_dual_fmac_f32 v58, 0x32a5705f, v31 :: v_dual_add_f32 v3, v3, v50
	v_exp_f32_e32 v2, v2
	v_fma_f32 v72, 0x3fb8aa3b, v32, -v24
	v_rndne_f32_e32 v73, v24
	v_fma_f32 v78, 0x3fb8aa3b, v35, -v27
	v_fma_f32 v80, 0x3fb8aa3b, v36, -v42
	v_rndne_f32_e32 v81, v42
	v_rndne_f32_e32 v83, v43
	v_rndne_f32_e32 v103, v45
	v_rndne_f32_e32 v107, v47
	v_cvt_i32_f32_e32 v49, v49
	v_fmac_f32_e32 v54, 0x32a5705f, v29
	v_fmac_f32_e32 v56, 0x32a5705f, v30
	v_sub_f32_e32 v6, v6, v57
	v_dual_fmac_f32 v74, 0x32a5705f, v33 :: v_dual_add_f32 v7, v7, v58
	v_sub_f32_e32 v25, v25, v75
	v_fma_f32 v76, 0x3fb8aa3b, v34, -v26
	v_dual_sub_f32 v27, v27, v79 :: v_dual_sub_f32 v26, v26, v77
	v_add_f32_e32 v4, v4, v52
	v_exp_f32_e32 v3, v3
	v_fma_f32 v82, 0x3fb8aa3b, v37, -v43
	v_fma_f32 v102, 0x3fb8aa3b, v39, -v45
	;; [unrolled: 1-line block ×3, first 2 shown]
	v_cvt_i32_f32_e32 v51, v51
	v_dual_fmac_f32 v78, 0x32a5705f, v35 :: v_dual_add_f32 v25, v25, v74
	v_dual_fmac_f32 v80, 0x32a5705f, v36 :: v_dual_sub_f32 v43, v43, v83
	v_dual_fmac_f32 v72, 0x32a5705f, v32 :: v_dual_add_f32 v5, v5, v54
	v_sub_f32_e32 v45, v45, v103
	v_dual_sub_f32 v47, v47, v107 :: v_dual_sub_f32 v24, v24, v73
	v_add_f32_e32 v6, v6, v56
	v_sub_f32_e32 v42, v42, v81
	v_ldexp_f32 v2, v2, v49
	v_cmp_ngt_f32_e32 vcc_lo, 0xc2ce8ed0, v0
	v_exp_f32_e32 v4, v4
	v_cvt_i32_f32_e32 v53, v53
	v_dual_add_f32 v24, v24, v72 :: v_dual_add_f32 v27, v27, v78
	v_dual_add_f32 v42, v42, v80 :: v_dual_cndmask_b32 v2, 0, v2, vcc_lo
	v_ldexp_f32 v3, v3, v51
	v_cmp_ngt_f32_e32 vcc_lo, 0xc2ce8ed0, v28
	v_exp_f32_e32 v5, v5
	v_exp_f32_e32 v6, v6
	v_cvt_i32_f32_e32 v55, v55
	v_cvt_i32_f32_e32 v57, v57
	v_dual_fmac_f32 v76, 0x32a5705f, v34 :: v_dual_cndmask_b32 v3, 0, v3
	v_ldexp_f32 v4, v4, v53
	v_cmp_ngt_f32_e32 vcc_lo, 0xc2ce8ed0, v1
	v_fma_f32 v84, 0x3fb8aa3b, v38, -v44
	v_ldexp_f32 v5, v5, v55
	v_ldexp_f32 v6, v6, v57
	v_rndne_f32_e32 v101, v44
	v_cndmask_b32_e32 v4, 0, v4, vcc_lo
	v_cmp_ngt_f32_e32 vcc_lo, 0xc2ce8ed0, v29
	v_exp_f32_e32 v7, v7
	v_cvt_i32_f32_e32 v59, v59
	v_fmac_f32_e32 v84, 0x32a5705f, v38
	v_dual_sub_f32 v44, v44, v101 :: v_dual_add_f32 v26, v26, v76
	v_cndmask_b32_e32 v5, 0, v5, vcc_lo
	v_cmp_ngt_f32_e32 vcc_lo, 0xc2ce8ed0, v30
	v_exp_f32_e32 v24, v24
	v_cvt_i32_f32_e32 v73, v73
	v_ldexp_f32 v7, v7, v59
	v_exp_f32_e32 v25, v25
	v_cndmask_b32_e32 v6, 0, v6, vcc_lo
	v_cmp_ngt_f32_e32 vcc_lo, 0xc2ce8ed0, v31
	v_exp_f32_e32 v26, v26
	v_fma_f32 v104, 0x3fb8aa3b, v40, -v46
	v_rndne_f32_e32 v105, v46
	v_cvt_i32_f32_e32 v75, v75
	v_cvt_i32_f32_e32 v77, v77
	v_dual_fmac_f32 v106, 0x32a5705f, v41 :: v_dual_cndmask_b32 v7, 0, v7
	v_ldexp_f32 v24, v24, v73
	v_cmp_ngt_f32_e32 vcc_lo, 0xc2ce8ed0, v32
	s_delay_alu instid0(VALU_DEP_3)
	v_dual_fmac_f32 v104, 0x32a5705f, v40 :: v_dual_add_f32 v47, v47, v106
	v_dual_sub_f32 v46, v46, v105 :: v_dual_add_f32 v44, v44, v84
	v_ldexp_f32 v25, v25, v75
	v_ldexp_f32 v26, v26, v77
	v_cndmask_b32_e32 v24, 0, v24, vcc_lo
	v_cmp_ngt_f32_e32 vcc_lo, 0xc2ce8ed0, v33
	v_fmac_f32_e32 v102, 0x32a5705f, v39
	v_fmac_f32_e32 v82, 0x32a5705f, v37
	v_exp_f32_e32 v27, v27
	v_cvt_i32_f32_e32 v79, v79
	v_dual_add_f32 v46, v46, v104 :: v_dual_cndmask_b32 v25, 0, v25
	v_cmp_ngt_f32_e32 vcc_lo, 0xc2ce8ed0, v34
	v_add_f32_e32 v45, v45, v102
	v_add_f32_e32 v43, v43, v82
	v_exp_f32_e32 v42, v42
	v_cvt_i32_f32_e32 v81, v81
	v_ldexp_f32 v27, v27, v79
	v_cndmask_b32_e32 v26, 0, v26, vcc_lo
	v_cmp_ngt_f32_e32 vcc_lo, 0xc2ce8ed0, v35
	v_exp_f32_e32 v43, v43
	v_cvt_i32_f32_e32 v83, v83
	v_ldexp_f32 v42, v42, v81
	v_exp_f32_e32 v44, v44
	v_cndmask_b32_e32 v27, 0, v27, vcc_lo
	v_cmp_ngt_f32_e32 vcc_lo, 0xc2ce8ed0, v36
	v_cvt_i32_f32_e32 v101, v101
	v_ldexp_f32 v43, v43, v83
	v_exp_f32_e32 v45, v45
	v_cvt_i32_f32_e32 v103, v103
	v_cndmask_b32_e32 v42, 0, v42, vcc_lo
	v_cmp_ngt_f32_e32 vcc_lo, 0xc2ce8ed0, v37
	v_ldexp_f32 v44, v44, v101
	v_exp_f32_e32 v46, v46
	v_cvt_i32_f32_e32 v105, v105
	v_ldexp_f32 v45, v45, v103
	v_cndmask_b32_e32 v43, 0, v43, vcc_lo
	v_cmp_ngt_f32_e32 vcc_lo, 0xc2ce8ed0, v38
	v_exp_f32_e32 v47, v47
	v_cvt_i32_f32_e32 v107, v107
	v_ldexp_f32 v46, v46, v105
	v_cndmask_b32_e32 v44, 0, v44, vcc_lo
	v_cmp_ngt_f32_e32 vcc_lo, 0xc2ce8ed0, v39
	s_delay_alu instid0(TRANS32_DEP_1) | instid1(VALU_DEP_4)
	v_ldexp_f32 v47, v47, v107
	v_cndmask_b32_e32 v45, 0, v45, vcc_lo
	v_cmp_ngt_f32_e32 vcc_lo, 0xc2ce8ed0, v40
	v_cndmask_b32_e32 v46, 0, v46, vcc_lo
	v_cmp_ngt_f32_e32 vcc_lo, 0xc2ce8ed0, v41
	v_cndmask_b32_e32 v47, 0, v47, vcc_lo
	v_cmp_nlt_f32_e32 vcc_lo, 0x42b17218, v0
	v_cndmask_b32_e32 v0, 0x7f800000, v2, vcc_lo
	v_cmp_nlt_f32_e32 vcc_lo, 0x42b17218, v28
	;; [unrolled: 2-line block ×5, first 2 shown]
	s_delay_alu instid0(VALU_DEP_2)
	v_pk_fma_f32 v[14:15], v[14:15], v[0:1], v[2:3]
	v_cndmask_b32_e32 v4, 0x7f800000, v6, vcc_lo
	v_cmp_nlt_f32_e32 vcc_lo, 0x42b17218, v31
	v_cndmask_b32_e32 v6, 0x7f800000, v7, vcc_lo
	v_cmp_nlt_f32_e32 vcc_lo, 0x42b17218, v32
	v_cvt_f16_f32_e32 v32, v0
	v_cndmask_b32_e32 v5, 0x7f800000, v24, vcc_lo
	v_cmp_nlt_f32_e32 vcc_lo, 0x42b17218, v33
	v_cvt_f16_f32_e32 v33, v1
	s_delay_alu instid0(VALU_DEP_4)
	v_and_b32_e32 v0, 0xffff, v32
	v_cndmask_b32_e32 v7, 0x7f800000, v25, vcc_lo
	v_cmp_nlt_f32_e32 vcc_lo, 0x42b17218, v34
	v_cvt_f16_f32_e32 v34, v4
	v_and_b32_e32 v1, 0xffff, v33
	v_mul_u32_u24_e32 v0, 0x10001, v0
	v_pk_fma_f32 v[12:13], v[12:13], v[4:5], v[6:7]
	v_cndmask_b32_e32 v24, 0x7f800000, v26, vcc_lo
	v_cmp_nlt_f32_e32 vcc_lo, 0x42b17218, v35
	v_cvt_f16_f32_e32 v35, v5
	v_and_b32_e32 v2, 0xffff, v34
	v_mul_u32_u24_e32 v1, 0x10001, v1
	v_pk_mul_f16 v99, v99, v0
	v_cndmask_b32_e32 v26, 0x7f800000, v27, vcc_lo
	v_cmp_nlt_f32_e32 vcc_lo, 0x42b17218, v36
	v_cvt_f16_f32_e32 v36, v24
	v_and_b32_e32 v3, 0xffff, v35
	v_mul_u32_u24_e32 v2, 0x10001, v2
	v_pk_mul_f16 v100, v100, v0
	v_cndmask_b32_e32 v25, 0x7f800000, v42, vcc_lo
	v_cmp_nlt_f32_e32 vcc_lo, 0x42b17218, v37
	v_and_b32_e32 v4, 0xffff, v36
	v_mul_u32_u24_e32 v3, 0x10001, v3
	v_pk_mul_f16 v98, v98, v1
	v_cvt_f16_f32_e32 v37, v25
	v_cndmask_b32_e32 v27, 0x7f800000, v43, vcc_lo
	v_cmp_nlt_f32_e32 vcc_lo, 0x42b17218, v38
	v_mul_u32_u24_e32 v4, 0x10001, v4
	v_pk_mul_f16 v97, v97, v1
	v_and_b32_e32 v5, 0xffff, v37
	v_pk_mul_f16 v96, v96, v2
	v_cndmask_b32_e32 v28, 0x7f800000, v44, vcc_lo
	v_cmp_nlt_f32_e32 vcc_lo, 0x42b17218, v39
	v_pk_mul_f16 v95, v95, v2
	v_mul_u32_u24_e32 v5, 0x10001, v5
	v_pk_mul_f16 v94, v94, v3
	v_cvt_f16_f32_e32 v38, v28
	v_cndmask_b32_e32 v30, 0x7f800000, v45, vcc_lo
	v_cmp_nlt_f32_e32 vcc_lo, 0x42b17218, v40
	v_pk_mul_f16 v93, v93, v3
	v_pk_mul_f16 v92, v92, v4
	v_and_b32_e32 v6, 0xffff, v38
	v_pk_mul_f16 v91, v91, v4
	v_cndmask_b32_e32 v29, 0x7f800000, v46, vcc_lo
	v_cmp_nlt_f32_e32 vcc_lo, 0x42b17218, v41
	v_pk_mul_f16 v90, v90, v5
	v_mul_u32_u24_e32 v6, 0x10001, v6
	v_pk_mul_f16 v89, v89, v5
	v_cvt_f16_f32_e32 v39, v29
	v_cndmask_b32_e32 v31, 0x7f800000, v47, vcc_lo
	v_pk_fma_f32 v[10:11], v[10:11], v[24:25], v[26:27]
	v_pk_mul_f16 v87, v87, v6
	v_pk_mul_f16 v88, v88, v6
	v_and_b32_e32 v7, 0xffff, v39
	v_pk_fma_f32 v[8:9], v[8:9], v[28:29], v[30:31]
	s_delay_alu instid0(VALU_DEP_2) | instskip(NEXT) | instid1(VALU_DEP_1)
	v_mul_u32_u24_e32 v7, 0x10001, v7
	v_pk_mul_f16 v85, v85, v7
	v_pk_mul_f16 v86, v86, v7
	v_mov_b64_e32 v[0:1], v[16:17]
	v_mov_b64_e32 v[2:3], v[18:19]
	;; [unrolled: 1-line block ×4, first 2 shown]
.LBB75_78:
	s_mov_b32 s2, exec_lo
	v_cmpx_gt_i32_e64 s22, v70
	s_cbranch_execz .LBB75_115
; %bb.79:
	s_load_b32 s0, s[0:1], 0xd4
	v_mov_b32_e32 v16, 1.0
	s_wait_kmcnt 0x0
	s_cmp_lg_u32 s0, 1
	s_cselect_b32 s2, -1, 0
	s_cmp_eq_u32 s0, 1
	s_cselect_b32 s3, -1, 0
	s_and_b32 vcc_lo, exec_lo, s2
	s_cbranch_vccnz .LBB75_81
; %bb.80:
	v_div_scale_f32 v16, null, v14, v14, 1.0
	s_delay_alu instid0(VALU_DEP_1) | instskip(SKIP_1) | instid1(TRANS32_DEP_1)
	v_rcp_f32_e32 v17, v16
	v_nop
	v_fma_f32 v18, -v16, v17, 1.0
	s_delay_alu instid0(VALU_DEP_1) | instskip(SKIP_1) | instid1(VALU_DEP_1)
	v_fmac_f32_e32 v17, v18, v17
	v_div_scale_f32 v18, vcc_lo, 1.0, v14, 1.0
	v_mul_f32_e32 v19, v18, v17
	s_delay_alu instid0(VALU_DEP_1) | instskip(NEXT) | instid1(VALU_DEP_1)
	v_fma_f32 v20, -v16, v19, v18
	v_fmac_f32_e32 v19, v20, v17
	s_delay_alu instid0(VALU_DEP_1) | instskip(NEXT) | instid1(VALU_DEP_1)
	v_fma_f32 v16, -v16, v19, v18
	v_div_fmas_f32 v16, v16, v17, v19
	s_delay_alu instid0(VALU_DEP_1)
	v_div_fixup_f32 v16, v16, v14, 1.0
.LBB75_81:
	s_mul_i32 s1, s30, s22
	v_lshrrev_b32_e32 v25, 16, v100
	s_add_co_i32 s1, s1, s35
	v_cvt_f32_f16_e32 v20, v99
	v_dual_add_nc_u32 v17, s1, v69 :: v_dual_lshrrev_b32 v19, 16, v99
	v_cvt_f32_f16_e32 v24, v100
	v_cvt_f32_f16_e32 v25, v25
	v_cmp_eq_u32_e32 vcc_lo, 0, v71
	s_delay_alu instid0(VALU_DEP_4) | instskip(SKIP_3) | instid1(VALU_DEP_3)
	v_mul_lo_u32 v17, v17, s23
	v_cvt_f32_f16_e32 v21, v19
	v_mov_b32_e32 v23, 0
	s_and_b32 s2, vcc_lo, s2
	v_add_nc_u32_e32 v18, s28, v17
	s_delay_alu instid0(VALU_DEP_3) | instskip(NEXT) | instid1(VALU_DEP_2)
	v_pk_mul_f32 v[20:21], v[16:17], v[20:21] op_sel_hi:[0,1]
	v_mad_u32 v18, s0, v18, s33
	s_delay_alu instid0(VALU_DEP_1) | instskip(NEXT) | instid1(VALU_DEP_1)
	v_lshl_add_u32 v22, v18, 7, v68
	v_lshl_add_u64 v[26:27], v[22:23], 2, s[16:17]
	v_pk_mul_f32 v[22:23], v[16:17], v[24:25] op_sel_hi:[0,1]
	global_store_b128 v[26:27], v[20:23], off
	s_wait_xcnt 0x0
	s_and_saveexec_b32 s4, s2
	s_cbranch_execz .LBB75_83
; %bb.82:
	v_dual_mov_b32 v20, v0 :: v_dual_mov_b32 v21, v14
	global_store_b64 v18, v[20:21], s[18:19] scale_offset
.LBB75_83:
	s_wait_xcnt 0x0
	s_or_b32 exec_lo, exec_lo, s4
	v_cndmask_b32_e64 v16, 0, 1, s3
	v_mov_b32_e32 v0, 1.0
	s_and_not1_b32 vcc_lo, exec_lo, s3
	s_cbranch_vccnz .LBB75_85
; %bb.84:
	v_div_scale_f32 v0, null, v15, v15, 1.0
	s_delay_alu instid0(VALU_DEP_1) | instskip(SKIP_1) | instid1(TRANS32_DEP_1)
	v_rcp_f32_e32 v14, v0
	v_nop
	v_fma_f32 v18, -v0, v14, 1.0
	s_delay_alu instid0(VALU_DEP_1) | instskip(SKIP_1) | instid1(VALU_DEP_1)
	v_fmac_f32_e32 v14, v18, v14
	v_div_scale_f32 v18, vcc_lo, 1.0, v15, 1.0
	v_mul_f32_e32 v19, v18, v14
	s_delay_alu instid0(VALU_DEP_1) | instskip(NEXT) | instid1(VALU_DEP_1)
	v_fma_f32 v20, -v0, v19, v18
	v_fmac_f32_e32 v19, v20, v14
	s_delay_alu instid0(VALU_DEP_1) | instskip(NEXT) | instid1(VALU_DEP_1)
	v_fma_f32 v0, -v0, v19, v18
	v_div_fmas_f32 v0, v0, v14, v19
	s_delay_alu instid0(VALU_DEP_1)
	v_div_fixup_f32 v0, v0, v15, 1.0
.LBB75_85:
	s_add_co_i32 s5, s28, 1
	v_cvt_f32_f16_e32 v20, v98
	v_dual_mov_b32 v23, 0 :: v_dual_add_nc_u32 v14, s5, v17
	v_cvt_f32_f16_e32 v24, v97
	v_lshrrev_b32_e32 v19, 16, v97
	s_delay_alu instid0(VALU_DEP_3) | instskip(SKIP_1) | instid1(VALU_DEP_3)
	v_mad_u32 v18, s0, v14, s33
	v_lshrrev_b32_e32 v14, 16, v98
	v_cvt_f32_f16_e32 v25, v19
	s_delay_alu instid0(VALU_DEP_2) | instskip(NEXT) | instid1(VALU_DEP_1)
	v_cvt_f32_f16_e32 v21, v14
	v_pk_mul_f32 v[20:21], v[0:1], v[20:21] op_sel_hi:[0,1]
	v_lshl_add_u32 v22, v18, 7, v68
	s_delay_alu instid0(VALU_DEP_1)
	v_lshl_add_u64 v[26:27], v[22:23], 2, s[16:17]
	v_pk_mul_f32 v[22:23], v[0:1], v[24:25] op_sel_hi:[0,1]
	global_store_b128 v[26:27], v[20:23], off
	s_wait_xcnt 0x0
	s_and_saveexec_b32 s3, s2
	s_cbranch_execz .LBB75_87
; %bb.86:
	v_mov_b32_e32 v14, v1
	global_store_b64 v18, v[14:15], s[18:19] scale_offset
.LBB75_87:
	s_wait_xcnt 0x0
	s_or_b32 exec_lo, exec_lo, s3
	v_cmp_ne_u32_e32 vcc_lo, 1, v16
	v_mov_b32_e32 v0, 1.0
	s_cbranch_vccnz .LBB75_89
; %bb.88:
	v_div_scale_f32 v0, null, v12, v12, 1.0
	s_delay_alu instid0(VALU_DEP_1) | instskip(SKIP_1) | instid1(TRANS32_DEP_1)
	v_rcp_f32_e32 v1, v0
	v_nop
	v_fma_f32 v14, -v0, v1, 1.0
	s_delay_alu instid0(VALU_DEP_1) | instskip(SKIP_1) | instid1(VALU_DEP_1)
	v_fmac_f32_e32 v1, v14, v1
	v_div_scale_f32 v14, vcc_lo, 1.0, v12, 1.0
	v_mul_f32_e32 v15, v14, v1
	s_delay_alu instid0(VALU_DEP_1) | instskip(NEXT) | instid1(VALU_DEP_1)
	v_fma_f32 v18, -v0, v15, v14
	v_fmac_f32_e32 v15, v18, v1
	s_delay_alu instid0(VALU_DEP_1) | instskip(NEXT) | instid1(VALU_DEP_1)
	v_fma_f32 v0, -v0, v15, v14
	v_div_fmas_f32 v0, v0, v1, v15
	s_delay_alu instid0(VALU_DEP_1)
	v_div_fixup_f32 v0, v0, v12, 1.0
.LBB75_89:
	s_add_co_i32 s4, s28, 2
	v_dual_mov_b32 v15, 0 :: v_dual_lshrrev_b32 v21, 16, v95
	v_dual_add_nc_u32 v1, s4, v17 :: v_dual_lshrrev_b32 v14, 16, v96
	v_cvt_f32_f16_e32 v18, v96
	v_cvt_f32_f16_e32 v20, v95
	s_delay_alu instid0(VALU_DEP_4) | instskip(NEXT) | instid1(VALU_DEP_4)
	v_cvt_f32_f16_e32 v21, v21
	v_mad_u32 v1, s0, v1, s33
	v_cvt_f32_f16_e32 v19, v14
	s_delay_alu instid0(VALU_DEP_2) | instskip(NEXT) | instid1(VALU_DEP_2)
	v_lshl_add_u32 v14, v1, 7, v68
	v_pk_mul_f32 v[18:19], v[0:1], v[18:19] op_sel_hi:[0,1]
	v_pk_mul_f32 v[20:21], v[0:1], v[20:21] op_sel_hi:[0,1]
	s_delay_alu instid0(VALU_DEP_3)
	v_lshl_add_u64 v[14:15], v[14:15], 2, s[16:17]
	global_store_b128 v[14:15], v[18:21], off
	s_wait_xcnt 0x0
	s_and_saveexec_b32 s3, s2
	s_cbranch_execz .LBB75_91
; %bb.90:
	v_dual_mov_b32 v14, v2 :: v_dual_mov_b32 v15, v12
	global_store_b64 v1, v[14:15], s[18:19] scale_offset
.LBB75_91:
	s_wait_xcnt 0x0
	s_or_b32 exec_lo, exec_lo, s3
	v_cmp_ne_u32_e32 vcc_lo, 1, v16
	v_mov_b32_e32 v0, 1.0
	s_cbranch_vccnz .LBB75_93
; %bb.92:
	v_div_scale_f32 v0, null, v13, v13, 1.0
	s_delay_alu instid0(VALU_DEP_1) | instskip(SKIP_1) | instid1(TRANS32_DEP_1)
	v_rcp_f32_e32 v1, v0
	v_nop
	v_fma_f32 v2, -v0, v1, 1.0
	s_delay_alu instid0(VALU_DEP_1) | instskip(SKIP_1) | instid1(VALU_DEP_1)
	v_fmac_f32_e32 v1, v2, v1
	v_div_scale_f32 v2, vcc_lo, 1.0, v13, 1.0
	v_mul_f32_e32 v12, v2, v1
	s_delay_alu instid0(VALU_DEP_1) | instskip(NEXT) | instid1(VALU_DEP_1)
	v_fma_f32 v14, -v0, v12, v2
	v_fmac_f32_e32 v12, v14, v1
	s_delay_alu instid0(VALU_DEP_1) | instskip(NEXT) | instid1(VALU_DEP_1)
	v_fma_f32 v0, -v0, v12, v2
	v_div_fmas_f32 v0, v0, v1, v12
	s_delay_alu instid0(VALU_DEP_1)
	v_div_fixup_f32 v0, v0, v13, 1.0
.LBB75_93:
	s_add_co_i32 s3, s28, 3
	v_dual_mov_b32 v15, 0 :: v_dual_lshrrev_b32 v12, 16, v93
	v_dual_add_nc_u32 v1, s3, v17 :: v_dual_lshrrev_b32 v2, 16, v94
	v_cvt_f32_f16_e32 v18, v94
	v_cvt_f32_f16_e32 v20, v93
	s_delay_alu instid0(VALU_DEP_4) | instskip(NEXT) | instid1(VALU_DEP_4)
	v_cvt_f32_f16_e32 v21, v12
	v_mad_u32 v1, s0, v1, s33
	v_cvt_f32_f16_e32 v19, v2
	s_delay_alu instid0(VALU_DEP_2) | instskip(NEXT) | instid1(VALU_DEP_2)
	v_lshl_add_u32 v14, v1, 7, v68
	v_pk_mul_f32 v[18:19], v[0:1], v[18:19] op_sel_hi:[0,1]
	v_pk_mul_f32 v[20:21], v[0:1], v[20:21] op_sel_hi:[0,1]
	s_delay_alu instid0(VALU_DEP_3)
	v_lshl_add_u64 v[14:15], v[14:15], 2, s[16:17]
	global_store_b128 v[14:15], v[18:21], off
	s_wait_xcnt 0x0
	s_and_saveexec_b32 s6, s2
	s_cbranch_execz .LBB75_95
; %bb.94:
	v_mov_b32_e32 v12, v3
	global_store_b64 v1, v[12:13], s[18:19] scale_offset
.LBB75_95:
	s_wait_xcnt 0x0
	s_or_b32 exec_lo, exec_lo, s6
	v_cmp_gt_i32_e32 vcc_lo, s22, v67
	s_and_b32 exec_lo, exec_lo, vcc_lo
	s_cbranch_execz .LBB75_115
; %bb.96:
	v_cmp_ne_u32_e32 vcc_lo, 1, v16
	v_mov_b32_e32 v0, 1.0
	s_cbranch_vccnz .LBB75_98
; %bb.97:
	v_div_scale_f32 v0, null, v10, v10, 1.0
	s_delay_alu instid0(VALU_DEP_1) | instskip(SKIP_1) | instid1(TRANS32_DEP_1)
	v_rcp_f32_e32 v1, v0
	v_nop
	v_fma_f32 v2, -v0, v1, 1.0
	s_delay_alu instid0(VALU_DEP_1) | instskip(SKIP_1) | instid1(VALU_DEP_1)
	v_fmac_f32_e32 v1, v2, v1
	v_div_scale_f32 v2, vcc_lo, 1.0, v10, 1.0
	v_mul_f32_e32 v3, v2, v1
	s_delay_alu instid0(VALU_DEP_1) | instskip(NEXT) | instid1(VALU_DEP_1)
	v_fma_f32 v12, -v0, v3, v2
	v_fmac_f32_e32 v3, v12, v1
	s_delay_alu instid0(VALU_DEP_1) | instskip(NEXT) | instid1(VALU_DEP_1)
	v_fma_f32 v0, -v0, v3, v2
	v_div_fmas_f32 v0, v0, v1, v3
	s_delay_alu instid0(VALU_DEP_1)
	v_div_fixup_f32 v0, v0, v10, 1.0
.LBB75_98:
	v_dual_add_nc_u32 v1, s1, v65 :: v_dual_lshrrev_b32 v2, 16, v92
	v_dual_mov_b32 v3, 0 :: v_dual_lshrrev_b32 v15, 16, v91
	v_cvt_f32_f16_e32 v12, v92
	s_delay_alu instid0(VALU_DEP_3) | instskip(SKIP_3) | instid1(VALU_DEP_4)
	v_mad_u32 v1, v1, s23, s28
	v_cvt_f32_f16_e32 v14, v91
	v_cvt_f32_f16_e32 v13, v2
	;; [unrolled: 1-line block ×3, first 2 shown]
	v_mad_u32 v1, s0, v1, s33
	s_delay_alu instid0(VALU_DEP_1) | instskip(NEXT) | instid1(VALU_DEP_4)
	v_lshl_add_u32 v2, v1, 7, v68
	v_pk_mul_f32 v[12:13], v[0:1], v[12:13] op_sel_hi:[0,1]
	s_delay_alu instid0(VALU_DEP_4) | instskip(NEXT) | instid1(VALU_DEP_3)
	v_pk_mul_f32 v[14:15], v[0:1], v[14:15] op_sel_hi:[0,1]
	v_lshl_add_u64 v[2:3], v[2:3], 2, s[16:17]
	global_store_b128 v[2:3], v[12:15], off
	s_wait_xcnt 0x0
	s_and_saveexec_b32 s6, s2
	s_cbranch_execz .LBB75_100
; %bb.99:
	v_dual_mov_b32 v2, v4 :: v_dual_mov_b32 v3, v10
	global_store_b64 v1, v[2:3], s[18:19] scale_offset
.LBB75_100:
	s_wait_xcnt 0x0
	s_or_b32 exec_lo, exec_lo, s6
	v_cmp_gt_i32_e32 vcc_lo, s22, v66
	s_and_b32 exec_lo, exec_lo, vcc_lo
	s_cbranch_execz .LBB75_115
; %bb.101:
	v_cmp_ne_u32_e32 vcc_lo, 1, v16
	v_mov_b32_e32 v0, 1.0
	s_cbranch_vccnz .LBB75_103
; %bb.102:
	v_div_scale_f32 v0, null, v11, v11, 1.0
	s_delay_alu instid0(VALU_DEP_1) | instskip(SKIP_1) | instid1(TRANS32_DEP_1)
	v_rcp_f32_e32 v1, v0
	v_nop
	v_fma_f32 v2, -v0, v1, 1.0
	s_delay_alu instid0(VALU_DEP_1) | instskip(SKIP_1) | instid1(VALU_DEP_1)
	v_fmac_f32_e32 v1, v2, v1
	v_div_scale_f32 v2, vcc_lo, 1.0, v11, 1.0
	v_mul_f32_e32 v3, v2, v1
	s_delay_alu instid0(VALU_DEP_1) | instskip(NEXT) | instid1(VALU_DEP_1)
	v_fma_f32 v4, -v0, v3, v2
	v_fmac_f32_e32 v3, v4, v1
	s_delay_alu instid0(VALU_DEP_1) | instskip(NEXT) | instid1(VALU_DEP_1)
	v_fma_f32 v0, -v0, v3, v2
	v_div_fmas_f32 v0, v0, v1, v3
	s_delay_alu instid0(VALU_DEP_1)
	v_div_fixup_f32 v0, v0, v11, 1.0
.LBB75_103:
	v_dual_add_nc_u32 v1, s1, v64 :: v_dual_lshrrev_b32 v2, 16, v90
	v_dual_mov_b32 v3, 0 :: v_dual_lshrrev_b32 v4, 16, v89
	v_cvt_f32_f16_e32 v12, v90
	s_delay_alu instid0(VALU_DEP_3) | instskip(SKIP_3) | instid1(VALU_DEP_4)
	v_mad_u32 v1, v1, s23, s5
	v_cvt_f32_f16_e32 v14, v89
	v_cvt_f32_f16_e32 v13, v2
	;; [unrolled: 1-line block ×3, first 2 shown]
	v_mad_u32 v1, s0, v1, s33
	s_delay_alu instid0(VALU_DEP_1) | instskip(NEXT) | instid1(VALU_DEP_4)
	v_lshl_add_u32 v2, v1, 7, v68
	v_pk_mul_f32 v[12:13], v[0:1], v[12:13] op_sel_hi:[0,1]
	s_delay_alu instid0(VALU_DEP_4) | instskip(NEXT) | instid1(VALU_DEP_3)
	v_pk_mul_f32 v[14:15], v[0:1], v[14:15] op_sel_hi:[0,1]
	v_lshl_add_u64 v[2:3], v[2:3], 2, s[16:17]
	global_store_b128 v[2:3], v[12:15], off
	s_wait_xcnt 0x0
	s_and_saveexec_b32 s5, s2
	s_cbranch_execz .LBB75_105
; %bb.104:
	v_mov_b32_e32 v10, v5
	global_store_b64 v1, v[10:11], s[18:19] scale_offset
.LBB75_105:
	s_wait_xcnt 0x0
	s_or_b32 exec_lo, exec_lo, s5
	v_cmp_gt_i32_e32 vcc_lo, s22, v63
	s_and_b32 exec_lo, exec_lo, vcc_lo
	s_cbranch_execz .LBB75_115
; %bb.106:
	v_cmp_ne_u32_e32 vcc_lo, 1, v16
	v_mov_b32_e32 v0, 1.0
	s_cbranch_vccnz .LBB75_108
; %bb.107:
	v_div_scale_f32 v0, null, v8, v8, 1.0
	s_delay_alu instid0(VALU_DEP_1) | instskip(SKIP_1) | instid1(TRANS32_DEP_1)
	v_rcp_f32_e32 v1, v0
	v_nop
	v_fma_f32 v2, -v0, v1, 1.0
	s_delay_alu instid0(VALU_DEP_1) | instskip(SKIP_1) | instid1(VALU_DEP_1)
	v_fmac_f32_e32 v1, v2, v1
	v_div_scale_f32 v2, vcc_lo, 1.0, v8, 1.0
	v_mul_f32_e32 v3, v2, v1
	s_delay_alu instid0(VALU_DEP_1) | instskip(NEXT) | instid1(VALU_DEP_1)
	v_fma_f32 v4, -v0, v3, v2
	v_fmac_f32_e32 v3, v4, v1
	s_delay_alu instid0(VALU_DEP_1) | instskip(NEXT) | instid1(VALU_DEP_1)
	v_fma_f32 v0, -v0, v3, v2
	v_div_fmas_f32 v0, v0, v1, v3
	s_delay_alu instid0(VALU_DEP_1)
	v_div_fixup_f32 v0, v0, v8, 1.0
.LBB75_108:
	v_dual_add_nc_u32 v1, s1, v62 :: v_dual_lshrrev_b32 v3, 16, v87
	v_dual_mov_b32 v5, 0 :: v_dual_lshrrev_b32 v11, 16, v88
	v_cvt_f32_f16_e32 v2, v87
	s_delay_alu instid0(VALU_DEP_3) | instskip(SKIP_3) | instid1(VALU_DEP_4)
	v_mad_u32 v1, v1, s23, s4
	v_cvt_f32_f16_e32 v10, v88
	v_cvt_f32_f16_e32 v3, v3
	v_cvt_f32_f16_e32 v11, v11
	v_mad_u32 v1, s0, v1, s33
	s_delay_alu instid0(VALU_DEP_1) | instskip(NEXT) | instid1(VALU_DEP_4)
	v_lshl_add_u32 v4, v1, 7, v68
	v_pk_mul_f32 v[2:3], v[0:1], v[2:3] op_sel_hi:[0,1]
	s_delay_alu instid0(VALU_DEP_2)
	v_lshl_add_u64 v[12:13], v[4:5], 2, s[16:17]
	v_pk_mul_f32 v[4:5], v[0:1], v[10:11] op_sel_hi:[0,1]
	global_store_b128 v[12:13], v[2:5], off
	s_wait_xcnt 0x0
	s_and_saveexec_b32 s4, s2
	s_cbranch_execz .LBB75_110
; %bb.109:
	v_dual_mov_b32 v2, v6 :: v_dual_mov_b32 v3, v8
	global_store_b64 v1, v[2:3], s[18:19] scale_offset
.LBB75_110:
	s_wait_xcnt 0x0
	s_or_b32 exec_lo, exec_lo, s4
	v_cmp_gt_i32_e32 vcc_lo, s22, v61
	s_and_b32 exec_lo, exec_lo, vcc_lo
	s_cbranch_execz .LBB75_115
; %bb.111:
	v_cmp_ne_u32_e32 vcc_lo, 1, v16
	v_mov_b32_e32 v0, 1.0
	s_cbranch_vccnz .LBB75_113
; %bb.112:
	v_div_scale_f32 v0, null, v9, v9, 1.0
	s_delay_alu instid0(VALU_DEP_1) | instskip(SKIP_1) | instid1(TRANS32_DEP_1)
	v_rcp_f32_e32 v1, v0
	v_nop
	v_fma_f32 v2, -v0, v1, 1.0
	s_delay_alu instid0(VALU_DEP_1) | instskip(SKIP_1) | instid1(VALU_DEP_1)
	v_fmac_f32_e32 v1, v2, v1
	v_div_scale_f32 v2, vcc_lo, 1.0, v9, 1.0
	v_mul_f32_e32 v3, v2, v1
	s_delay_alu instid0(VALU_DEP_1) | instskip(NEXT) | instid1(VALU_DEP_1)
	v_fma_f32 v4, -v0, v3, v2
	v_fmac_f32_e32 v3, v4, v1
	s_delay_alu instid0(VALU_DEP_1) | instskip(NEXT) | instid1(VALU_DEP_1)
	v_fma_f32 v0, -v0, v3, v2
	v_div_fmas_f32 v0, v0, v1, v3
	s_delay_alu instid0(VALU_DEP_1)
	v_div_fixup_f32 v0, v0, v9, 1.0
.LBB75_113:
	v_dual_add_nc_u32 v1, s1, v60 :: v_dual_lshrrev_b32 v3, 16, v85
	v_dual_mov_b32 v5, 0 :: v_dual_lshrrev_b32 v6, 16, v86
	v_cvt_f32_f16_e32 v2, v85
	s_delay_alu instid0(VALU_DEP_3) | instskip(SKIP_3) | instid1(VALU_DEP_4)
	v_mad_u32 v1, v1, s23, s3
	v_cvt_f32_f16_e32 v10, v86
	v_cvt_f32_f16_e32 v3, v3
	;; [unrolled: 1-line block ×3, first 2 shown]
	v_mad_u32 v1, s0, v1, s33
	s_delay_alu instid0(VALU_DEP_1) | instskip(NEXT) | instid1(VALU_DEP_4)
	v_lshl_add_u32 v4, v1, 7, v68
	v_pk_mul_f32 v[2:3], v[0:1], v[2:3] op_sel_hi:[0,1]
	s_delay_alu instid0(VALU_DEP_2)
	v_lshl_add_u64 v[12:13], v[4:5], 2, s[16:17]
	v_pk_mul_f32 v[4:5], v[0:1], v[10:11] op_sel_hi:[0,1]
	global_store_b128 v[12:13], v[2:5], off
	s_wait_xcnt 0x0
	s_and_b32 exec_lo, exec_lo, s2
	s_cbranch_execz .LBB75_115
; %bb.114:
	v_mov_b32_e32 v8, v7
	global_store_b64 v1, v[8:9], s[18:19] scale_offset
.LBB75_115:
	s_sendmsg sendmsg(MSG_DEALLOC_VGPRS)
	s_endpgm
	.section	.rodata,"a",@progbits
	.p2align	6, 0x0
	.amdhsa_kernel _ZL15flash_attn_tileILi128ELi128ELi16ELi4ELb1EEvPKcS1_S1_S1_S1_PKiPfP15HIP_vector_typeIfLj2EEffffjfiS5_IjLj3EEiiiiiiiiiiiliiliiiiil
		.amdhsa_group_segment_fixed_size 33792
		.amdhsa_private_segment_fixed_size 0
		.amdhsa_kernarg_size 464
		.amdhsa_user_sgpr_count 2
		.amdhsa_user_sgpr_dispatch_ptr 0
		.amdhsa_user_sgpr_queue_ptr 0
		.amdhsa_user_sgpr_kernarg_segment_ptr 1
		.amdhsa_user_sgpr_dispatch_id 0
		.amdhsa_user_sgpr_kernarg_preload_length 0
		.amdhsa_user_sgpr_kernarg_preload_offset 0
		.amdhsa_user_sgpr_private_segment_size 0
		.amdhsa_wavefront_size32 1
		.amdhsa_uses_dynamic_stack 0
		.amdhsa_enable_private_segment 0
		.amdhsa_system_sgpr_workgroup_id_x 1
		.amdhsa_system_sgpr_workgroup_id_y 1
		.amdhsa_system_sgpr_workgroup_id_z 1
		.amdhsa_system_sgpr_workgroup_info 0
		.amdhsa_system_vgpr_workitem_id 1
		.amdhsa_next_free_vgpr 159
		.amdhsa_next_free_sgpr 46
		.amdhsa_named_barrier_count 0
		.amdhsa_reserve_vcc 1
		.amdhsa_float_round_mode_32 0
		.amdhsa_float_round_mode_16_64 0
		.amdhsa_float_denorm_mode_32 3
		.amdhsa_float_denorm_mode_16_64 3
		.amdhsa_fp16_overflow 0
		.amdhsa_memory_ordered 1
		.amdhsa_forward_progress 1
		.amdhsa_inst_pref_size 255
		.amdhsa_round_robin_scheduling 0
		.amdhsa_exception_fp_ieee_invalid_op 0
		.amdhsa_exception_fp_denorm_src 0
		.amdhsa_exception_fp_ieee_div_zero 0
		.amdhsa_exception_fp_ieee_overflow 0
		.amdhsa_exception_fp_ieee_underflow 0
		.amdhsa_exception_fp_ieee_inexact 0
		.amdhsa_exception_int_div_zero 0
	.end_amdhsa_kernel
	.section	.text._ZL15flash_attn_tileILi128ELi128ELi16ELi4ELb1EEvPKcS1_S1_S1_S1_PKiPfP15HIP_vector_typeIfLj2EEffffjfiS5_IjLj3EEiiiiiiiiiiiliiliiiiil,"axG",@progbits,_ZL15flash_attn_tileILi128ELi128ELi16ELi4ELb1EEvPKcS1_S1_S1_S1_PKiPfP15HIP_vector_typeIfLj2EEffffjfiS5_IjLj3EEiiiiiiiiiiiliiliiiiil,comdat
.Lfunc_end75:
	.size	_ZL15flash_attn_tileILi128ELi128ELi16ELi4ELb1EEvPKcS1_S1_S1_S1_PKiPfP15HIP_vector_typeIfLj2EEffffjfiS5_IjLj3EEiiiiiiiiiiiliiliiiiil, .Lfunc_end75-_ZL15flash_attn_tileILi128ELi128ELi16ELi4ELb1EEvPKcS1_S1_S1_S1_PKiPfP15HIP_vector_typeIfLj2EEffffjfiS5_IjLj3EEiiiiiiiiiiiliiliiiiil
                                        ; -- End function
	.set _ZL15flash_attn_tileILi128ELi128ELi16ELi4ELb1EEvPKcS1_S1_S1_S1_PKiPfP15HIP_vector_typeIfLj2EEffffjfiS5_IjLj3EEiiiiiiiiiiiliiliiiiil.num_vgpr, 159
	.set _ZL15flash_attn_tileILi128ELi128ELi16ELi4ELb1EEvPKcS1_S1_S1_S1_PKiPfP15HIP_vector_typeIfLj2EEffffjfiS5_IjLj3EEiiiiiiiiiiiliiliiiiil.num_agpr, 0
	.set _ZL15flash_attn_tileILi128ELi128ELi16ELi4ELb1EEvPKcS1_S1_S1_S1_PKiPfP15HIP_vector_typeIfLj2EEffffjfiS5_IjLj3EEiiiiiiiiiiiliiliiiiil.numbered_sgpr, 46
	.set _ZL15flash_attn_tileILi128ELi128ELi16ELi4ELb1EEvPKcS1_S1_S1_S1_PKiPfP15HIP_vector_typeIfLj2EEffffjfiS5_IjLj3EEiiiiiiiiiiiliiliiiiil.num_named_barrier, 0
	.set _ZL15flash_attn_tileILi128ELi128ELi16ELi4ELb1EEvPKcS1_S1_S1_S1_PKiPfP15HIP_vector_typeIfLj2EEffffjfiS5_IjLj3EEiiiiiiiiiiiliiliiiiil.private_seg_size, 0
	.set _ZL15flash_attn_tileILi128ELi128ELi16ELi4ELb1EEvPKcS1_S1_S1_S1_PKiPfP15HIP_vector_typeIfLj2EEffffjfiS5_IjLj3EEiiiiiiiiiiiliiliiiiil.uses_vcc, 1
	.set _ZL15flash_attn_tileILi128ELi128ELi16ELi4ELb1EEvPKcS1_S1_S1_S1_PKiPfP15HIP_vector_typeIfLj2EEffffjfiS5_IjLj3EEiiiiiiiiiiiliiliiiiil.uses_flat_scratch, 0
	.set _ZL15flash_attn_tileILi128ELi128ELi16ELi4ELb1EEvPKcS1_S1_S1_S1_PKiPfP15HIP_vector_typeIfLj2EEffffjfiS5_IjLj3EEiiiiiiiiiiiliiliiiiil.has_dyn_sized_stack, 0
	.set _ZL15flash_attn_tileILi128ELi128ELi16ELi4ELb1EEvPKcS1_S1_S1_S1_PKiPfP15HIP_vector_typeIfLj2EEffffjfiS5_IjLj3EEiiiiiiiiiiiliiliiiiil.has_recursion, 0
	.set _ZL15flash_attn_tileILi128ELi128ELi16ELi4ELb1EEvPKcS1_S1_S1_S1_PKiPfP15HIP_vector_typeIfLj2EEffffjfiS5_IjLj3EEiiiiiiiiiiiliiliiiiil.has_indirect_call, 0
	.section	.AMDGPU.csdata,"",@progbits
; Kernel info:
; codeLenInByte = 35496
; TotalNumSgprs: 48
; NumVgprs: 159
; ScratchSize: 0
; MemoryBound: 0
; FloatMode: 240
; IeeeMode: 1
; LDSByteSize: 33792 bytes/workgroup (compile time only)
; SGPRBlocks: 0
; VGPRBlocks: 9
; NumSGPRsForWavesPerEU: 48
; NumVGPRsForWavesPerEU: 159
; NamedBarCnt: 0
; Occupancy: 6
; WaveLimiterHint : 1
; COMPUTE_PGM_RSRC2:SCRATCH_EN: 0
; COMPUTE_PGM_RSRC2:USER_SGPR: 2
; COMPUTE_PGM_RSRC2:TRAP_HANDLER: 0
; COMPUTE_PGM_RSRC2:TGID_X_EN: 1
; COMPUTE_PGM_RSRC2:TGID_Y_EN: 1
; COMPUTE_PGM_RSRC2:TGID_Z_EN: 1
; COMPUTE_PGM_RSRC2:TIDIG_COMP_CNT: 1
	.section	.text._ZL15flash_attn_tileILi128ELi128ELi8ELi4ELb1EEvPKcS1_S1_S1_S1_PKiPfP15HIP_vector_typeIfLj2EEffffjfiS5_IjLj3EEiiiiiiiiiiiliiliiiiil,"axG",@progbits,_ZL15flash_attn_tileILi128ELi128ELi8ELi4ELb1EEvPKcS1_S1_S1_S1_PKiPfP15HIP_vector_typeIfLj2EEffffjfiS5_IjLj3EEiiiiiiiiiiiliiliiiiil,comdat
	.globl	_ZL15flash_attn_tileILi128ELi128ELi8ELi4ELb1EEvPKcS1_S1_S1_S1_PKiPfP15HIP_vector_typeIfLj2EEffffjfiS5_IjLj3EEiiiiiiiiiiiliiliiiiil ; -- Begin function _ZL15flash_attn_tileILi128ELi128ELi8ELi4ELb1EEvPKcS1_S1_S1_S1_PKiPfP15HIP_vector_typeIfLj2EEffffjfiS5_IjLj3EEiiiiiiiiiiiliiliiiiil
	.p2align	8
	.type	_ZL15flash_attn_tileILi128ELi128ELi8ELi4ELb1EEvPKcS1_S1_S1_S1_PKiPfP15HIP_vector_typeIfLj2EEffffjfiS5_IjLj3EEiiiiiiiiiiiliiliiiiil,@function
_ZL15flash_attn_tileILi128ELi128ELi8ELi4ELb1EEvPKcS1_S1_S1_S1_PKiPfP15HIP_vector_typeIfLj2EEffffjfiS5_IjLj3EEiiiiiiiiiiiliiliiiiil: ; @_ZL15flash_attn_tileILi128ELi128ELi8ELi4ELb1EEvPKcS1_S1_S1_S1_PKiPfP15HIP_vector_typeIfLj2EEffffjfiS5_IjLj3EEiiiiiiiiiiiliiliiiiil
; %bb.0:
	s_clause 0x1
	s_load_b128 s[20:23], s[0:1], 0x5c
	s_load_b64 s[30:31], s[0:1], 0x80
	s_bfe_u32 s5, ttmp6, 0x40014
	s_lshr_b32 s4, ttmp7, 16
	s_add_co_i32 s5, s5, 1
	s_bfe_u32 s6, ttmp6, 0x40008
	s_mul_i32 s5, s4, s5
	s_getreg_b32 s24, hwreg(HW_REG_IB_STS2, 6, 4)
	s_add_co_i32 s6, s6, s5
	s_load_b64 s[38:39], s[0:1], 0xb8
	s_mov_b32 s37, 0
	s_mov_b64 s[34:35], 0
	s_wait_kmcnt 0x0
	s_ashr_i32 s2, s23, 31
	s_delay_alu instid0(SALU_CYCLE_1) | instskip(NEXT) | instid1(SALU_CYCLE_1)
	s_lshr_b32 s2, s2, 30
	s_add_co_i32 s2, s23, s2
	s_delay_alu instid0(SALU_CYCLE_1) | instskip(NEXT) | instid1(SALU_CYCLE_1)
	s_ashr_i32 s2, s2, 2
	s_cvt_f32_u32 s3, s2
	s_sub_co_i32 s7, 0, s2
	s_delay_alu instid0(SALU_CYCLE_2) | instskip(SKIP_1) | instid1(TRANS32_DEP_1)
	v_rcp_iflag_f32_e32 v1, s3
	v_nop
	v_readfirstlane_b32 s3, v1
	s_mul_f32 s3, s3, 0x4f7ffffe
	s_delay_alu instid0(SALU_CYCLE_3) | instskip(NEXT) | instid1(SALU_CYCLE_3)
	s_cvt_u32_f32 s3, s3
	s_mul_i32 s7, s7, s3
	s_delay_alu instid0(SALU_CYCLE_1) | instskip(NEXT) | instid1(SALU_CYCLE_1)
	s_mul_hi_u32 s7, s3, s7
	s_add_co_i32 s3, s3, s7
	s_cmp_eq_u32 s24, 0
	s_cselect_b32 s4, s4, s6
	s_delay_alu instid0(SALU_CYCLE_1) | instskip(NEXT) | instid1(SALU_CYCLE_1)
	s_mul_hi_u32 s3, s4, s3
	s_mul_i32 s5, s3, s2
	s_add_co_i32 s6, s3, 1
	s_sub_co_i32 s5, s4, s5
	s_delay_alu instid0(SALU_CYCLE_1)
	s_sub_co_i32 s7, s5, s2
	s_cmp_ge_u32 s5, s2
	s_cselect_b32 s3, s6, s3
	s_cselect_b32 s5, s7, s5
	s_add_co_i32 s6, s3, 1
	s_cmp_ge_u32 s5, s2
	s_cselect_b32 s2, s6, s3
	s_abs_i32 s3, s31
	s_lshl_b32 s4, s4, 2
	s_cvt_f32_u32 s5, s3
	s_sub_co_i32 s6, 0, s3
	s_mul_i32 s7, s2, s23
	s_abs_i32 s8, s23
	v_rcp_iflag_f32_e32 v1, s5
	s_sub_co_i32 s28, s4, s7
	v_nop
	s_delay_alu instid0(TRANS32_DEP_1) | instskip(SKIP_1) | instid1(SALU_CYCLE_3)
	v_readfirstlane_b32 s5, v1
	s_mul_f32 s5, s5, 0x4f7ffffe
	s_cvt_u32_f32 s5, s5
	s_delay_alu instid0(SALU_CYCLE_3) | instskip(NEXT) | instid1(SALU_CYCLE_1)
	s_mul_i32 s6, s6, s5
	s_mul_hi_u32 s6, s5, s6
	s_delay_alu instid0(SALU_CYCLE_1) | instskip(NEXT) | instid1(SALU_CYCLE_1)
	s_add_co_i32 s5, s5, s6
	s_mul_hi_u32 s4, s8, s5
	s_xor_b32 s5, s23, s31
	s_mul_i32 s6, s4, s3
	s_ashr_i32 s25, s5, 31
	s_sub_co_i32 s5, s8, s6
	s_add_co_i32 s6, s4, 1
	s_sub_co_i32 s7, s5, s3
	s_cmp_ge_u32 s5, s3
	s_cselect_b32 s4, s6, s4
	s_cselect_b32 s5, s7, s5
	s_add_co_i32 s6, s4, 1
	s_cmp_ge_u32 s5, s3
	s_cselect_b32 s3, s6, s4
	s_load_b512 s[4:19], s[0:1], 0x0
	s_xor_b32 s3, s3, s25
	s_delay_alu instid0(SALU_CYCLE_1) | instskip(NEXT) | instid1(SALU_CYCLE_1)
	s_sub_co_i32 s3, s3, s25
	s_abs_i32 s29, s3
	s_delay_alu instid0(SALU_CYCLE_1) | instskip(NEXT) | instid1(SALU_CYCLE_3)
	s_cvt_f32_u32 s25, s29
	v_rcp_iflag_f32_e32 v1, s25
	v_nop
	s_delay_alu instid0(TRANS32_DEP_1)
	v_readfirstlane_b32 s25, v1
	s_wait_kmcnt 0x0
	s_cmp_eq_u64 s[10:11], 0
	s_cbranch_scc1 .LBB76_2
; %bb.1:
	s_abs_i32 s31, s38
	s_abs_i32 s33, s2
	s_cvt_f32_u32 s26, s31
	s_sub_co_i32 s27, 0, s31
	s_delay_alu instid0(SALU_CYCLE_2) | instskip(SKIP_1) | instid1(TRANS32_DEP_1)
	v_rcp_iflag_f32_e32 v1, s26
	v_nop
	v_readfirstlane_b32 s26, v1
	s_mul_f32 s26, s26, 0x4f7ffffe
	s_delay_alu instid0(SALU_CYCLE_3) | instskip(NEXT) | instid1(SALU_CYCLE_3)
	s_cvt_u32_f32 s26, s26
	s_mul_i32 s27, s27, s26
	s_delay_alu instid0(SALU_CYCLE_1) | instskip(NEXT) | instid1(SALU_CYCLE_1)
	s_mul_hi_u32 s27, s26, s27
	s_add_co_i32 s26, s26, s27
	s_delay_alu instid0(SALU_CYCLE_1) | instskip(SKIP_2) | instid1(SALU_CYCLE_1)
	s_mul_hi_u32 s34, s33, s26
	s_load_b64 s[26:27], s[0:1], 0xc8
	s_mul_i32 s34, s34, s31
	s_sub_co_i32 s33, s33, s34
	s_ashr_i32 s34, s2, 31
	s_sub_co_i32 s35, s33, s31
	s_cmp_ge_u32 s33, s31
	s_cselect_b32 s33, s35, s33
	s_delay_alu instid0(SALU_CYCLE_1) | instskip(SKIP_2) | instid1(SALU_CYCLE_1)
	s_sub_co_i32 s35, s33, s31
	s_cmp_ge_u32 s33, s31
	s_cselect_b32 s31, s35, s33
	s_xor_b32 s31, s31, s34
	s_delay_alu instid0(SALU_CYCLE_1) | instskip(NEXT) | instid1(SALU_CYCLE_1)
	s_sub_co_i32 s34, s31, s34
	s_ashr_i32 s35, s34, 31
	s_wait_kmcnt 0x0
	s_mul_u64 s[26:27], s[26:27], s[34:35]
	s_delay_alu instid0(SALU_CYCLE_1)
	s_add_nc_u64 s[34:35], s[10:11], s[26:27]
.LBB76_2:
	s_bfe_u32 s10, ttmp6, 0x4000c
	s_and_b32 s11, ttmp6, 15
	s_add_co_i32 s10, s10, 1
	v_bfe_u32 v1, v0, 10, 10
	s_mul_i32 s10, ttmp9, s10
	s_load_b96 s[40:42], s[0:1], 0x70
	s_add_co_i32 s11, s11, s10
	s_cmp_eq_u32 s24, 0
	v_and_b32_e32 v88, 0x3ff, v0
	s_cselect_b32 s10, ttmp9, s11
	v_lshlrev_b32_e32 v0, 10, v1
	v_lshl_add_u32 v89, s10, 3, v1
	s_delay_alu instid0(VALU_DEP_3) | instskip(SKIP_1) | instid1(VALU_DEP_4)
	v_dual_mov_b32 v3, 0 :: v_dual_lshlrev_b32 v91, 3, v88
	v_lshlrev_b32_e32 v6, 4, v88
	v_add_nc_u32_e32 v92, 0x6800, v0
	s_delay_alu instid0(VALU_DEP_4) | instskip(NEXT) | instid1(VALU_DEP_4)
	v_mul_hi_u32 v2, s20, v89
	v_mov_b32_e32 v7, v3
	s_wait_kmcnt 0x0
	s_mul_i32 s20, s28, s41
	s_ashr_i32 s27, s41, 31
	s_delay_alu instid0(VALU_DEP_2) | instskip(SKIP_2) | instid1(SALU_CYCLE_1)
	v_add_nc_u32_e32 v2, v89, v2
	s_mov_b32 s26, s41
	s_ashr_i32 s41, s40, 31
	s_lshr_b64 s[40:41], s[40:41], 2
	s_delay_alu instid0(VALU_DEP_1) | instskip(SKIP_1) | instid1(VALU_DEP_1)
	v_lshrrev_b32_e32 v2, s21, v2
	s_ashr_i32 s21, s20, 31
	v_mul_lo_u32 v2, v2, s22
	s_delay_alu instid0(VALU_DEP_1) | instskip(NEXT) | instid1(VALU_DEP_1)
	v_sub_nc_u32_e32 v2, v89, v2
	v_mul_u64_e32 v[4:5], s[40:41], v[2:3]
	s_mul_i32 s40, s2, s42
	s_delay_alu instid0(SALU_CYCLE_1) | instskip(NEXT) | instid1(SALU_CYCLE_1)
	s_ashr_i32 s41, s40, 31
	s_add_nc_u64 s[4:5], s[4:5], s[40:41]
	s_delay_alu instid0(SALU_CYCLE_1) | instskip(SKIP_1) | instid1(VALU_DEP_1)
	s_add_nc_u64 s[4:5], s[4:5], s[20:21]
	s_and_b64 s[20:21], s[26:27], -4
	v_lshl_add_u64 v[4:5], v[4:5], 2, s[4:5]
	s_lshr_b64 s[4:5], s[26:27], 2
	s_cmp_eq_u64 s[14:15], 0
	s_delay_alu instid0(VALU_DEP_1) | instskip(NEXT) | instid1(VALU_DEP_1)
	v_add_nc_u64_e32 v[8:9], v[4:5], v[6:7]
	v_mad_nc_u64_u32 v[20:21], s4, 12, v[8:9]
	global_load_b128 v[4:7], v[8:9], off
	v_add_nc_u64_e32 v[18:19], s[20:21], v[8:9]
	v_lshl_add_u64 v[16:17], s[4:5], 3, v[8:9]
	s_load_b32 s4, s[0:1], 0x40
	s_clause 0x1
	global_load_b128 v[8:11], v[16:17], off
	global_load_b128 v[12:15], v[18:19], off
	v_mad_u32 v21, s27, 12, v21
	global_load_b128 v[16:19], v[20:21], off
	s_wait_loadcnt 0x3
	s_wait_kmcnt 0x0
	v_fma_mixlo_f16 v3, s4, v5, 0
	v_fma_mixlo_f16 v4, s4, v4, 0
	;; [unrolled: 1-line block ×4, first 2 shown]
	s_wait_xcnt 0x0
	v_add_nc_u32_e32 v20, v92, v91
	v_and_b32_e32 v4, 0xffff, v4
	v_lshlrev_b32_e32 v5, 16, v5
	v_and_b32_e32 v6, 0xffff, v6
	s_wait_loadcnt 0x2
	v_fma_mixlo_f16 v7, s4, v8, 0
	v_fma_mixlo_f16 v8, s4, v9, 0
	v_lshlrev_b32_e32 v3, 16, v3
	v_fma_mixlo_f16 v9, s4, v10, 0
	v_fma_mixlo_f16 v10, s4, v11, 0
	s_wait_loadcnt 0x1
	v_fma_mixlo_f16 v11, s4, v12, 0
	v_fma_mixlo_f16 v12, s4, v13, 0
	;; [unrolled: 1-line block ×4, first 2 shown]
	v_or3_b32 v5, v5, v6, 0
	v_lshlrev_b32_e32 v6, 16, v8
	v_dual_lshlrev_b32 v8, 16, v10 :: v_dual_bitop2_b32 v3, v3, v4 bitop3:0x54
	s_delay_alu instid0(VALU_DEP_4) | instskip(SKIP_2) | instid1(VALU_DEP_3)
	v_dual_lshlrev_b32 v10, 16, v12 :: v_dual_lshlrev_b32 v12, 16, v14
	s_wait_loadcnt 0x0
	v_fma_mixlo_f16 v14, s4, v16, 0
	v_or3_b32 v4, 0, 0, v3
	v_fma_mixlo_f16 v3, s4, v17, 0
	v_and_b32_e32 v7, 0xffff, v7
	v_and_b32_e32 v9, 0xffff, v9
	;; [unrolled: 1-line block ×3, first 2 shown]
	v_fma_mixlo_f16 v15, s4, v18, 0
	v_fma_mixlo_f16 v16, s4, v19, 0
	v_lshlrev_b32_e32 v3, 16, v3
	v_and_b32_e32 v14, 0xffff, v14
	v_and_b32_e32 v13, 0xffff, v13
	v_or_b32_e32 v6, v6, v7
	v_or3_b32 v7, v8, v9, 0
	v_dual_lshlrev_b32 v10, 16, v16 :: v_dual_bitop2_b32 v8, v10, v11 bitop3:0x54
	v_and_b32_e32 v11, 0xffff, v15
	v_or_b32_e32 v3, v3, v14
	v_or3_b32 v9, v12, v13, 0
	s_delay_alu instid0(VALU_DEP_4)
	v_or3_b32 v8, 0, 0, v8
	v_or3_b32 v6, 0, 0, v6
	;; [unrolled: 1-line block ×4, first 2 shown]
	ds_store_2addr_b64 v20, v[4:5], v[8:9] offset1:32
	ds_store_2addr_b64 v20, v[6:7], v[10:11] offset0:64 offset1:96
	s_wait_dscnt 0x0
	s_barrier_signal -1
	s_barrier_wait -1
	s_cbranch_scc1 .LBB76_4
; %bb.3:
	s_load_b32 s4, s[0:1], 0xd0
	s_wait_kmcnt 0x0
	s_mul_i32 s4, s4, s2
	s_delay_alu instid0(SALU_CYCLE_1)
	s_add_co_i32 s4, s4, s10
	s_load_b32 s30, s[14:15], s4 offset:0x0 scale_offset
.LBB76_4:
	s_wait_xcnt 0x0
	s_bfe_u32 s4, ttmp6, 0x40010
	s_and_b32 s5, ttmp7, 0xffff
	s_add_co_i32 s4, s4, 1
	s_bfe_u32 s10, ttmp6, 0x40004
	s_mul_i32 s4, s5, s4
	v_mbcnt_lo_u32_b32 v93, -1, 0
	s_add_co_i32 s10, s10, s4
	s_cmp_eq_u32 s24, 0
	s_cselect_b32 s31, s5, s10
	s_mov_b32 s5, 0
	s_lshl_b32 s4, s31, 7
	s_wait_kmcnt 0x0
	s_cmp_lt_i32 s4, s30
	s_cbranch_scc1 .LBB76_7
; %bb.5:
	v_mbcnt_lo_u32_b32 v4, -1, 0
	s_delay_alu instid0(VALU_DEP_1)
	v_dual_mov_b32 v94, 32 :: v_dual_bitop2_b32 v110, 16, v4 bitop3:0x14
	v_xor_b32_e32 v109, 8, v4
	v_xor_b32_e32 v108, 4, v4
	;; [unrolled: 1-line block ×4, first 2 shown]
	v_lshlrev_b32_e32 v90, 2, v88
	s_and_not1_b32 vcc_lo, exec_lo, s5
	s_cbranch_vccz .LBB76_8
; %bb.6:
	v_dual_mov_b32 v38, 0 :: v_dual_mov_b32 v65, 0
	v_dual_mov_b32 v3, 0xfeffffff :: v_dual_mov_b32 v2, 0xfeffffff
	;; [unrolled: 1-line block ×3, first 2 shown]
	s_delay_alu instid0(VALU_DEP_3)
	v_dual_mov_b32 v64, v65 :: v_dual_mov_b32 v67, v65
	v_dual_mov_b32 v66, v65 :: v_dual_mov_b32 v39, 0
	;; [unrolled: 1-line block ×5, first 2 shown]
	s_branch .LBB76_76
.LBB76_7:
                                        ; implicit-def: $vgpr4
                                        ; implicit-def: $vgpr94
                                        ; implicit-def: $vgpr110
                                        ; implicit-def: $vgpr109
                                        ; implicit-def: $vgpr108
                                        ; implicit-def: $vgpr107
                                        ; implicit-def: $vgpr106
	v_lshlrev_b32_e32 v90, 2, v88
.LBB76_8:
	s_mul_f32 s5, s25, 0x4f7ffffe
	s_clause 0x1
	s_load_b128 s[24:27], s[0:1], 0x98
	s_load_b64 s[14:15], s[0:1], 0x8c
	s_sub_co_i32 s10, 0, s29
	s_load_b64 s[20:21], s[0:1], 0xa8
	s_cvt_u32_f32 s5, s5
	v_dual_lshrrev_b32 v3, 3, v88 :: v_dual_bitop2_b32 v4, 28, v90 bitop3:0x40
	s_ashr_i32 s38, s3, 31
	s_delay_alu instid0(SALU_CYCLE_1)
	s_mul_i32 s10, s10, s5
	s_abs_i32 s36, s28
	s_mul_hi_u32 s3, s5, s10
	s_mov_b32 s11, s37
	s_add_co_i32 s10, s5, s3
	v_lshl_add_u32 v3, v1, 2, v3
	s_mul_u64 s[10:11], s[36:37], s[10:11]
	s_ashr_i32 s33, s28, 31
	s_mul_i32 s5, s11, s29
	s_ashr_i32 s39, s39, 1
	s_sub_co_i32 s5, s36, s5
	s_ashr_i32 s3, s2, 31
	s_xor_b32 s33, s33, s38
	s_wait_kmcnt 0x0
	s_ashr_i32 s14, s14, 2
	s_ashr_i32 s10, s26, 2
	v_mul_lo_u32 v68, s14, v3
	s_add_co_i32 s26, s11, 1
	s_sub_co_i32 s36, s5, s29
	s_cmp_ge_u32 s5, s29
	v_dual_lshrrev_b32 v5, 4, v88 :: v_dual_mov_b32 v73, 0
	s_cselect_b32 s11, s26, s11
	s_cselect_b32 s5, s36, s5
	s_add_co_i32 s36, s11, 1
	s_cmp_ge_u32 s5, s29
	s_load_b32 s26, s[0:1], 0x54
	s_cselect_b32 s5, s36, s11
	s_mul_u64 s[24:25], s[24:25], s[2:3]
	s_mul_u64 s[20:21], s[20:21], s[2:3]
	s_lshl_b32 s3, s14, 5
	v_lshl_add_u32 v1, v1, 1, v5
	v_dual_add_nc_u32 v70, s3, v68 :: v_dual_ashrrev_i32 v69, 31, v68
	v_lshlrev_b32_e32 v6, 2, v4
	v_dual_mov_b32 v35, v73 :: v_dual_add_nc_u32 v102, 0x4800, v0
	s_delay_alu instid0(VALU_DEP_3) | instskip(SKIP_1) | instid1(VALU_DEP_4)
	v_add_nc_u32_e32 v74, s3, v70
	v_mad_u32 v101, v2, s39, v88
	v_mad_u32_u24 v95, 0x90, v3, v6
	v_mul_lo_u32 v6, s10, v1
	s_xor_b32 s5, s5, s33
	v_dual_ashrrev_i32 v75, 31, v74 :: v_dual_add_nc_u32 v76, s3, v74
	s_lshl_b32 s3, s10, 4
	v_and_b32_e32 v8, 60, v90
	s_sub_co_i32 s5, s5, s33
	s_add_nc_u64 s[6:7], s[6:7], s[24:25]
	v_dual_ashrrev_i32 v77, 31, v76 :: v_dual_ashrrev_i32 v71, 31, v70
	s_delay_alu instid0(VALU_DEP_2) | instskip(SKIP_3) | instid1(VALU_DEP_2)
	v_dual_lshlrev_b32 v3, 2, v8 :: v_dual_add_nc_u32 v10, s3, v6
	v_ashrrev_i32_e32 v7, 31, v6
	s_mul_i32 s24, s5, s15
	s_add_nc_u64 s[8:9], s[8:9], s[20:21]
	v_lshl_or_b32 v100, v1, 8, v3
	v_dual_add_nc_u32 v12, s3, v10 :: v_dual_ashrrev_i32 v11, 31, v10
	v_mov_b32_e32 v42, 0xfeffffff
	v_lshlrev_b64_e32 v[80:81], 2, v[6:7]
	s_mul_i32 s20, s5, s27
	s_delay_alu instid0(VALU_DEP_3) | instskip(SKIP_2) | instid1(VALU_DEP_3)
	v_dual_add_nc_u32 v0, s3, v12 :: v_dual_ashrrev_i32 v13, 31, v12
	v_lshlrev_b64_e32 v[82:83], 2, v[10:11]
	v_dual_mov_b32 v79, v73 :: v_dual_add_nc_u32 v96, 0x1200, v95
	v_ashrrev_i32_e32 v1, 31, v0
	s_delay_alu instid0(VALU_DEP_4) | instskip(SKIP_2) | instid1(VALU_DEP_4)
	v_lshlrev_b64_e32 v[84:85], 2, v[12:13]
	v_dual_mov_b32 v94, 32 :: v_dual_add_nc_u32 v97, 0x2400, v95
	v_dual_mov_b32 v33, v73 :: v_dual_add_nc_u32 v98, 0x3600, v95
	v_lshlrev_b64_e32 v[86:87], 2, v[0:1]
	v_mul_u32_u24_e32 v99, 0x90, v88
	v_dual_mov_b32 v32, v73 :: v_dual_add_nc_u32 v103, 0x1000, v100
	v_dual_mov_b32 v37, v73 :: v_dual_add_nc_u32 v104, 0x2000, v100
	v_dual_mov_b32 v34, v73 :: v_dual_add_nc_u32 v105, 0x3000, v100
	v_dual_lshlrev_b32 v78, 2, v4 :: v_dual_mov_b32 v36, v73
	v_dual_mov_b32 v39, v73 :: v_dual_lshlrev_b32 v72, 2, v8
	v_dual_mov_b32 v38, v73 :: v_dual_mov_b32 v43, 0xfeffffff
	v_dual_mov_b32 v41, 0xfeffffff :: v_dual_mov_b32 v40, 0xfeffffff
	;; [unrolled: 1-line block ×4, first 2 shown]
	s_ashr_i32 s25, s24, 31
	s_ashr_i32 s21, s20, 31
	s_add_nc_u64 s[6:7], s[6:7], s[24:25]
	s_add_nc_u64 s[8:9], s[8:9], s[20:21]
	s_ashr_i32 s15, s14, 31
	s_ashr_i32 s11, s10, 31
	s_add_nc_u64 s[20:21], s[0:1], 0xd0
	s_mov_b32 s3, 0xbbbac73d
.LBB76_9:                               ; =>This Inner Loop Header: Depth=1
	s_ashr_i32 s5, s4, 31
	v_dual_mov_b32 v51, 0 :: v_dual_mov_b32 v47, 0
	s_mul_u64 s[24:25], s[4:5], s[14:15]
	v_dual_mov_b32 v44, 0 :: v_dual_mov_b32 v52, 0
	s_lshl_b64 s[24:25], s[24:25], 2
	v_dual_mov_b32 v57, 0 :: v_dual_mov_b32 v48, 0
	s_add_nc_u64 s[24:25], s[6:7], s[24:25]
	v_dual_mov_b32 v45, 0 :: v_dual_mov_b32 v53, 0
	v_lshl_add_u64 v[0:1], v[68:69], 2, s[24:25]
	v_lshl_add_u64 v[2:3], v[70:71], 2, s[24:25]
	;; [unrolled: 1-line block ×4, first 2 shown]
	v_dual_mov_b32 v58, 0 :: v_dual_mov_b32 v49, 0
	v_add_nc_u64_e32 v[0:1], v[0:1], v[78:79]
	v_add_nc_u64_e32 v[2:3], v[2:3], v[78:79]
	;; [unrolled: 1-line block ×4, first 2 shown]
	s_clause 0x3
	global_load_b128 v[8:11], v[0:1], off
	global_load_b128 v[12:15], v[2:3], off
	;; [unrolled: 1-line block ×4, first 2 shown]
	v_dual_mov_b32 v46, 0 :: v_dual_mov_b32 v54, 0
	v_dual_mov_b32 v59, 0 :: v_dual_mov_b32 v50, 0
	;; [unrolled: 1-line block ×3, first 2 shown]
	s_wait_loadcnt 0x3
	ds_store_b128 v95, v[8:11]
	s_wait_loadcnt 0x2
	ds_store_b128 v96, v[12:15]
	;; [unrolled: 2-line block ×4, first 2 shown]
	s_wait_dscnt 0x0
	s_barrier_signal -1
	s_barrier_wait -1
	ds_load_b128 v[8:11], v99
	ds_load_b128 v[12:15], v92
	ds_load_b128 v[16:19], v92 offset:256
	ds_load_b128 v[20:23], v92 offset:512
	;; [unrolled: 1-line block ×6, first 2 shown]
	s_wait_dscnt 0x6
	;;#ASMSTART
	v_dot2_f32_f16 v51, v8, v12, v51
	;;#ASMEND
	;;#ASMSTART
	v_dot2_f32_f16 v51, v9, v13, v51
	;;#ASMEND
	;;#ASMSTART
	v_dot2_f32_f16 v51, v10, v14, v51
	;;#ASMEND
	;;#ASMSTART
	v_dot2_f32_f16 v51, v11, v15, v51
	;;#ASMEND
	s_wait_dscnt 0x5
	;;#ASMSTART
	v_dot2_f32_f16 v47, v8, v16, v47
	;;#ASMEND
	;;#ASMSTART
	v_dot2_f32_f16 v47, v9, v17, v47
	;;#ASMEND
	;;#ASMSTART
	v_dot2_f32_f16 v47, v10, v18, v47
	;;#ASMEND
	;;#ASMSTART
	v_dot2_f32_f16 v47, v11, v19, v47
	;;#ASMEND
	s_wait_dscnt 0x4
	;;#ASMSTART
	v_dot2_f32_f16 v44, v8, v20, v44
	;;#ASMEND
	;;#ASMSTART
	v_dot2_f32_f16 v44, v9, v21, v44
	;;#ASMEND
	;;#ASMSTART
	v_dot2_f32_f16 v44, v10, v22, v44
	;;#ASMEND
	;;#ASMSTART
	v_dot2_f32_f16 v44, v11, v23, v44
	;;#ASMEND
	s_wait_dscnt 0x3
	;;#ASMSTART
	v_dot2_f32_f16 v52, v8, v24, v52
	;;#ASMEND
	;;#ASMSTART
	v_dot2_f32_f16 v52, v9, v25, v52
	;;#ASMEND
	;;#ASMSTART
	v_dot2_f32_f16 v52, v10, v26, v52
	;;#ASMEND
	;;#ASMSTART
	v_dot2_f32_f16 v52, v11, v27, v52
	;;#ASMEND
	s_wait_dscnt 0x2
	;;#ASMSTART
	v_dot2_f32_f16 v57, v28, v12, v57
	;;#ASMEND
	;;#ASMSTART
	v_dot2_f32_f16 v57, v29, v13, v57
	;;#ASMEND
	;;#ASMSTART
	v_dot2_f32_f16 v57, v30, v14, v57
	;;#ASMEND
	;;#ASMSTART
	v_dot2_f32_f16 v57, v31, v15, v57
	;;#ASMEND
	;;#ASMSTART
	v_dot2_f32_f16 v48, v28, v16, v48
	;;#ASMEND
	;;#ASMSTART
	v_dot2_f32_f16 v48, v29, v17, v48
	;;#ASMEND
	;; [unrolled: 3-line block ×12, first 2 shown]
	s_wait_dscnt 0x1
	;;#ASMSTART
	v_dot2_f32_f16 v58, v60, v12, v58
	;;#ASMEND
	;;#ASMSTART
	v_dot2_f32_f16 v58, v61, v13, v58
	;;#ASMEND
	;; [unrolled: 3-line block ×16, first 2 shown]
	s_wait_dscnt 0x0
	;;#ASMSTART
	v_dot2_f32_f16 v59, v106, v12, v59
	;;#ASMEND
	;;#ASMSTART
	v_dot2_f32_f16 v59, v107, v13, v59
	;;#ASMEND
	;; [unrolled: 3-line block ×16, first 2 shown]
	ds_load_b128 v[8:11], v99 offset:16
	ds_load_b128 v[12:15], v92 offset:16
	ds_load_b128 v[16:19], v92 offset:272
	ds_load_b128 v[20:23], v92 offset:528
	ds_load_b128 v[24:27], v92 offset:784
	ds_load_b128 v[28:31], v99 offset:4624
	ds_load_b128 v[60:63], v99 offset:9232
	ds_load_b128 v[106:109], v99 offset:13840
	s_wait_dscnt 0x6
	;;#ASMSTART
	v_dot2_f32_f16 v51, v8, v12, v51
	;;#ASMEND
	;;#ASMSTART
	v_dot2_f32_f16 v51, v9, v13, v51
	;;#ASMEND
	;;#ASMSTART
	v_dot2_f32_f16 v51, v10, v14, v51
	;;#ASMEND
	;;#ASMSTART
	v_dot2_f32_f16 v51, v11, v15, v51
	;;#ASMEND
	s_wait_dscnt 0x5
	;;#ASMSTART
	v_dot2_f32_f16 v47, v8, v16, v47
	;;#ASMEND
	;;#ASMSTART
	v_dot2_f32_f16 v47, v9, v17, v47
	;;#ASMEND
	;;#ASMSTART
	v_dot2_f32_f16 v47, v10, v18, v47
	;;#ASMEND
	;;#ASMSTART
	v_dot2_f32_f16 v47, v11, v19, v47
	;;#ASMEND
	s_wait_dscnt 0x4
	;;#ASMSTART
	v_dot2_f32_f16 v44, v8, v20, v44
	;;#ASMEND
	;;#ASMSTART
	v_dot2_f32_f16 v44, v9, v21, v44
	;;#ASMEND
	;;#ASMSTART
	v_dot2_f32_f16 v44, v10, v22, v44
	;;#ASMEND
	;;#ASMSTART
	v_dot2_f32_f16 v44, v11, v23, v44
	;;#ASMEND
	s_wait_dscnt 0x3
	;;#ASMSTART
	v_dot2_f32_f16 v52, v8, v24, v52
	;;#ASMEND
	;;#ASMSTART
	v_dot2_f32_f16 v52, v9, v25, v52
	;;#ASMEND
	;;#ASMSTART
	v_dot2_f32_f16 v52, v10, v26, v52
	;;#ASMEND
	;;#ASMSTART
	v_dot2_f32_f16 v52, v11, v27, v52
	;;#ASMEND
	s_wait_dscnt 0x2
	;;#ASMSTART
	v_dot2_f32_f16 v57, v28, v12, v57
	;;#ASMEND
	;;#ASMSTART
	v_dot2_f32_f16 v57, v29, v13, v57
	;;#ASMEND
	;;#ASMSTART
	v_dot2_f32_f16 v57, v30, v14, v57
	;;#ASMEND
	;;#ASMSTART
	v_dot2_f32_f16 v57, v31, v15, v57
	;;#ASMEND
	;;#ASMSTART
	v_dot2_f32_f16 v48, v28, v16, v48
	;;#ASMEND
	;;#ASMSTART
	v_dot2_f32_f16 v48, v29, v17, v48
	;;#ASMEND
	;; [unrolled: 3-line block ×12, first 2 shown]
	s_wait_dscnt 0x1
	;;#ASMSTART
	v_dot2_f32_f16 v58, v60, v12, v58
	;;#ASMEND
	;;#ASMSTART
	v_dot2_f32_f16 v58, v61, v13, v58
	;;#ASMEND
	;; [unrolled: 3-line block ×16, first 2 shown]
	s_wait_dscnt 0x0
	;;#ASMSTART
	v_dot2_f32_f16 v59, v106, v12, v59
	;;#ASMEND
	;;#ASMSTART
	v_dot2_f32_f16 v59, v107, v13, v59
	;;#ASMEND
	;; [unrolled: 3-line block ×16, first 2 shown]
	ds_load_b128 v[8:11], v99 offset:32
	ds_load_b128 v[12:15], v92 offset:32
	;; [unrolled: 1-line block ×8, first 2 shown]
	s_wait_dscnt 0x6
	;;#ASMSTART
	v_dot2_f32_f16 v51, v8, v12, v51
	;;#ASMEND
	;;#ASMSTART
	v_dot2_f32_f16 v51, v9, v13, v51
	;;#ASMEND
	;;#ASMSTART
	v_dot2_f32_f16 v51, v10, v14, v51
	;;#ASMEND
	;;#ASMSTART
	v_dot2_f32_f16 v51, v11, v15, v51
	;;#ASMEND
	s_wait_dscnt 0x5
	;;#ASMSTART
	v_dot2_f32_f16 v47, v8, v16, v47
	;;#ASMEND
	;;#ASMSTART
	v_dot2_f32_f16 v47, v9, v17, v47
	;;#ASMEND
	;;#ASMSTART
	v_dot2_f32_f16 v47, v10, v18, v47
	;;#ASMEND
	;;#ASMSTART
	v_dot2_f32_f16 v47, v11, v19, v47
	;;#ASMEND
	s_wait_dscnt 0x4
	;;#ASMSTART
	v_dot2_f32_f16 v44, v8, v20, v44
	;;#ASMEND
	;;#ASMSTART
	v_dot2_f32_f16 v44, v9, v21, v44
	;;#ASMEND
	;;#ASMSTART
	v_dot2_f32_f16 v44, v10, v22, v44
	;;#ASMEND
	;;#ASMSTART
	v_dot2_f32_f16 v44, v11, v23, v44
	;;#ASMEND
	s_wait_dscnt 0x3
	;;#ASMSTART
	v_dot2_f32_f16 v52, v8, v24, v52
	;;#ASMEND
	;;#ASMSTART
	v_dot2_f32_f16 v52, v9, v25, v52
	;;#ASMEND
	;;#ASMSTART
	v_dot2_f32_f16 v52, v10, v26, v52
	;;#ASMEND
	;;#ASMSTART
	v_dot2_f32_f16 v52, v11, v27, v52
	;;#ASMEND
	s_wait_dscnt 0x2
	;;#ASMSTART
	v_dot2_f32_f16 v57, v28, v12, v57
	;;#ASMEND
	;;#ASMSTART
	v_dot2_f32_f16 v57, v29, v13, v57
	;;#ASMEND
	;;#ASMSTART
	v_dot2_f32_f16 v57, v30, v14, v57
	;;#ASMEND
	;;#ASMSTART
	v_dot2_f32_f16 v57, v31, v15, v57
	;;#ASMEND
	;;#ASMSTART
	v_dot2_f32_f16 v48, v28, v16, v48
	;;#ASMEND
	;;#ASMSTART
	v_dot2_f32_f16 v48, v29, v17, v48
	;;#ASMEND
	;;#ASMSTART
	v_dot2_f32_f16 v48, v30, v18, v48
	;;#ASMEND
	;;#ASMSTART
	v_dot2_f32_f16 v48, v31, v19, v48
	;;#ASMEND
	;;#ASMSTART
	v_dot2_f32_f16 v45, v28, v20, v45
	;;#ASMEND
	;;#ASMSTART
	v_dot2_f32_f16 v45, v29, v21, v45
	;;#ASMEND
	;;#ASMSTART
	v_dot2_f32_f16 v45, v30, v22, v45
	;;#ASMEND
	;;#ASMSTART
	v_dot2_f32_f16 v45, v31, v23, v45
	;;#ASMEND
	;;#ASMSTART
	v_dot2_f32_f16 v53, v28, v24, v53
	;;#ASMEND
	;;#ASMSTART
	v_dot2_f32_f16 v53, v29, v25, v53
	;;#ASMEND
	;;#ASMSTART
	v_dot2_f32_f16 v53, v30, v26, v53
	;;#ASMEND
	;;#ASMSTART
	v_dot2_f32_f16 v53, v31, v27, v53
	;;#ASMEND
	s_wait_dscnt 0x1
	;;#ASMSTART
	v_dot2_f32_f16 v58, v60, v12, v58
	;;#ASMEND
	;;#ASMSTART
	v_dot2_f32_f16 v58, v61, v13, v58
	;;#ASMEND
	;; [unrolled: 3-line block ×16, first 2 shown]
	s_wait_dscnt 0x0
	;;#ASMSTART
	v_dot2_f32_f16 v59, v106, v12, v59
	;;#ASMEND
	;;#ASMSTART
	v_dot2_f32_f16 v59, v107, v13, v59
	;;#ASMEND
	;; [unrolled: 3-line block ×16, first 2 shown]
	ds_load_b128 v[8:11], v99 offset:48
	ds_load_b128 v[12:15], v92 offset:48
	;; [unrolled: 1-line block ×8, first 2 shown]
	s_wait_dscnt 0x6
	;;#ASMSTART
	v_dot2_f32_f16 v51, v8, v12, v51
	;;#ASMEND
	;;#ASMSTART
	v_dot2_f32_f16 v51, v9, v13, v51
	;;#ASMEND
	;;#ASMSTART
	v_dot2_f32_f16 v51, v10, v14, v51
	;;#ASMEND
	;;#ASMSTART
	v_dot2_f32_f16 v51, v11, v15, v51
	;;#ASMEND
	s_wait_dscnt 0x5
	;;#ASMSTART
	v_dot2_f32_f16 v47, v8, v16, v47
	;;#ASMEND
	;;#ASMSTART
	v_dot2_f32_f16 v47, v9, v17, v47
	;;#ASMEND
	;;#ASMSTART
	v_dot2_f32_f16 v47, v10, v18, v47
	;;#ASMEND
	;;#ASMSTART
	v_dot2_f32_f16 v47, v11, v19, v47
	;;#ASMEND
	;; [unrolled: 13-line block ×5, first 2 shown]
	;;#ASMSTART
	v_dot2_f32_f16 v48, v28, v16, v48
	;;#ASMEND
	;;#ASMSTART
	v_dot2_f32_f16 v48, v29, v17, v48
	;;#ASMEND
	;; [unrolled: 3-line block ×12, first 2 shown]
	s_wait_dscnt 0x1
	;;#ASMSTART
	v_dot2_f32_f16 v58, v60, v12, v58
	;;#ASMEND
	;;#ASMSTART
	v_dot2_f32_f16 v58, v61, v13, v58
	;;#ASMEND
	;; [unrolled: 3-line block ×16, first 2 shown]
	s_wait_dscnt 0x0
	;;#ASMSTART
	v_dot2_f32_f16 v59, v106, v12, v59
	;;#ASMEND
	;;#ASMSTART
	v_dot2_f32_f16 v59, v107, v13, v59
	;;#ASMEND
	;; [unrolled: 3-line block ×16, first 2 shown]
	ds_load_b128 v[8:11], v99 offset:64
	ds_load_b128 v[12:15], v92 offset:64
	;; [unrolled: 1-line block ×8, first 2 shown]
	s_wait_dscnt 0x6
	;;#ASMSTART
	v_dot2_f32_f16 v51, v8, v12, v51
	;;#ASMEND
	;;#ASMSTART
	v_dot2_f32_f16 v51, v9, v13, v51
	;;#ASMEND
	;;#ASMSTART
	v_dot2_f32_f16 v51, v10, v14, v51
	;;#ASMEND
	;;#ASMSTART
	v_dot2_f32_f16 v51, v11, v15, v51
	;;#ASMEND
	s_wait_dscnt 0x5
	;;#ASMSTART
	v_dot2_f32_f16 v47, v8, v16, v47
	;;#ASMEND
	;;#ASMSTART
	v_dot2_f32_f16 v47, v9, v17, v47
	;;#ASMEND
	;;#ASMSTART
	v_dot2_f32_f16 v47, v10, v18, v47
	;;#ASMEND
	;;#ASMSTART
	v_dot2_f32_f16 v47, v11, v19, v47
	;;#ASMEND
	;; [unrolled: 13-line block ×5, first 2 shown]
	;;#ASMSTART
	v_dot2_f32_f16 v48, v28, v16, v48
	;;#ASMEND
	;;#ASMSTART
	v_dot2_f32_f16 v48, v29, v17, v48
	;;#ASMEND
	;; [unrolled: 3-line block ×12, first 2 shown]
	s_wait_dscnt 0x1
	;;#ASMSTART
	v_dot2_f32_f16 v58, v60, v12, v58
	;;#ASMEND
	;;#ASMSTART
	v_dot2_f32_f16 v58, v61, v13, v58
	;;#ASMEND
	;; [unrolled: 3-line block ×16, first 2 shown]
	s_wait_dscnt 0x0
	;;#ASMSTART
	v_dot2_f32_f16 v59, v106, v12, v59
	;;#ASMEND
	;;#ASMSTART
	v_dot2_f32_f16 v59, v107, v13, v59
	;;#ASMEND
	;; [unrolled: 3-line block ×16, first 2 shown]
	ds_load_b128 v[8:11], v99 offset:80
	ds_load_b128 v[12:15], v92 offset:80
	;; [unrolled: 1-line block ×8, first 2 shown]
	s_wait_dscnt 0x6
	;;#ASMSTART
	v_dot2_f32_f16 v51, v8, v12, v51
	;;#ASMEND
	;;#ASMSTART
	v_dot2_f32_f16 v51, v9, v13, v51
	;;#ASMEND
	;;#ASMSTART
	v_dot2_f32_f16 v51, v10, v14, v51
	;;#ASMEND
	;;#ASMSTART
	v_dot2_f32_f16 v51, v11, v15, v51
	;;#ASMEND
	s_wait_dscnt 0x5
	;;#ASMSTART
	v_dot2_f32_f16 v47, v8, v16, v47
	;;#ASMEND
	;;#ASMSTART
	v_dot2_f32_f16 v47, v9, v17, v47
	;;#ASMEND
	;;#ASMSTART
	v_dot2_f32_f16 v47, v10, v18, v47
	;;#ASMEND
	;;#ASMSTART
	v_dot2_f32_f16 v47, v11, v19, v47
	;;#ASMEND
	;; [unrolled: 13-line block ×5, first 2 shown]
	;;#ASMSTART
	v_dot2_f32_f16 v48, v28, v16, v48
	;;#ASMEND
	;;#ASMSTART
	v_dot2_f32_f16 v48, v29, v17, v48
	;;#ASMEND
	;; [unrolled: 3-line block ×12, first 2 shown]
	s_wait_dscnt 0x1
	;;#ASMSTART
	v_dot2_f32_f16 v58, v60, v12, v58
	;;#ASMEND
	;;#ASMSTART
	v_dot2_f32_f16 v58, v61, v13, v58
	;;#ASMEND
	;; [unrolled: 3-line block ×16, first 2 shown]
	s_wait_dscnt 0x0
	;;#ASMSTART
	v_dot2_f32_f16 v59, v106, v12, v59
	;;#ASMEND
	;;#ASMSTART
	v_dot2_f32_f16 v59, v107, v13, v59
	;;#ASMEND
	;; [unrolled: 3-line block ×16, first 2 shown]
	ds_load_b128 v[8:11], v99 offset:96
	ds_load_b128 v[12:15], v92 offset:96
	;; [unrolled: 1-line block ×8, first 2 shown]
	s_wait_dscnt 0x6
	;;#ASMSTART
	v_dot2_f32_f16 v51, v8, v12, v51
	;;#ASMEND
	;;#ASMSTART
	v_dot2_f32_f16 v51, v9, v13, v51
	;;#ASMEND
	;;#ASMSTART
	v_dot2_f32_f16 v51, v10, v14, v51
	;;#ASMEND
	;;#ASMSTART
	v_dot2_f32_f16 v51, v11, v15, v51
	;;#ASMEND
	s_wait_dscnt 0x5
	;;#ASMSTART
	v_dot2_f32_f16 v47, v8, v16, v47
	;;#ASMEND
	;;#ASMSTART
	v_dot2_f32_f16 v47, v9, v17, v47
	;;#ASMEND
	;;#ASMSTART
	v_dot2_f32_f16 v47, v10, v18, v47
	;;#ASMEND
	;;#ASMSTART
	v_dot2_f32_f16 v47, v11, v19, v47
	;;#ASMEND
	;; [unrolled: 13-line block ×5, first 2 shown]
	;;#ASMSTART
	v_dot2_f32_f16 v48, v28, v16, v48
	;;#ASMEND
	;;#ASMSTART
	v_dot2_f32_f16 v48, v29, v17, v48
	;;#ASMEND
	;; [unrolled: 3-line block ×12, first 2 shown]
	s_wait_dscnt 0x1
	;;#ASMSTART
	v_dot2_f32_f16 v58, v60, v12, v58
	;;#ASMEND
	;;#ASMSTART
	v_dot2_f32_f16 v58, v61, v13, v58
	;;#ASMEND
	;; [unrolled: 3-line block ×16, first 2 shown]
	s_wait_dscnt 0x0
	;;#ASMSTART
	v_dot2_f32_f16 v59, v106, v12, v59
	;;#ASMEND
	;;#ASMSTART
	v_dot2_f32_f16 v59, v107, v13, v59
	;;#ASMEND
	;; [unrolled: 3-line block ×16, first 2 shown]
	ds_load_b128 v[8:11], v99 offset:112
	ds_load_b128 v[12:15], v92 offset:112
	;; [unrolled: 1-line block ×8, first 2 shown]
	s_wait_dscnt 0x6
	;;#ASMSTART
	v_dot2_f32_f16 v51, v8, v12, v51
	;;#ASMEND
	;;#ASMSTART
	v_dot2_f32_f16 v51, v9, v13, v51
	;;#ASMEND
	;;#ASMSTART
	v_dot2_f32_f16 v51, v10, v14, v51
	;;#ASMEND
	;;#ASMSTART
	v_dot2_f32_f16 v51, v11, v15, v51
	;;#ASMEND
	s_wait_dscnt 0x5
	;;#ASMSTART
	v_dot2_f32_f16 v47, v8, v16, v47
	;;#ASMEND
	;;#ASMSTART
	v_dot2_f32_f16 v47, v9, v17, v47
	;;#ASMEND
	;;#ASMSTART
	v_dot2_f32_f16 v47, v10, v18, v47
	;;#ASMEND
	;;#ASMSTART
	v_dot2_f32_f16 v47, v11, v19, v47
	;;#ASMEND
	;; [unrolled: 13-line block ×5, first 2 shown]
	;;#ASMSTART
	v_dot2_f32_f16 v48, v28, v16, v48
	;;#ASMEND
	;;#ASMSTART
	v_dot2_f32_f16 v48, v29, v17, v48
	;;#ASMEND
	;; [unrolled: 3-line block ×12, first 2 shown]
	s_wait_dscnt 0x1
	;;#ASMSTART
	v_dot2_f32_f16 v58, v60, v12, v58
	;;#ASMEND
	;;#ASMSTART
	v_dot2_f32_f16 v58, v61, v13, v58
	;;#ASMEND
	;; [unrolled: 3-line block ×16, first 2 shown]
	s_wait_dscnt 0x0
	;;#ASMSTART
	v_dot2_f32_f16 v59, v106, v12, v59
	;;#ASMEND
	;;#ASMSTART
	v_dot2_f32_f16 v59, v107, v13, v59
	;;#ASMEND
	;; [unrolled: 3-line block ×16, first 2 shown]
	s_barrier_signal -1
	s_barrier_wait -1
	s_clause 0x3
	global_load_b128 v[8:11], v[0:1], off offset:128
	global_load_b128 v[12:15], v[2:3], off offset:128
	global_load_b128 v[16:19], v[4:5], off offset:128
	global_load_b128 v[20:23], v[6:7], off offset:128
	s_wait_loadcnt 0x3
	ds_store_b128 v95, v[8:11]
	s_wait_loadcnt 0x2
	ds_store_b128 v96, v[12:15]
	;; [unrolled: 2-line block ×4, first 2 shown]
	s_wait_dscnt 0x0
	s_barrier_signal -1
	s_barrier_wait -1
	ds_load_b128 v[0:3], v99
	ds_load_b128 v[4:7], v92 offset:128
	ds_load_b128 v[8:11], v92 offset:384
	;; [unrolled: 1-line block ×7, first 2 shown]
	s_wait_dscnt 0x6
	;;#ASMSTART
	v_dot2_f32_f16 v51, v0, v4, v51
	;;#ASMEND
	;;#ASMSTART
	v_dot2_f32_f16 v51, v1, v5, v51
	;;#ASMEND
	;;#ASMSTART
	v_dot2_f32_f16 v51, v2, v6, v51
	;;#ASMEND
	;;#ASMSTART
	v_dot2_f32_f16 v51, v3, v7, v51
	;;#ASMEND
	s_wait_dscnt 0x5
	;;#ASMSTART
	v_dot2_f32_f16 v47, v0, v8, v47
	;;#ASMEND
	;;#ASMSTART
	v_dot2_f32_f16 v47, v1, v9, v47
	;;#ASMEND
	;;#ASMSTART
	v_dot2_f32_f16 v47, v2, v10, v47
	;;#ASMEND
	;;#ASMSTART
	v_dot2_f32_f16 v47, v3, v11, v47
	;;#ASMEND
	;; [unrolled: 13-line block ×5, first 2 shown]
	;;#ASMSTART
	v_dot2_f32_f16 v48, v20, v8, v48
	;;#ASMEND
	;;#ASMSTART
	v_dot2_f32_f16 v48, v21, v9, v48
	;;#ASMEND
	;; [unrolled: 3-line block ×12, first 2 shown]
	s_wait_dscnt 0x1
	;;#ASMSTART
	v_dot2_f32_f16 v58, v24, v4, v58
	;;#ASMEND
	;;#ASMSTART
	v_dot2_f32_f16 v58, v25, v5, v58
	;;#ASMEND
	;; [unrolled: 3-line block ×16, first 2 shown]
	s_wait_dscnt 0x0
	;;#ASMSTART
	v_dot2_f32_f16 v59, v28, v4, v59
	;;#ASMEND
	;;#ASMSTART
	v_dot2_f32_f16 v59, v29, v5, v59
	;;#ASMEND
	;; [unrolled: 3-line block ×16, first 2 shown]
	ds_load_b128 v[0:3], v99 offset:16
	ds_load_b128 v[4:7], v92 offset:144
	;; [unrolled: 1-line block ×8, first 2 shown]
	s_wait_dscnt 0x6
	;;#ASMSTART
	v_dot2_f32_f16 v51, v0, v4, v51
	;;#ASMEND
	;;#ASMSTART
	v_dot2_f32_f16 v51, v1, v5, v51
	;;#ASMEND
	;;#ASMSTART
	v_dot2_f32_f16 v51, v2, v6, v51
	;;#ASMEND
	;;#ASMSTART
	v_dot2_f32_f16 v51, v3, v7, v51
	;;#ASMEND
	s_wait_dscnt 0x5
	;;#ASMSTART
	v_dot2_f32_f16 v47, v0, v8, v47
	;;#ASMEND
	;;#ASMSTART
	v_dot2_f32_f16 v47, v1, v9, v47
	;;#ASMEND
	;;#ASMSTART
	v_dot2_f32_f16 v47, v2, v10, v47
	;;#ASMEND
	;;#ASMSTART
	v_dot2_f32_f16 v47, v3, v11, v47
	;;#ASMEND
	;; [unrolled: 13-line block ×5, first 2 shown]
	;;#ASMSTART
	v_dot2_f32_f16 v48, v20, v8, v48
	;;#ASMEND
	;;#ASMSTART
	v_dot2_f32_f16 v48, v21, v9, v48
	;;#ASMEND
	;; [unrolled: 3-line block ×12, first 2 shown]
	s_wait_dscnt 0x1
	;;#ASMSTART
	v_dot2_f32_f16 v58, v24, v4, v58
	;;#ASMEND
	;;#ASMSTART
	v_dot2_f32_f16 v58, v25, v5, v58
	;;#ASMEND
	;; [unrolled: 3-line block ×16, first 2 shown]
	s_wait_dscnt 0x0
	;;#ASMSTART
	v_dot2_f32_f16 v59, v28, v4, v59
	;;#ASMEND
	;;#ASMSTART
	v_dot2_f32_f16 v59, v29, v5, v59
	;;#ASMEND
	;; [unrolled: 3-line block ×16, first 2 shown]
	ds_load_b128 v[0:3], v99 offset:32
	ds_load_b128 v[4:7], v92 offset:160
	;; [unrolled: 1-line block ×8, first 2 shown]
	s_wait_dscnt 0x6
	;;#ASMSTART
	v_dot2_f32_f16 v51, v0, v4, v51
	;;#ASMEND
	;;#ASMSTART
	v_dot2_f32_f16 v51, v1, v5, v51
	;;#ASMEND
	;;#ASMSTART
	v_dot2_f32_f16 v51, v2, v6, v51
	;;#ASMEND
	;;#ASMSTART
	v_dot2_f32_f16 v51, v3, v7, v51
	;;#ASMEND
	s_wait_dscnt 0x5
	;;#ASMSTART
	v_dot2_f32_f16 v47, v0, v8, v47
	;;#ASMEND
	;;#ASMSTART
	v_dot2_f32_f16 v47, v1, v9, v47
	;;#ASMEND
	;;#ASMSTART
	v_dot2_f32_f16 v47, v2, v10, v47
	;;#ASMEND
	;;#ASMSTART
	v_dot2_f32_f16 v47, v3, v11, v47
	;;#ASMEND
	;; [unrolled: 13-line block ×5, first 2 shown]
	;;#ASMSTART
	v_dot2_f32_f16 v48, v20, v8, v48
	;;#ASMEND
	;;#ASMSTART
	v_dot2_f32_f16 v48, v21, v9, v48
	;;#ASMEND
	;; [unrolled: 3-line block ×12, first 2 shown]
	s_wait_dscnt 0x1
	;;#ASMSTART
	v_dot2_f32_f16 v58, v24, v4, v58
	;;#ASMEND
	;;#ASMSTART
	v_dot2_f32_f16 v58, v25, v5, v58
	;;#ASMEND
	;; [unrolled: 3-line block ×16, first 2 shown]
	s_wait_dscnt 0x0
	;;#ASMSTART
	v_dot2_f32_f16 v59, v28, v4, v59
	;;#ASMEND
	;;#ASMSTART
	v_dot2_f32_f16 v59, v29, v5, v59
	;;#ASMEND
	;; [unrolled: 3-line block ×16, first 2 shown]
	ds_load_b128 v[0:3], v99 offset:48
	ds_load_b128 v[4:7], v92 offset:176
	ds_load_b128 v[8:11], v92 offset:432
	ds_load_b128 v[12:15], v92 offset:688
	ds_load_b128 v[16:19], v92 offset:944
	ds_load_b128 v[20:23], v99 offset:4656
	ds_load_b128 v[24:27], v99 offset:9264
	ds_load_b128 v[28:31], v99 offset:13872
	s_wait_dscnt 0x6
	;;#ASMSTART
	v_dot2_f32_f16 v51, v0, v4, v51
	;;#ASMEND
	;;#ASMSTART
	v_dot2_f32_f16 v51, v1, v5, v51
	;;#ASMEND
	;;#ASMSTART
	v_dot2_f32_f16 v51, v2, v6, v51
	;;#ASMEND
	;;#ASMSTART
	v_dot2_f32_f16 v51, v3, v7, v51
	;;#ASMEND
	s_wait_dscnt 0x5
	;;#ASMSTART
	v_dot2_f32_f16 v47, v0, v8, v47
	;;#ASMEND
	;;#ASMSTART
	v_dot2_f32_f16 v47, v1, v9, v47
	;;#ASMEND
	;;#ASMSTART
	v_dot2_f32_f16 v47, v2, v10, v47
	;;#ASMEND
	;;#ASMSTART
	v_dot2_f32_f16 v47, v3, v11, v47
	;;#ASMEND
	;; [unrolled: 13-line block ×5, first 2 shown]
	;;#ASMSTART
	v_dot2_f32_f16 v48, v20, v8, v48
	;;#ASMEND
	;;#ASMSTART
	v_dot2_f32_f16 v48, v21, v9, v48
	;;#ASMEND
	;;#ASMSTART
	v_dot2_f32_f16 v48, v22, v10, v48
	;;#ASMEND
	;;#ASMSTART
	v_dot2_f32_f16 v48, v23, v11, v48
	;;#ASMEND
	;;#ASMSTART
	v_dot2_f32_f16 v45, v20, v12, v45
	;;#ASMEND
	;;#ASMSTART
	v_dot2_f32_f16 v45, v21, v13, v45
	;;#ASMEND
	;;#ASMSTART
	v_dot2_f32_f16 v45, v22, v14, v45
	;;#ASMEND
	;;#ASMSTART
	v_dot2_f32_f16 v45, v23, v15, v45
	;;#ASMEND
	;;#ASMSTART
	v_dot2_f32_f16 v53, v20, v16, v53
	;;#ASMEND
	;;#ASMSTART
	v_dot2_f32_f16 v53, v21, v17, v53
	;;#ASMEND
	;;#ASMSTART
	v_dot2_f32_f16 v53, v22, v18, v53
	;;#ASMEND
	;;#ASMSTART
	v_dot2_f32_f16 v53, v23, v19, v53
	;;#ASMEND
	s_wait_dscnt 0x1
	;;#ASMSTART
	v_dot2_f32_f16 v58, v24, v4, v58
	;;#ASMEND
	;;#ASMSTART
	v_dot2_f32_f16 v58, v25, v5, v58
	;;#ASMEND
	;; [unrolled: 3-line block ×16, first 2 shown]
	s_wait_dscnt 0x0
	;;#ASMSTART
	v_dot2_f32_f16 v59, v28, v4, v59
	;;#ASMEND
	;;#ASMSTART
	v_dot2_f32_f16 v59, v29, v5, v59
	;;#ASMEND
	;; [unrolled: 3-line block ×16, first 2 shown]
	ds_load_b128 v[0:3], v99 offset:64
	ds_load_b128 v[4:7], v92 offset:192
	;; [unrolled: 1-line block ×8, first 2 shown]
	s_wait_dscnt 0x6
	;;#ASMSTART
	v_dot2_f32_f16 v51, v0, v4, v51
	;;#ASMEND
	;;#ASMSTART
	v_dot2_f32_f16 v51, v1, v5, v51
	;;#ASMEND
	;;#ASMSTART
	v_dot2_f32_f16 v51, v2, v6, v51
	;;#ASMEND
	;;#ASMSTART
	v_dot2_f32_f16 v51, v3, v7, v51
	;;#ASMEND
	s_wait_dscnt 0x5
	;;#ASMSTART
	v_dot2_f32_f16 v47, v0, v8, v47
	;;#ASMEND
	;;#ASMSTART
	v_dot2_f32_f16 v47, v1, v9, v47
	;;#ASMEND
	;;#ASMSTART
	v_dot2_f32_f16 v47, v2, v10, v47
	;;#ASMEND
	;;#ASMSTART
	v_dot2_f32_f16 v47, v3, v11, v47
	;;#ASMEND
	;; [unrolled: 13-line block ×5, first 2 shown]
	;;#ASMSTART
	v_dot2_f32_f16 v48, v20, v8, v48
	;;#ASMEND
	;;#ASMSTART
	v_dot2_f32_f16 v48, v21, v9, v48
	;;#ASMEND
	;; [unrolled: 3-line block ×12, first 2 shown]
	s_wait_dscnt 0x1
	;;#ASMSTART
	v_dot2_f32_f16 v58, v24, v4, v58
	;;#ASMEND
	;;#ASMSTART
	v_dot2_f32_f16 v58, v25, v5, v58
	;;#ASMEND
	;; [unrolled: 3-line block ×16, first 2 shown]
	s_wait_dscnt 0x0
	;;#ASMSTART
	v_dot2_f32_f16 v59, v28, v4, v59
	;;#ASMEND
	;;#ASMSTART
	v_dot2_f32_f16 v59, v29, v5, v59
	;;#ASMEND
	;;#ASMSTART
	v_dot2_f32_f16 v59, v30, v6, v59
	;;#ASMEND
	;;#ASMSTART
	v_dot2_f32_f16 v59, v31, v7, v59
	;;#ASMEND
	;;#ASMSTART
	v_dot2_f32_f16 v50, v28, v8, v50
	;;#ASMEND
	;;#ASMSTART
	v_dot2_f32_f16 v50, v29, v9, v50
	;;#ASMEND
	;;#ASMSTART
	v_dot2_f32_f16 v50, v30, v10, v50
	;;#ASMEND
	;;#ASMSTART
	v_dot2_f32_f16 v50, v31, v11, v50
	;;#ASMEND
	;;#ASMSTART
	v_dot2_f32_f16 v56, v28, v12, v56
	;;#ASMEND
	;;#ASMSTART
	v_dot2_f32_f16 v56, v29, v13, v56
	;;#ASMEND
	;;#ASMSTART
	v_dot2_f32_f16 v56, v30, v14, v56
	;;#ASMEND
	;;#ASMSTART
	v_dot2_f32_f16 v56, v31, v15, v56
	;;#ASMEND
	;;#ASMSTART
	v_dot2_f32_f16 v55, v28, v16, v55
	;;#ASMEND
	;;#ASMSTART
	v_dot2_f32_f16 v55, v29, v17, v55
	;;#ASMEND
	;;#ASMSTART
	v_dot2_f32_f16 v55, v30, v18, v55
	;;#ASMEND
	;;#ASMSTART
	v_dot2_f32_f16 v55, v31, v19, v55
	;;#ASMEND
	ds_load_b128 v[0:3], v99 offset:80
	ds_load_b128 v[4:7], v92 offset:208
	;; [unrolled: 1-line block ×8, first 2 shown]
	s_wait_dscnt 0x6
	;;#ASMSTART
	v_dot2_f32_f16 v51, v0, v4, v51
	;;#ASMEND
	;;#ASMSTART
	v_dot2_f32_f16 v51, v1, v5, v51
	;;#ASMEND
	;;#ASMSTART
	v_dot2_f32_f16 v51, v2, v6, v51
	;;#ASMEND
	;;#ASMSTART
	v_dot2_f32_f16 v51, v3, v7, v51
	;;#ASMEND
	s_wait_dscnt 0x5
	;;#ASMSTART
	v_dot2_f32_f16 v47, v0, v8, v47
	;;#ASMEND
	;;#ASMSTART
	v_dot2_f32_f16 v47, v1, v9, v47
	;;#ASMEND
	;;#ASMSTART
	v_dot2_f32_f16 v47, v2, v10, v47
	;;#ASMEND
	;;#ASMSTART
	v_dot2_f32_f16 v47, v3, v11, v47
	;;#ASMEND
	;; [unrolled: 13-line block ×5, first 2 shown]
	;;#ASMSTART
	v_dot2_f32_f16 v48, v20, v8, v48
	;;#ASMEND
	;;#ASMSTART
	v_dot2_f32_f16 v48, v21, v9, v48
	;;#ASMEND
	;; [unrolled: 3-line block ×12, first 2 shown]
	s_wait_dscnt 0x1
	;;#ASMSTART
	v_dot2_f32_f16 v58, v24, v4, v58
	;;#ASMEND
	;;#ASMSTART
	v_dot2_f32_f16 v58, v25, v5, v58
	;;#ASMEND
	;; [unrolled: 3-line block ×16, first 2 shown]
	s_wait_dscnt 0x0
	;;#ASMSTART
	v_dot2_f32_f16 v59, v28, v4, v59
	;;#ASMEND
	;;#ASMSTART
	v_dot2_f32_f16 v59, v29, v5, v59
	;;#ASMEND
	;; [unrolled: 3-line block ×16, first 2 shown]
	ds_load_b128 v[0:3], v99 offset:96
	ds_load_b128 v[4:7], v92 offset:224
	;; [unrolled: 1-line block ×8, first 2 shown]
	s_wait_dscnt 0x6
	;;#ASMSTART
	v_dot2_f32_f16 v51, v0, v4, v51
	;;#ASMEND
	;;#ASMSTART
	v_dot2_f32_f16 v51, v1, v5, v51
	;;#ASMEND
	;;#ASMSTART
	v_dot2_f32_f16 v51, v2, v6, v51
	;;#ASMEND
	;;#ASMSTART
	v_dot2_f32_f16 v51, v3, v7, v51
	;;#ASMEND
	s_wait_dscnt 0x5
	;;#ASMSTART
	v_dot2_f32_f16 v47, v0, v8, v47
	;;#ASMEND
	;;#ASMSTART
	v_dot2_f32_f16 v47, v1, v9, v47
	;;#ASMEND
	;;#ASMSTART
	v_dot2_f32_f16 v47, v2, v10, v47
	;;#ASMEND
	;;#ASMSTART
	v_dot2_f32_f16 v47, v3, v11, v47
	;;#ASMEND
	;; [unrolled: 13-line block ×5, first 2 shown]
	;;#ASMSTART
	v_dot2_f32_f16 v48, v20, v8, v48
	;;#ASMEND
	;;#ASMSTART
	v_dot2_f32_f16 v48, v21, v9, v48
	;;#ASMEND
	;; [unrolled: 3-line block ×12, first 2 shown]
	s_wait_dscnt 0x1
	;;#ASMSTART
	v_dot2_f32_f16 v58, v24, v4, v58
	;;#ASMEND
	;;#ASMSTART
	v_dot2_f32_f16 v58, v25, v5, v58
	;;#ASMEND
	;; [unrolled: 3-line block ×16, first 2 shown]
	s_wait_dscnt 0x0
	;;#ASMSTART
	v_dot2_f32_f16 v59, v28, v4, v59
	;;#ASMEND
	;;#ASMSTART
	v_dot2_f32_f16 v59, v29, v5, v59
	;;#ASMEND
	;; [unrolled: 3-line block ×16, first 2 shown]
	ds_load_b128 v[20:23], v99 offset:112
	ds_load_b128 v[0:3], v92 offset:240
	;; [unrolled: 1-line block ×8, first 2 shown]
	s_wait_dscnt 0x6
	;;#ASMSTART
	v_dot2_f32_f16 v51, v20, v0, v51
	;;#ASMEND
	;;#ASMSTART
	v_dot2_f32_f16 v51, v21, v1, v51
	;;#ASMEND
	;;#ASMSTART
	v_dot2_f32_f16 v51, v22, v2, v51
	;;#ASMEND
	;;#ASMSTART
	v_dot2_f32_f16 v51, v23, v3, v51
	;;#ASMEND
	s_wait_dscnt 0x5
	;;#ASMSTART
	v_dot2_f32_f16 v47, v20, v4, v47
	;;#ASMEND
	;;#ASMSTART
	v_dot2_f32_f16 v47, v21, v5, v47
	;;#ASMEND
	;;#ASMSTART
	v_dot2_f32_f16 v47, v22, v6, v47
	;;#ASMEND
	;;#ASMSTART
	v_dot2_f32_f16 v47, v23, v7, v47
	;;#ASMEND
	s_wait_dscnt 0x4
	;;#ASMSTART
	v_dot2_f32_f16 v44, v20, v8, v44
	;;#ASMEND
	;;#ASMSTART
	v_dot2_f32_f16 v44, v21, v9, v44
	;;#ASMEND
	;;#ASMSTART
	v_dot2_f32_f16 v44, v22, v10, v44
	;;#ASMEND
	;;#ASMSTART
	v_dot2_f32_f16 v44, v23, v11, v44
	;;#ASMEND
	s_wait_dscnt 0x3
	;;#ASMSTART
	v_dot2_f32_f16 v52, v20, v12, v52
	;;#ASMEND
	;;#ASMSTART
	v_dot2_f32_f16 v52, v21, v13, v52
	;;#ASMEND
	;;#ASMSTART
	v_dot2_f32_f16 v52, v22, v14, v52
	;;#ASMEND
	;;#ASMSTART
	v_dot2_f32_f16 v52, v23, v15, v52
	;;#ASMEND
	s_wait_dscnt 0x2
	;;#ASMSTART
	v_dot2_f32_f16 v57, v28, v0, v57
	;;#ASMEND
	;;#ASMSTART
	v_dot2_f32_f16 v57, v29, v1, v57
	;;#ASMEND
	;;#ASMSTART
	v_dot2_f32_f16 v57, v30, v2, v57
	;;#ASMEND
	;;#ASMSTART
	v_dot2_f32_f16 v57, v31, v3, v57
	;;#ASMEND
	;;#ASMSTART
	v_dot2_f32_f16 v48, v28, v4, v48
	;;#ASMEND
	;;#ASMSTART
	v_dot2_f32_f16 v48, v29, v5, v48
	;;#ASMEND
	;; [unrolled: 3-line block ×12, first 2 shown]
	s_wait_dscnt 0x1
	;;#ASMSTART
	v_dot2_f32_f16 v58, v24, v0, v58
	;;#ASMEND
	;;#ASMSTART
	v_dot2_f32_f16 v58, v25, v1, v58
	;;#ASMEND
	;; [unrolled: 3-line block ×16, first 2 shown]
	s_wait_dscnt 0x0
	;;#ASMSTART
	v_dot2_f32_f16 v59, v16, v0, v59
	;;#ASMEND
	;;#ASMSTART
	v_dot2_f32_f16 v59, v17, v1, v59
	;;#ASMEND
	;; [unrolled: 3-line block ×9, first 2 shown]
	v_cmp_ngt_f32_e64 s24, 0x3f200000, |v51|
	;;#ASMSTART
	v_dot2_f32_f16 v56, v17, v9, v56
	;;#ASMEND
	;;#ASMSTART
	v_dot2_f32_f16 v56, v18, v10, v56
	;;#ASMEND
	;; [unrolled: 3-line block ×7, first 2 shown]
                                        ; implicit-def: $vgpr2
	s_and_saveexec_b32 s25, s24
	s_delay_alu instid0(SALU_CYCLE_1)
	s_xor_b32 s24, exec_lo, s25
	s_cbranch_execz .LBB76_11
; %bb.10:                               ;   in Loop: Header=BB76_9 Depth=1
	v_add_f32_e64 v0, |v51|, |v51|
	s_delay_alu instid0(VALU_DEP_1) | instskip(SKIP_1) | instid1(VALU_DEP_2)
	v_mul_f32_e32 v1, 0x3fb8aa3b, v0
	v_cmp_ngt_f32_e32 vcc_lo, 0xc2ce8ed0, v0
	v_rndne_f32_e32 v2, v1
	v_fma_f32 v3, 0x3fb8aa3b, v0, -v1
	s_delay_alu instid0(VALU_DEP_2) | instskip(NEXT) | instid1(VALU_DEP_2)
	v_sub_f32_e32 v1, v1, v2
	v_fmac_f32_e32 v3, 0x32a5705f, v0
	v_cvt_i32_f32_e32 v2, v2
	s_delay_alu instid0(VALU_DEP_2) | instskip(NEXT) | instid1(VALU_DEP_1)
	v_add_f32_e32 v1, v1, v3
	v_exp_f32_e32 v1, v1
	v_nop
	s_delay_alu instid0(TRANS32_DEP_1) | instskip(NEXT) | instid1(VALU_DEP_1)
	v_ldexp_f32 v1, v1, v2
	v_cndmask_b32_e32 v1, 0, v1, vcc_lo
	v_cmp_nlt_f32_e32 vcc_lo, 0x42b17218, v0
	s_delay_alu instid0(VALU_DEP_2) | instskip(NEXT) | instid1(VALU_DEP_1)
	v_cndmask_b32_e32 v0, 0x7f800000, v1, vcc_lo
	v_add_f32_e32 v0, 1.0, v0
	s_delay_alu instid0(VALU_DEP_1) | instskip(SKIP_1) | instid1(TRANS32_DEP_1)
	v_rcp_f32_e32 v0, v0
	v_nop
	v_fma_f32 v2, v0, -2.0, 1.0
.LBB76_11:                              ;   in Loop: Header=BB76_9 Depth=1
	s_and_not1_saveexec_b32 s24, s24
	s_cbranch_execz .LBB76_13
; %bb.12:                               ;   in Loop: Header=BB76_9 Depth=1
	v_mul_f32_e32 v0, v51, v51
	s_delay_alu instid0(VALU_DEP_1) | instskip(NEXT) | instid1(VALU_DEP_1)
	v_fmaak_f32 v1, s3, v0, 0x3ca908c9
	v_fmaak_f32 v1, v0, v1, 0xbd5c1c4e
	s_delay_alu instid0(VALU_DEP_1) | instskip(NEXT) | instid1(VALU_DEP_1)
	v_fmaak_f32 v1, v0, v1, 0x3e088382
	v_fmaak_f32 v1, v0, v1, 0xbeaaaa99
	s_delay_alu instid0(VALU_DEP_1) | instskip(NEXT) | instid1(VALU_DEP_1)
	v_mul_f32_e64 v1, |v51|, v1
	v_fma_f32 v2, v0, v1, |v51|
.LBB76_13:                              ;   in Loop: Header=BB76_9 Depth=1
	s_or_b32 exec_lo, exec_lo, s24
	v_add_nc_u32_e32 v0, s4, v101
	v_cmp_ngt_f32_e64 s24, 0x3f200000, |v57|
                                        ; implicit-def: $vgpr3
	global_load_u16 v4, v0, s[34:35] scale_offset
	s_wait_xcnt 0x0
	s_and_saveexec_b32 s25, s24
	s_delay_alu instid0(SALU_CYCLE_1)
	s_xor_b32 s24, exec_lo, s25
	s_cbranch_execz .LBB76_15
; %bb.14:                               ;   in Loop: Header=BB76_9 Depth=1
	v_add_f32_e64 v1, |v57|, |v57|
	s_delay_alu instid0(VALU_DEP_1) | instskip(SKIP_1) | instid1(VALU_DEP_2)
	v_mul_f32_e32 v3, 0x3fb8aa3b, v1
	v_cmp_ngt_f32_e32 vcc_lo, 0xc2ce8ed0, v1
	v_rndne_f32_e32 v5, v3
	v_fma_f32 v6, 0x3fb8aa3b, v1, -v3
	s_delay_alu instid0(VALU_DEP_2) | instskip(NEXT) | instid1(VALU_DEP_2)
	v_sub_f32_e32 v3, v3, v5
	v_fmac_f32_e32 v6, 0x32a5705f, v1
	v_cvt_i32_f32_e32 v5, v5
	s_delay_alu instid0(VALU_DEP_2) | instskip(NEXT) | instid1(VALU_DEP_1)
	v_add_f32_e32 v3, v3, v6
	v_exp_f32_e32 v3, v3
	v_nop
	s_delay_alu instid0(TRANS32_DEP_1) | instskip(NEXT) | instid1(VALU_DEP_1)
	v_ldexp_f32 v3, v3, v5
	v_cndmask_b32_e32 v3, 0, v3, vcc_lo
	v_cmp_nlt_f32_e32 vcc_lo, 0x42b17218, v1
	s_delay_alu instid0(VALU_DEP_2) | instskip(NEXT) | instid1(VALU_DEP_1)
	v_cndmask_b32_e32 v1, 0x7f800000, v3, vcc_lo
	v_add_f32_e32 v1, 1.0, v1
	s_delay_alu instid0(VALU_DEP_1) | instskip(SKIP_1) | instid1(TRANS32_DEP_1)
	v_rcp_f32_e32 v1, v1
	v_nop
	v_fma_f32 v3, v1, -2.0, 1.0
.LBB76_15:                              ;   in Loop: Header=BB76_9 Depth=1
	s_and_not1_saveexec_b32 s24, s24
	s_cbranch_execz .LBB76_17
; %bb.16:                               ;   in Loop: Header=BB76_9 Depth=1
	v_mul_f32_e32 v1, v57, v57
	s_delay_alu instid0(VALU_DEP_1) | instskip(NEXT) | instid1(VALU_DEP_1)
	v_fmaak_f32 v3, s3, v1, 0x3ca908c9
	v_fmaak_f32 v3, v1, v3, 0xbd5c1c4e
	s_delay_alu instid0(VALU_DEP_1) | instskip(NEXT) | instid1(VALU_DEP_1)
	v_fmaak_f32 v3, v1, v3, 0x3e088382
	v_fmaak_f32 v3, v1, v3, 0xbeaaaa99
	s_delay_alu instid0(VALU_DEP_1) | instskip(NEXT) | instid1(VALU_DEP_1)
	v_mul_f32_e64 v3, |v57|, v3
	v_fma_f32 v3, v1, v3, |v57|
.LBB76_17:                              ;   in Loop: Header=BB76_9 Depth=1
	s_or_b32 exec_lo, exec_lo, s24
	v_ashrrev_i32_e32 v1, 31, v0
	v_cmp_ngt_f32_e64 s24, 0x3f200000, |v58|
                                        ; implicit-def: $vgpr8
	s_delay_alu instid0(VALU_DEP_2) | instskip(SKIP_3) | instid1(SALU_CYCLE_1)
	v_lshl_add_u64 v[0:1], v[0:1], 1, s[34:35]
	global_load_u16 v5, v[0:1], off offset:64
	s_wait_xcnt 0x0
	s_and_saveexec_b32 s25, s24
	s_xor_b32 s24, exec_lo, s25
	s_cbranch_execz .LBB76_19
; %bb.18:                               ;   in Loop: Header=BB76_9 Depth=1
	v_add_f32_e64 v6, |v58|, |v58|
	s_delay_alu instid0(VALU_DEP_1) | instskip(SKIP_1) | instid1(VALU_DEP_2)
	v_mul_f32_e32 v7, 0x3fb8aa3b, v6
	v_cmp_ngt_f32_e32 vcc_lo, 0xc2ce8ed0, v6
	v_rndne_f32_e32 v8, v7
	v_fma_f32 v9, 0x3fb8aa3b, v6, -v7
	s_delay_alu instid0(VALU_DEP_2) | instskip(NEXT) | instid1(VALU_DEP_2)
	v_sub_f32_e32 v7, v7, v8
	v_fmac_f32_e32 v9, 0x32a5705f, v6
	v_cvt_i32_f32_e32 v8, v8
	s_delay_alu instid0(VALU_DEP_2) | instskip(NEXT) | instid1(VALU_DEP_1)
	v_add_f32_e32 v7, v7, v9
	v_exp_f32_e32 v7, v7
	v_nop
	s_delay_alu instid0(TRANS32_DEP_1) | instskip(NEXT) | instid1(VALU_DEP_1)
	v_ldexp_f32 v7, v7, v8
	v_cndmask_b32_e32 v7, 0, v7, vcc_lo
	v_cmp_nlt_f32_e32 vcc_lo, 0x42b17218, v6
	s_delay_alu instid0(VALU_DEP_2) | instskip(NEXT) | instid1(VALU_DEP_1)
	v_cndmask_b32_e32 v6, 0x7f800000, v7, vcc_lo
	v_add_f32_e32 v6, 1.0, v6
	s_delay_alu instid0(VALU_DEP_1) | instskip(SKIP_1) | instid1(TRANS32_DEP_1)
	v_rcp_f32_e32 v6, v6
	v_nop
	v_fma_f32 v8, v6, -2.0, 1.0
.LBB76_19:                              ;   in Loop: Header=BB76_9 Depth=1
	s_and_not1_saveexec_b32 s24, s24
	s_cbranch_execz .LBB76_21
; %bb.20:                               ;   in Loop: Header=BB76_9 Depth=1
	v_mul_f32_e32 v6, v58, v58
	s_delay_alu instid0(VALU_DEP_1) | instskip(NEXT) | instid1(VALU_DEP_1)
	v_fmaak_f32 v7, s3, v6, 0x3ca908c9
	v_fmaak_f32 v7, v6, v7, 0xbd5c1c4e
	s_delay_alu instid0(VALU_DEP_1) | instskip(NEXT) | instid1(VALU_DEP_1)
	v_fmaak_f32 v7, v6, v7, 0x3e088382
	v_fmaak_f32 v7, v6, v7, 0xbeaaaa99
	s_delay_alu instid0(VALU_DEP_1) | instskip(NEXT) | instid1(VALU_DEP_1)
	v_mul_f32_e64 v7, |v58|, v7
	v_fma_f32 v8, v6, v7, |v58|
.LBB76_21:                              ;   in Loop: Header=BB76_9 Depth=1
	s_or_b32 exec_lo, exec_lo, s24
	global_load_u16 v6, v[0:1], off offset:128
	v_cmp_ngt_f32_e64 s24, 0x3f200000, |v59|
                                        ; implicit-def: $vgpr9
	s_wait_xcnt 0x0
	s_and_saveexec_b32 s25, s24
	s_delay_alu instid0(SALU_CYCLE_1)
	s_xor_b32 s24, exec_lo, s25
	s_cbranch_execz .LBB76_23
; %bb.22:                               ;   in Loop: Header=BB76_9 Depth=1
	v_add_f32_e64 v7, |v59|, |v59|
	s_delay_alu instid0(VALU_DEP_1) | instskip(SKIP_1) | instid1(VALU_DEP_2)
	v_mul_f32_e32 v9, 0x3fb8aa3b, v7
	v_cmp_ngt_f32_e32 vcc_lo, 0xc2ce8ed0, v7
	v_rndne_f32_e32 v10, v9
	v_fma_f32 v11, 0x3fb8aa3b, v7, -v9
	s_delay_alu instid0(VALU_DEP_2) | instskip(NEXT) | instid1(VALU_DEP_2)
	v_sub_f32_e32 v9, v9, v10
	v_fmac_f32_e32 v11, 0x32a5705f, v7
	v_cvt_i32_f32_e32 v10, v10
	s_delay_alu instid0(VALU_DEP_2) | instskip(NEXT) | instid1(VALU_DEP_1)
	v_add_f32_e32 v9, v9, v11
	v_exp_f32_e32 v9, v9
	v_nop
	s_delay_alu instid0(TRANS32_DEP_1) | instskip(NEXT) | instid1(VALU_DEP_1)
	v_ldexp_f32 v9, v9, v10
	v_cndmask_b32_e32 v9, 0, v9, vcc_lo
	v_cmp_nlt_f32_e32 vcc_lo, 0x42b17218, v7
	s_delay_alu instid0(VALU_DEP_2) | instskip(NEXT) | instid1(VALU_DEP_1)
	v_cndmask_b32_e32 v7, 0x7f800000, v9, vcc_lo
	v_add_f32_e32 v7, 1.0, v7
	s_delay_alu instid0(VALU_DEP_1) | instskip(SKIP_1) | instid1(TRANS32_DEP_1)
	v_rcp_f32_e32 v7, v7
	v_nop
	v_fma_f32 v9, v7, -2.0, 1.0
.LBB76_23:                              ;   in Loop: Header=BB76_9 Depth=1
	s_and_not1_saveexec_b32 s24, s24
	s_cbranch_execz .LBB76_25
; %bb.24:                               ;   in Loop: Header=BB76_9 Depth=1
	v_mul_f32_e32 v7, v59, v59
	s_delay_alu instid0(VALU_DEP_1) | instskip(NEXT) | instid1(VALU_DEP_1)
	v_fmaak_f32 v9, s3, v7, 0x3ca908c9
	v_fmaak_f32 v9, v7, v9, 0xbd5c1c4e
	s_delay_alu instid0(VALU_DEP_1) | instskip(NEXT) | instid1(VALU_DEP_1)
	v_fmaak_f32 v9, v7, v9, 0x3e088382
	v_fmaak_f32 v9, v7, v9, 0xbeaaaa99
	s_delay_alu instid0(VALU_DEP_1) | instskip(NEXT) | instid1(VALU_DEP_1)
	v_mul_f32_e64 v9, |v59|, v9
	v_fma_f32 v9, v7, v9, |v59|
.LBB76_25:                              ;   in Loop: Header=BB76_9 Depth=1
	s_or_b32 exec_lo, exec_lo, s24
	global_load_u16 v7, v[0:1], off offset:192
	s_wait_xcnt 0x0
	v_bfi_b32 v0, 0x7fffffff, v2, v51
	v_bfi_b32 v1, 0x7fffffff, v3, v57
	;; [unrolled: 1-line block ×3, first 2 shown]
	v_xor_b32_e32 v110, 16, v93
	v_xor_b32_e32 v109, 8, v93
	s_wait_loadcnt 0x3
	s_wait_kmcnt 0x0
	v_fma_mix_f32 v26, s26, v0, v4 op_sel_hi:[0,0,1]
	s_wait_loadcnt 0x2
	v_fma_mix_f32 v27, s26, v1, v5 op_sel_hi:[0,0,1]
	v_bfi_b32 v0, 0x7fffffff, v8, v58
	v_cmp_gt_i32_e32 vcc_lo, 32, v110
	v_cmp_ngt_f32_e64 s24, 0x3f200000, |v47|
                                        ; implicit-def: $vgpr8
	v_xor_b32_e32 v108, 4, v93
	v_add_f32_e32 v3, 0x40051340, v27
	s_wait_loadcnt 0x1
	v_fma_mix_f32 v28, s26, v0, v6 op_sel_hi:[0,0,1]
	v_add_f32_e32 v1, 0x40051340, v26
	v_cndmask_b32_e32 v0, v93, v110, vcc_lo
	v_cmp_gt_i32_e32 vcc_lo, 32, v109
	s_delay_alu instid0(VALU_DEP_2) | instskip(SKIP_4) | instid1(VALU_DEP_3)
	v_dual_lshlrev_b32 v0, 2, v0 :: v_dual_bitop2_b32 v107, 2, v93 bitop3:0x14
	s_wait_loadcnt 0x0
	v_fma_mix_f32 v29, s26, v2, v7 op_sel_hi:[0,0,1]
	v_add_f32_e32 v2, 0x40051340, v28
	v_max3_num_f32 v1, v42, v1, v3
	v_add_f32_e32 v3, 0x40051340, v29
	s_delay_alu instid0(VALU_DEP_1)
	v_max3_num_f32 v1, v1, v2, v3
	v_cndmask_b32_e32 v3, v93, v109, vcc_lo
	v_cmp_gt_i32_e32 vcc_lo, 32, v108
	ds_bpermute_b32 v2, v0, v1
	v_dual_cndmask_b32 v3, v93, v108 :: v_dual_lshlrev_b32 v30, 2, v3
	v_cmp_gt_i32_e32 vcc_lo, 32, v107
	s_wait_dscnt 0x0
	v_max_num_f32_e32 v2, v2, v2
	s_delay_alu instid0(VALU_DEP_1) | instskip(SKIP_3) | instid1(VALU_DEP_1)
	v_max_num_f32_e32 v1, v1, v2
	ds_bpermute_b32 v2, v30, v1
	s_wait_dscnt 0x0
	v_dual_max_num_f32 v2, v2, v2 :: v_dual_lshlrev_b32 v21, 2, v3
	v_max_num_f32_e32 v1, v1, v2
	ds_bpermute_b32 v2, v21, v1
	s_wait_dscnt 0x0
	v_dual_cndmask_b32 v3, v93, v107 :: v_dual_max_num_f32 v2, v2, v2
	s_delay_alu instid0(VALU_DEP_1) | instskip(SKIP_3) | instid1(VALU_DEP_1)
	v_dual_max_num_f32 v1, v1, v2 :: v_dual_lshlrev_b32 v20, 2, v3
	ds_bpermute_b32 v2, v20, v1
	s_wait_dscnt 0x0
	v_dual_max_num_f32 v2, v2, v2 :: v_dual_bitop2_b32 v106, 1, v93 bitop3:0x14
	v_cmp_gt_i32_e32 vcc_lo, 32, v106
	s_delay_alu instid0(VALU_DEP_2) | instskip(SKIP_1) | instid1(VALU_DEP_1)
	v_max_num_f32_e32 v1, v1, v2
	v_cndmask_b32_e32 v3, v93, v106, vcc_lo
	v_lshlrev_b32_e32 v3, 2, v3
	ds_bpermute_b32 v2, v3, v1
	s_and_saveexec_b32 s25, s24
	s_delay_alu instid0(SALU_CYCLE_1)
	s_xor_b32 s24, exec_lo, s25
	s_cbranch_execz .LBB76_27
; %bb.26:                               ;   in Loop: Header=BB76_9 Depth=1
	v_add_f32_e64 v8, |v47|, |v47|
	s_delay_alu instid0(VALU_DEP_1) | instskip(SKIP_1) | instid1(VALU_DEP_2)
	v_mul_f32_e32 v9, 0x3fb8aa3b, v8
	v_cmp_ngt_f32_e32 vcc_lo, 0xc2ce8ed0, v8
	v_rndne_f32_e32 v10, v9
	v_fma_f32 v11, 0x3fb8aa3b, v8, -v9
	s_delay_alu instid0(VALU_DEP_2) | instskip(NEXT) | instid1(VALU_DEP_2)
	v_sub_f32_e32 v9, v9, v10
	v_fmac_f32_e32 v11, 0x32a5705f, v8
	v_cvt_i32_f32_e32 v10, v10
	s_delay_alu instid0(VALU_DEP_2) | instskip(NEXT) | instid1(VALU_DEP_1)
	v_add_f32_e32 v9, v9, v11
	v_exp_f32_e32 v9, v9
	v_nop
	s_delay_alu instid0(TRANS32_DEP_1) | instskip(NEXT) | instid1(VALU_DEP_1)
	v_ldexp_f32 v9, v9, v10
	v_cndmask_b32_e32 v9, 0, v9, vcc_lo
	v_cmp_nlt_f32_e32 vcc_lo, 0x42b17218, v8
	s_delay_alu instid0(VALU_DEP_2) | instskip(NEXT) | instid1(VALU_DEP_1)
	v_cndmask_b32_e32 v8, 0x7f800000, v9, vcc_lo
	v_add_f32_e32 v8, 1.0, v8
	s_delay_alu instid0(VALU_DEP_1) | instskip(SKIP_1) | instid1(TRANS32_DEP_1)
	v_rcp_f32_e32 v8, v8
	v_nop
	v_fma_f32 v8, v8, -2.0, 1.0
.LBB76_27:                              ;   in Loop: Header=BB76_9 Depth=1
	s_and_not1_saveexec_b32 s24, s24
	s_cbranch_execz .LBB76_29
; %bb.28:                               ;   in Loop: Header=BB76_9 Depth=1
	v_mul_f32_e32 v8, v47, v47
	s_delay_alu instid0(VALU_DEP_1) | instskip(NEXT) | instid1(VALU_DEP_1)
	v_fmaak_f32 v9, s3, v8, 0x3ca908c9
	v_fmaak_f32 v9, v8, v9, 0xbd5c1c4e
	s_delay_alu instid0(VALU_DEP_1) | instskip(NEXT) | instid1(VALU_DEP_1)
	v_fmaak_f32 v9, v8, v9, 0x3e088382
	v_fmaak_f32 v9, v8, v9, 0xbeaaaa99
	s_delay_alu instid0(VALU_DEP_1) | instskip(NEXT) | instid1(VALU_DEP_1)
	v_mul_f32_e64 v9, |v47|, v9
	v_fma_f32 v8, v8, v9, |v47|
.LBB76_29:                              ;   in Loop: Header=BB76_9 Depth=1
	s_or_b32 exec_lo, exec_lo, s24
	v_cmp_ngt_f32_e64 s24, 0x3f200000, |v48|
                                        ; implicit-def: $vgpr9
	s_and_saveexec_b32 s25, s24
	s_delay_alu instid0(SALU_CYCLE_1)
	s_xor_b32 s24, exec_lo, s25
	s_cbranch_execz .LBB76_31
; %bb.30:                               ;   in Loop: Header=BB76_9 Depth=1
	v_add_f32_e64 v9, |v48|, |v48|
	s_delay_alu instid0(VALU_DEP_1) | instskip(SKIP_1) | instid1(VALU_DEP_2)
	v_mul_f32_e32 v10, 0x3fb8aa3b, v9
	v_cmp_ngt_f32_e32 vcc_lo, 0xc2ce8ed0, v9
	v_rndne_f32_e32 v11, v10
	v_fma_f32 v12, 0x3fb8aa3b, v9, -v10
	s_delay_alu instid0(VALU_DEP_2) | instskip(NEXT) | instid1(VALU_DEP_2)
	v_sub_f32_e32 v10, v10, v11
	v_fmac_f32_e32 v12, 0x32a5705f, v9
	v_cvt_i32_f32_e32 v11, v11
	s_delay_alu instid0(VALU_DEP_2) | instskip(NEXT) | instid1(VALU_DEP_1)
	v_add_f32_e32 v10, v10, v12
	v_exp_f32_e32 v10, v10
	v_nop
	s_delay_alu instid0(TRANS32_DEP_1) | instskip(NEXT) | instid1(VALU_DEP_1)
	v_ldexp_f32 v10, v10, v11
	v_cndmask_b32_e32 v10, 0, v10, vcc_lo
	v_cmp_nlt_f32_e32 vcc_lo, 0x42b17218, v9
	s_delay_alu instid0(VALU_DEP_2) | instskip(NEXT) | instid1(VALU_DEP_1)
	v_cndmask_b32_e32 v9, 0x7f800000, v10, vcc_lo
	v_add_f32_e32 v9, 1.0, v9
	s_delay_alu instid0(VALU_DEP_1) | instskip(SKIP_1) | instid1(TRANS32_DEP_1)
	v_rcp_f32_e32 v9, v9
	v_nop
	v_fma_f32 v9, v9, -2.0, 1.0
.LBB76_31:                              ;   in Loop: Header=BB76_9 Depth=1
	s_and_not1_saveexec_b32 s24, s24
	s_cbranch_execz .LBB76_33
; %bb.32:                               ;   in Loop: Header=BB76_9 Depth=1
	v_mul_f32_e32 v9, v48, v48
	s_delay_alu instid0(VALU_DEP_1) | instskip(NEXT) | instid1(VALU_DEP_1)
	v_fmaak_f32 v10, s3, v9, 0x3ca908c9
	v_fmaak_f32 v10, v9, v10, 0xbd5c1c4e
	s_delay_alu instid0(VALU_DEP_1) | instskip(NEXT) | instid1(VALU_DEP_1)
	v_fmaak_f32 v10, v9, v10, 0x3e088382
	v_fmaak_f32 v10, v9, v10, 0xbeaaaa99
	s_delay_alu instid0(VALU_DEP_1) | instskip(NEXT) | instid1(VALU_DEP_1)
	v_mul_f32_e64 v10, |v48|, v10
	v_fma_f32 v9, v9, v10, |v48|
.LBB76_33:                              ;   in Loop: Header=BB76_9 Depth=1
	s_or_b32 exec_lo, exec_lo, s24
	v_cmp_ngt_f32_e64 s24, 0x3f200000, |v49|
                                        ; implicit-def: $vgpr10
	s_and_saveexec_b32 s25, s24
	s_delay_alu instid0(SALU_CYCLE_1)
	s_xor_b32 s24, exec_lo, s25
	s_cbranch_execz .LBB76_35
; %bb.34:                               ;   in Loop: Header=BB76_9 Depth=1
	v_add_f32_e64 v10, |v49|, |v49|
	s_delay_alu instid0(VALU_DEP_1) | instskip(SKIP_1) | instid1(VALU_DEP_2)
	v_mul_f32_e32 v11, 0x3fb8aa3b, v10
	v_cmp_ngt_f32_e32 vcc_lo, 0xc2ce8ed0, v10
	v_rndne_f32_e32 v12, v11
	v_fma_f32 v13, 0x3fb8aa3b, v10, -v11
	s_delay_alu instid0(VALU_DEP_2) | instskip(NEXT) | instid1(VALU_DEP_2)
	v_sub_f32_e32 v11, v11, v12
	v_fmac_f32_e32 v13, 0x32a5705f, v10
	v_cvt_i32_f32_e32 v12, v12
	s_delay_alu instid0(VALU_DEP_2) | instskip(NEXT) | instid1(VALU_DEP_1)
	v_add_f32_e32 v11, v11, v13
	v_exp_f32_e32 v11, v11
	v_nop
	s_delay_alu instid0(TRANS32_DEP_1) | instskip(NEXT) | instid1(VALU_DEP_1)
	v_ldexp_f32 v11, v11, v12
	v_cndmask_b32_e32 v11, 0, v11, vcc_lo
	v_cmp_nlt_f32_e32 vcc_lo, 0x42b17218, v10
	s_delay_alu instid0(VALU_DEP_2) | instskip(NEXT) | instid1(VALU_DEP_1)
	v_cndmask_b32_e32 v10, 0x7f800000, v11, vcc_lo
	v_add_f32_e32 v10, 1.0, v10
	s_delay_alu instid0(VALU_DEP_1) | instskip(SKIP_1) | instid1(TRANS32_DEP_1)
	v_rcp_f32_e32 v10, v10
	v_nop
	v_fma_f32 v10, v10, -2.0, 1.0
.LBB76_35:                              ;   in Loop: Header=BB76_9 Depth=1
	s_and_not1_saveexec_b32 s24, s24
	s_cbranch_execz .LBB76_37
; %bb.36:                               ;   in Loop: Header=BB76_9 Depth=1
	v_mul_f32_e32 v10, v49, v49
	s_delay_alu instid0(VALU_DEP_1) | instskip(NEXT) | instid1(VALU_DEP_1)
	v_fmaak_f32 v11, s3, v10, 0x3ca908c9
	v_fmaak_f32 v11, v10, v11, 0xbd5c1c4e
	s_delay_alu instid0(VALU_DEP_1) | instskip(NEXT) | instid1(VALU_DEP_1)
	v_fmaak_f32 v11, v10, v11, 0x3e088382
	v_fmaak_f32 v11, v10, v11, 0xbeaaaa99
	s_delay_alu instid0(VALU_DEP_1) | instskip(NEXT) | instid1(VALU_DEP_1)
	v_mul_f32_e64 v11, |v49|, v11
	v_fma_f32 v10, v10, v11, |v49|
.LBB76_37:                              ;   in Loop: Header=BB76_9 Depth=1
	s_or_b32 exec_lo, exec_lo, s24
	v_cmp_ngt_f32_e64 s24, 0x3f200000, |v50|
                                        ; implicit-def: $vgpr11
	s_and_saveexec_b32 s25, s24
	s_delay_alu instid0(SALU_CYCLE_1)
	s_xor_b32 s24, exec_lo, s25
	s_cbranch_execz .LBB76_39
; %bb.38:                               ;   in Loop: Header=BB76_9 Depth=1
	v_add_f32_e64 v11, |v50|, |v50|
	s_delay_alu instid0(VALU_DEP_1) | instskip(SKIP_1) | instid1(VALU_DEP_2)
	v_mul_f32_e32 v12, 0x3fb8aa3b, v11
	v_cmp_ngt_f32_e32 vcc_lo, 0xc2ce8ed0, v11
	v_rndne_f32_e32 v13, v12
	v_fma_f32 v14, 0x3fb8aa3b, v11, -v12
	s_delay_alu instid0(VALU_DEP_2) | instskip(NEXT) | instid1(VALU_DEP_2)
	v_sub_f32_e32 v12, v12, v13
	v_fmac_f32_e32 v14, 0x32a5705f, v11
	v_cvt_i32_f32_e32 v13, v13
	s_delay_alu instid0(VALU_DEP_2) | instskip(NEXT) | instid1(VALU_DEP_1)
	v_add_f32_e32 v12, v12, v14
	v_exp_f32_e32 v12, v12
	v_nop
	s_delay_alu instid0(TRANS32_DEP_1) | instskip(NEXT) | instid1(VALU_DEP_1)
	v_ldexp_f32 v12, v12, v13
	v_cndmask_b32_e32 v12, 0, v12, vcc_lo
	v_cmp_nlt_f32_e32 vcc_lo, 0x42b17218, v11
	s_delay_alu instid0(VALU_DEP_2) | instskip(NEXT) | instid1(VALU_DEP_1)
	v_cndmask_b32_e32 v11, 0x7f800000, v12, vcc_lo
	v_add_f32_e32 v11, 1.0, v11
	s_delay_alu instid0(VALU_DEP_1) | instskip(SKIP_1) | instid1(TRANS32_DEP_1)
	v_rcp_f32_e32 v11, v11
	v_nop
	v_fma_f32 v11, v11, -2.0, 1.0
.LBB76_39:                              ;   in Loop: Header=BB76_9 Depth=1
	s_and_not1_saveexec_b32 s24, s24
	s_cbranch_execz .LBB76_41
; %bb.40:                               ;   in Loop: Header=BB76_9 Depth=1
	v_mul_f32_e32 v11, v50, v50
	s_delay_alu instid0(VALU_DEP_1) | instskip(NEXT) | instid1(VALU_DEP_1)
	v_fmaak_f32 v12, s3, v11, 0x3ca908c9
	v_fmaak_f32 v12, v11, v12, 0xbd5c1c4e
	s_delay_alu instid0(VALU_DEP_1) | instskip(NEXT) | instid1(VALU_DEP_1)
	v_fmaak_f32 v12, v11, v12, 0x3e088382
	v_fmaak_f32 v12, v11, v12, 0xbeaaaa99
	s_delay_alu instid0(VALU_DEP_1) | instskip(NEXT) | instid1(VALU_DEP_1)
	v_mul_f32_e64 v12, |v50|, v12
	v_fma_f32 v11, v11, v12, |v50|
.LBB76_41:                              ;   in Loop: Header=BB76_9 Depth=1
	s_or_b32 exec_lo, exec_lo, s24
	v_cvt_f32_f16_e32 v25, v4
	v_bfi_b32 v4, 0x7fffffff, v8, v47
	v_cvt_f32_f16_e32 v24, v5
	v_bfi_b32 v5, 0x7fffffff, v9, v48
	v_cvt_f32_f16_e32 v23, v6
	v_cvt_f32_f16_e32 v22, v7
	v_fma_f32 v47, s26, v4, v25
	v_bfi_b32 v4, 0x7fffffff, v10, v49
	v_fma_f32 v48, s26, v5, v24
	v_bfi_b32 v5, 0x7fffffff, v11, v50
	v_cmp_ngt_f32_e64 s24, 0x3f200000, |v44|
	s_delay_alu instid0(VALU_DEP_4) | instskip(NEXT) | instid1(VALU_DEP_4)
	v_fma_f32 v50, s26, v4, v23
	v_add_f32_e32 v4, 0x40051340, v48
	s_delay_alu instid0(VALU_DEP_4) | instskip(NEXT) | instid1(VALU_DEP_3)
	v_fma_f32 v49, s26, v5, v22
	v_dual_add_f32 v6, 0x40051340, v47 :: v_dual_add_f32 v5, 0x40051340, v50
	s_delay_alu instid0(VALU_DEP_1) | instskip(NEXT) | instid1(VALU_DEP_3)
	v_max3_num_f32 v4, v43, v6, v4
	v_add_f32_e32 v6, 0x40051340, v49
	s_delay_alu instid0(VALU_DEP_1) | instskip(SKIP_3) | instid1(VALU_DEP_1)
	v_max3_num_f32 v4, v4, v5, v6
	ds_bpermute_b32 v5, v0, v4
	s_wait_dscnt 0x0
	v_max_num_f32_e32 v5, v5, v5
	v_max_num_f32_e32 v4, v4, v5
	ds_bpermute_b32 v5, v30, v4
	s_wait_dscnt 0x0
	v_max_num_f32_e32 v5, v5, v5
	s_delay_alu instid0(VALU_DEP_1) | instskip(SKIP_3) | instid1(VALU_DEP_1)
	v_max_num_f32_e32 v4, v4, v5
	ds_bpermute_b32 v5, v21, v4
	s_wait_dscnt 0x0
	v_max_num_f32_e32 v5, v5, v5
	v_max_num_f32_e32 v4, v4, v5
	ds_bpermute_b32 v5, v20, v4
	s_wait_dscnt 0x0
	v_max_num_f32_e32 v5, v5, v5
	s_delay_alu instid0(VALU_DEP_1) | instskip(SKIP_2) | instid1(SALU_CYCLE_1)
	v_max_num_f32_e32 v51, v4, v5
                                        ; implicit-def: $vgpr5
	ds_bpermute_b32 v4, v3, v51
	s_and_saveexec_b32 s25, s24
	s_xor_b32 s24, exec_lo, s25
	s_cbranch_execz .LBB76_43
; %bb.42:                               ;   in Loop: Header=BB76_9 Depth=1
	v_add_f32_e64 v5, |v44|, |v44|
	s_delay_alu instid0(VALU_DEP_1) | instskip(SKIP_1) | instid1(VALU_DEP_2)
	v_mul_f32_e32 v6, 0x3fb8aa3b, v5
	v_cmp_ngt_f32_e32 vcc_lo, 0xc2ce8ed0, v5
	v_rndne_f32_e32 v7, v6
	v_fma_f32 v8, 0x3fb8aa3b, v5, -v6
	s_delay_alu instid0(VALU_DEP_2) | instskip(NEXT) | instid1(VALU_DEP_2)
	v_sub_f32_e32 v6, v6, v7
	v_fmac_f32_e32 v8, 0x32a5705f, v5
	v_cvt_i32_f32_e32 v7, v7
	s_delay_alu instid0(VALU_DEP_2) | instskip(NEXT) | instid1(VALU_DEP_1)
	v_add_f32_e32 v6, v6, v8
	v_exp_f32_e32 v6, v6
	v_nop
	s_delay_alu instid0(TRANS32_DEP_1) | instskip(NEXT) | instid1(VALU_DEP_1)
	v_ldexp_f32 v6, v6, v7
	v_cndmask_b32_e32 v6, 0, v6, vcc_lo
	v_cmp_nlt_f32_e32 vcc_lo, 0x42b17218, v5
	s_delay_alu instid0(VALU_DEP_2) | instskip(NEXT) | instid1(VALU_DEP_1)
	v_cndmask_b32_e32 v5, 0x7f800000, v6, vcc_lo
	v_add_f32_e32 v5, 1.0, v5
	s_delay_alu instid0(VALU_DEP_1) | instskip(SKIP_1) | instid1(TRANS32_DEP_1)
	v_rcp_f32_e32 v5, v5
	v_nop
	v_fma_f32 v5, v5, -2.0, 1.0
.LBB76_43:                              ;   in Loop: Header=BB76_9 Depth=1
	s_and_not1_saveexec_b32 s24, s24
	s_cbranch_execz .LBB76_45
; %bb.44:                               ;   in Loop: Header=BB76_9 Depth=1
	v_mul_f32_e32 v5, v44, v44
	s_delay_alu instid0(VALU_DEP_1) | instskip(NEXT) | instid1(VALU_DEP_1)
	v_fmaak_f32 v6, s3, v5, 0x3ca908c9
	v_fmaak_f32 v6, v5, v6, 0xbd5c1c4e
	s_delay_alu instid0(VALU_DEP_1) | instskip(NEXT) | instid1(VALU_DEP_1)
	v_fmaak_f32 v6, v5, v6, 0x3e088382
	v_fmaak_f32 v6, v5, v6, 0xbeaaaa99
	s_delay_alu instid0(VALU_DEP_1) | instskip(NEXT) | instid1(VALU_DEP_1)
	v_mul_f32_e64 v6, |v44|, v6
	v_fma_f32 v5, v5, v6, |v44|
.LBB76_45:                              ;   in Loop: Header=BB76_9 Depth=1
	s_or_b32 exec_lo, exec_lo, s24
	v_cmp_ngt_f32_e64 s24, 0x3f200000, |v45|
                                        ; implicit-def: $vgpr6
	s_and_saveexec_b32 s25, s24
	s_delay_alu instid0(SALU_CYCLE_1)
	s_xor_b32 s24, exec_lo, s25
	s_cbranch_execz .LBB76_47
; %bb.46:                               ;   in Loop: Header=BB76_9 Depth=1
	v_add_f32_e64 v6, |v45|, |v45|
	s_delay_alu instid0(VALU_DEP_1) | instskip(SKIP_1) | instid1(VALU_DEP_2)
	v_mul_f32_e32 v7, 0x3fb8aa3b, v6
	v_cmp_ngt_f32_e32 vcc_lo, 0xc2ce8ed0, v6
	v_rndne_f32_e32 v8, v7
	v_fma_f32 v9, 0x3fb8aa3b, v6, -v7
	s_delay_alu instid0(VALU_DEP_2) | instskip(NEXT) | instid1(VALU_DEP_2)
	v_sub_f32_e32 v7, v7, v8
	v_fmac_f32_e32 v9, 0x32a5705f, v6
	v_cvt_i32_f32_e32 v8, v8
	s_delay_alu instid0(VALU_DEP_2) | instskip(NEXT) | instid1(VALU_DEP_1)
	v_add_f32_e32 v7, v7, v9
	v_exp_f32_e32 v7, v7
	v_nop
	s_delay_alu instid0(TRANS32_DEP_1) | instskip(NEXT) | instid1(VALU_DEP_1)
	v_ldexp_f32 v7, v7, v8
	v_cndmask_b32_e32 v7, 0, v7, vcc_lo
	v_cmp_nlt_f32_e32 vcc_lo, 0x42b17218, v6
	s_delay_alu instid0(VALU_DEP_2) | instskip(NEXT) | instid1(VALU_DEP_1)
	v_cndmask_b32_e32 v6, 0x7f800000, v7, vcc_lo
	v_add_f32_e32 v6, 1.0, v6
	s_delay_alu instid0(VALU_DEP_1) | instskip(SKIP_1) | instid1(TRANS32_DEP_1)
	v_rcp_f32_e32 v6, v6
	v_nop
	v_fma_f32 v6, v6, -2.0, 1.0
.LBB76_47:                              ;   in Loop: Header=BB76_9 Depth=1
	s_and_not1_saveexec_b32 s24, s24
	s_cbranch_execz .LBB76_49
; %bb.48:                               ;   in Loop: Header=BB76_9 Depth=1
	v_mul_f32_e32 v6, v45, v45
	s_delay_alu instid0(VALU_DEP_1) | instskip(NEXT) | instid1(VALU_DEP_1)
	v_fmaak_f32 v7, s3, v6, 0x3ca908c9
	v_fmaak_f32 v7, v6, v7, 0xbd5c1c4e
	s_delay_alu instid0(VALU_DEP_1) | instskip(NEXT) | instid1(VALU_DEP_1)
	v_fmaak_f32 v7, v6, v7, 0x3e088382
	v_fmaak_f32 v7, v6, v7, 0xbeaaaa99
	s_delay_alu instid0(VALU_DEP_1) | instskip(NEXT) | instid1(VALU_DEP_1)
	v_mul_f32_e64 v7, |v45|, v7
	v_fma_f32 v6, v6, v7, |v45|
.LBB76_49:                              ;   in Loop: Header=BB76_9 Depth=1
	s_or_b32 exec_lo, exec_lo, s24
	v_cmp_ngt_f32_e64 s24, 0x3f200000, |v46|
                                        ; implicit-def: $vgpr7
	s_and_saveexec_b32 s25, s24
	s_delay_alu instid0(SALU_CYCLE_1)
	s_xor_b32 s24, exec_lo, s25
	s_cbranch_execz .LBB76_51
; %bb.50:                               ;   in Loop: Header=BB76_9 Depth=1
	v_add_f32_e64 v7, |v46|, |v46|
	s_delay_alu instid0(VALU_DEP_1) | instskip(SKIP_1) | instid1(VALU_DEP_2)
	v_mul_f32_e32 v8, 0x3fb8aa3b, v7
	v_cmp_ngt_f32_e32 vcc_lo, 0xc2ce8ed0, v7
	v_rndne_f32_e32 v9, v8
	v_fma_f32 v10, 0x3fb8aa3b, v7, -v8
	s_delay_alu instid0(VALU_DEP_2) | instskip(NEXT) | instid1(VALU_DEP_2)
	v_sub_f32_e32 v8, v8, v9
	v_fmac_f32_e32 v10, 0x32a5705f, v7
	v_cvt_i32_f32_e32 v9, v9
	s_delay_alu instid0(VALU_DEP_2) | instskip(NEXT) | instid1(VALU_DEP_1)
	v_add_f32_e32 v8, v8, v10
	v_exp_f32_e32 v8, v8
	v_nop
	s_delay_alu instid0(TRANS32_DEP_1) | instskip(NEXT) | instid1(VALU_DEP_1)
	v_ldexp_f32 v8, v8, v9
	v_cndmask_b32_e32 v8, 0, v8, vcc_lo
	v_cmp_nlt_f32_e32 vcc_lo, 0x42b17218, v7
	s_delay_alu instid0(VALU_DEP_2) | instskip(NEXT) | instid1(VALU_DEP_1)
	v_cndmask_b32_e32 v7, 0x7f800000, v8, vcc_lo
	v_add_f32_e32 v7, 1.0, v7
	s_delay_alu instid0(VALU_DEP_1) | instskip(SKIP_1) | instid1(TRANS32_DEP_1)
	v_rcp_f32_e32 v7, v7
	v_nop
	v_fma_f32 v7, v7, -2.0, 1.0
.LBB76_51:                              ;   in Loop: Header=BB76_9 Depth=1
	s_and_not1_saveexec_b32 s24, s24
	s_cbranch_execz .LBB76_53
; %bb.52:                               ;   in Loop: Header=BB76_9 Depth=1
	v_mul_f32_e32 v7, v46, v46
	s_delay_alu instid0(VALU_DEP_1) | instskip(NEXT) | instid1(VALU_DEP_1)
	v_fmaak_f32 v8, s3, v7, 0x3ca908c9
	v_fmaak_f32 v8, v7, v8, 0xbd5c1c4e
	s_delay_alu instid0(VALU_DEP_1) | instskip(NEXT) | instid1(VALU_DEP_1)
	v_fmaak_f32 v8, v7, v8, 0x3e088382
	v_fmaak_f32 v8, v7, v8, 0xbeaaaa99
	s_delay_alu instid0(VALU_DEP_1) | instskip(NEXT) | instid1(VALU_DEP_1)
	v_mul_f32_e64 v8, |v46|, v8
	v_fma_f32 v7, v7, v8, |v46|
.LBB76_53:                              ;   in Loop: Header=BB76_9 Depth=1
	s_or_b32 exec_lo, exec_lo, s24
	v_cmp_ngt_f32_e64 s24, 0x3f200000, |v56|
                                        ; implicit-def: $vgpr8
	s_and_saveexec_b32 s25, s24
	s_delay_alu instid0(SALU_CYCLE_1)
	s_xor_b32 s24, exec_lo, s25
	s_cbranch_execz .LBB76_55
; %bb.54:                               ;   in Loop: Header=BB76_9 Depth=1
	v_add_f32_e64 v8, |v56|, |v56|
	s_delay_alu instid0(VALU_DEP_1) | instskip(SKIP_1) | instid1(VALU_DEP_2)
	v_mul_f32_e32 v9, 0x3fb8aa3b, v8
	v_cmp_ngt_f32_e32 vcc_lo, 0xc2ce8ed0, v8
	v_rndne_f32_e32 v10, v9
	v_fma_f32 v11, 0x3fb8aa3b, v8, -v9
	s_delay_alu instid0(VALU_DEP_2) | instskip(NEXT) | instid1(VALU_DEP_2)
	v_sub_f32_e32 v9, v9, v10
	v_fmac_f32_e32 v11, 0x32a5705f, v8
	v_cvt_i32_f32_e32 v10, v10
	s_delay_alu instid0(VALU_DEP_2) | instskip(NEXT) | instid1(VALU_DEP_1)
	v_add_f32_e32 v9, v9, v11
	v_exp_f32_e32 v9, v9
	v_nop
	s_delay_alu instid0(TRANS32_DEP_1) | instskip(NEXT) | instid1(VALU_DEP_1)
	v_ldexp_f32 v9, v9, v10
	v_cndmask_b32_e32 v9, 0, v9, vcc_lo
	v_cmp_nlt_f32_e32 vcc_lo, 0x42b17218, v8
	s_delay_alu instid0(VALU_DEP_2) | instskip(NEXT) | instid1(VALU_DEP_1)
	v_cndmask_b32_e32 v8, 0x7f800000, v9, vcc_lo
	v_add_f32_e32 v8, 1.0, v8
	s_delay_alu instid0(VALU_DEP_1) | instskip(SKIP_1) | instid1(TRANS32_DEP_1)
	v_rcp_f32_e32 v8, v8
	v_nop
	v_fma_f32 v8, v8, -2.0, 1.0
.LBB76_55:                              ;   in Loop: Header=BB76_9 Depth=1
	s_and_not1_saveexec_b32 s24, s24
	s_cbranch_execz .LBB76_57
; %bb.56:                               ;   in Loop: Header=BB76_9 Depth=1
	v_mul_f32_e32 v8, v56, v56
	s_delay_alu instid0(VALU_DEP_1) | instskip(NEXT) | instid1(VALU_DEP_1)
	v_fmaak_f32 v9, s3, v8, 0x3ca908c9
	v_fmaak_f32 v9, v8, v9, 0xbd5c1c4e
	s_delay_alu instid0(VALU_DEP_1) | instskip(NEXT) | instid1(VALU_DEP_1)
	v_fmaak_f32 v9, v8, v9, 0x3e088382
	v_fmaak_f32 v9, v8, v9, 0xbeaaaa99
	s_delay_alu instid0(VALU_DEP_1) | instskip(NEXT) | instid1(VALU_DEP_1)
	v_mul_f32_e64 v9, |v56|, v9
	v_fma_f32 v8, v8, v9, |v56|
.LBB76_57:                              ;   in Loop: Header=BB76_9 Depth=1
	s_or_b32 exec_lo, exec_lo, s24
	v_bfi_b32 v5, 0x7fffffff, v5, v44
	v_bfi_b32 v6, 0x7fffffff, v6, v45
	;; [unrolled: 1-line block ×3, first 2 shown]
	v_cmp_ngt_f32_e64 s24, 0x3f200000, |v52|
	s_delay_alu instid0(VALU_DEP_3) | instskip(SKIP_1) | instid1(VALU_DEP_4)
	v_dual_fma_f32 v46, s26, v5, v25 :: v_dual_fma_f32 v45, s26, v6, v24
	v_bfi_b32 v5, 0x7fffffff, v8, v56
	v_fma_f32 v44, s26, v7, v23
	s_delay_alu instid0(VALU_DEP_3) | instskip(NEXT) | instid1(VALU_DEP_3)
	v_dual_add_f32 v6, 0x40051340, v46 :: v_dual_add_f32 v7, 0x40051340, v45
	v_fma_f32 v31, s26, v5, v22
	s_delay_alu instid0(VALU_DEP_3) | instskip(NEXT) | instid1(VALU_DEP_3)
	v_add_f32_e32 v5, 0x40051340, v44
	v_max3_num_f32 v6, v41, v6, v7
	s_delay_alu instid0(VALU_DEP_3) | instskip(NEXT) | instid1(VALU_DEP_1)
	v_add_f32_e32 v7, 0x40051340, v31
	v_max3_num_f32 v5, v6, v5, v7
                                        ; implicit-def: $vgpr7
	ds_bpermute_b32 v6, v0, v5
	s_wait_dscnt 0x0
	v_max_num_f32_e32 v6, v6, v6
	s_delay_alu instid0(VALU_DEP_1) | instskip(SKIP_3) | instid1(VALU_DEP_1)
	v_max_num_f32_e32 v5, v5, v6
	ds_bpermute_b32 v6, v30, v5
	s_wait_dscnt 0x0
	v_max_num_f32_e32 v6, v6, v6
	v_max_num_f32_e32 v5, v5, v6
	ds_bpermute_b32 v6, v21, v5
	s_wait_dscnt 0x0
	v_max_num_f32_e32 v6, v6, v6
	s_delay_alu instid0(VALU_DEP_1) | instskip(SKIP_3) | instid1(VALU_DEP_1)
	v_max_num_f32_e32 v5, v5, v6
	ds_bpermute_b32 v6, v20, v5
	s_wait_dscnt 0x0
	v_max_num_f32_e32 v6, v6, v6
	v_max_num_f32_e32 v5, v5, v6
	ds_bpermute_b32 v6, v3, v5
	s_and_saveexec_b32 s25, s24
	s_delay_alu instid0(SALU_CYCLE_1)
	s_xor_b32 s24, exec_lo, s25
	s_cbranch_execz .LBB76_59
; %bb.58:                               ;   in Loop: Header=BB76_9 Depth=1
	v_add_f32_e64 v7, |v52|, |v52|
	s_delay_alu instid0(VALU_DEP_1) | instskip(SKIP_1) | instid1(VALU_DEP_2)
	v_mul_f32_e32 v8, 0x3fb8aa3b, v7
	v_cmp_ngt_f32_e32 vcc_lo, 0xc2ce8ed0, v7
	v_rndne_f32_e32 v9, v8
	v_fma_f32 v10, 0x3fb8aa3b, v7, -v8
	s_delay_alu instid0(VALU_DEP_2) | instskip(NEXT) | instid1(VALU_DEP_2)
	v_sub_f32_e32 v8, v8, v9
	v_fmac_f32_e32 v10, 0x32a5705f, v7
	v_cvt_i32_f32_e32 v9, v9
	s_delay_alu instid0(VALU_DEP_2) | instskip(NEXT) | instid1(VALU_DEP_1)
	v_add_f32_e32 v8, v8, v10
	v_exp_f32_e32 v8, v8
	v_nop
	s_delay_alu instid0(TRANS32_DEP_1) | instskip(NEXT) | instid1(VALU_DEP_1)
	v_ldexp_f32 v8, v8, v9
	v_cndmask_b32_e32 v8, 0, v8, vcc_lo
	v_cmp_nlt_f32_e32 vcc_lo, 0x42b17218, v7
	s_delay_alu instid0(VALU_DEP_2) | instskip(NEXT) | instid1(VALU_DEP_1)
	v_cndmask_b32_e32 v7, 0x7f800000, v8, vcc_lo
	v_add_f32_e32 v7, 1.0, v7
	s_delay_alu instid0(VALU_DEP_1) | instskip(SKIP_1) | instid1(TRANS32_DEP_1)
	v_rcp_f32_e32 v7, v7
	v_nop
	v_fma_f32 v7, v7, -2.0, 1.0
.LBB76_59:                              ;   in Loop: Header=BB76_9 Depth=1
	s_and_not1_saveexec_b32 s24, s24
	s_cbranch_execz .LBB76_61
; %bb.60:                               ;   in Loop: Header=BB76_9 Depth=1
	v_mul_f32_e32 v7, v52, v52
	s_delay_alu instid0(VALU_DEP_1) | instskip(NEXT) | instid1(VALU_DEP_1)
	v_fmaak_f32 v8, s3, v7, 0x3ca908c9
	v_fmaak_f32 v8, v7, v8, 0xbd5c1c4e
	s_delay_alu instid0(VALU_DEP_1) | instskip(NEXT) | instid1(VALU_DEP_1)
	v_fmaak_f32 v8, v7, v8, 0x3e088382
	v_fmaak_f32 v8, v7, v8, 0xbeaaaa99
	s_delay_alu instid0(VALU_DEP_1) | instskip(NEXT) | instid1(VALU_DEP_1)
	v_mul_f32_e64 v8, |v52|, v8
	v_fma_f32 v7, v7, v8, |v52|
.LBB76_61:                              ;   in Loop: Header=BB76_9 Depth=1
	s_or_b32 exec_lo, exec_lo, s24
	v_cmp_ngt_f32_e64 s24, 0x3f200000, |v53|
                                        ; implicit-def: $vgpr8
	s_and_saveexec_b32 s25, s24
	s_delay_alu instid0(SALU_CYCLE_1)
	s_xor_b32 s24, exec_lo, s25
	s_cbranch_execz .LBB76_63
; %bb.62:                               ;   in Loop: Header=BB76_9 Depth=1
	v_add_f32_e64 v8, |v53|, |v53|
	s_delay_alu instid0(VALU_DEP_1) | instskip(SKIP_1) | instid1(VALU_DEP_2)
	v_mul_f32_e32 v9, 0x3fb8aa3b, v8
	v_cmp_ngt_f32_e32 vcc_lo, 0xc2ce8ed0, v8
	v_rndne_f32_e32 v10, v9
	v_fma_f32 v11, 0x3fb8aa3b, v8, -v9
	s_delay_alu instid0(VALU_DEP_2) | instskip(NEXT) | instid1(VALU_DEP_2)
	v_sub_f32_e32 v9, v9, v10
	v_fmac_f32_e32 v11, 0x32a5705f, v8
	v_cvt_i32_f32_e32 v10, v10
	s_delay_alu instid0(VALU_DEP_2) | instskip(NEXT) | instid1(VALU_DEP_1)
	v_add_f32_e32 v9, v9, v11
	v_exp_f32_e32 v9, v9
	v_nop
	s_delay_alu instid0(TRANS32_DEP_1) | instskip(NEXT) | instid1(VALU_DEP_1)
	v_ldexp_f32 v9, v9, v10
	v_cndmask_b32_e32 v9, 0, v9, vcc_lo
	v_cmp_nlt_f32_e32 vcc_lo, 0x42b17218, v8
	s_delay_alu instid0(VALU_DEP_2) | instskip(NEXT) | instid1(VALU_DEP_1)
	v_cndmask_b32_e32 v8, 0x7f800000, v9, vcc_lo
	v_add_f32_e32 v8, 1.0, v8
	s_delay_alu instid0(VALU_DEP_1) | instskip(SKIP_1) | instid1(TRANS32_DEP_1)
	v_rcp_f32_e32 v8, v8
	v_nop
	v_fma_f32 v8, v8, -2.0, 1.0
.LBB76_63:                              ;   in Loop: Header=BB76_9 Depth=1
	s_and_not1_saveexec_b32 s24, s24
	s_cbranch_execz .LBB76_65
; %bb.64:                               ;   in Loop: Header=BB76_9 Depth=1
	v_mul_f32_e32 v8, v53, v53
	s_delay_alu instid0(VALU_DEP_1) | instskip(NEXT) | instid1(VALU_DEP_1)
	v_fmaak_f32 v9, s3, v8, 0x3ca908c9
	v_fmaak_f32 v9, v8, v9, 0xbd5c1c4e
	s_delay_alu instid0(VALU_DEP_1) | instskip(NEXT) | instid1(VALU_DEP_1)
	v_fmaak_f32 v9, v8, v9, 0x3e088382
	v_fmaak_f32 v9, v8, v9, 0xbeaaaa99
	s_delay_alu instid0(VALU_DEP_1) | instskip(NEXT) | instid1(VALU_DEP_1)
	v_mul_f32_e64 v9, |v53|, v9
	v_fma_f32 v8, v8, v9, |v53|
.LBB76_65:                              ;   in Loop: Header=BB76_9 Depth=1
	s_or_b32 exec_lo, exec_lo, s24
	v_cmp_ngt_f32_e64 s24, 0x3f200000, |v54|
                                        ; implicit-def: $vgpr9
	s_and_saveexec_b32 s25, s24
	s_delay_alu instid0(SALU_CYCLE_1)
	s_xor_b32 s24, exec_lo, s25
	s_cbranch_execz .LBB76_67
; %bb.66:                               ;   in Loop: Header=BB76_9 Depth=1
	v_add_f32_e64 v9, |v54|, |v54|
	s_delay_alu instid0(VALU_DEP_1) | instskip(SKIP_1) | instid1(VALU_DEP_2)
	v_mul_f32_e32 v10, 0x3fb8aa3b, v9
	v_cmp_ngt_f32_e32 vcc_lo, 0xc2ce8ed0, v9
	v_rndne_f32_e32 v11, v10
	v_fma_f32 v12, 0x3fb8aa3b, v9, -v10
	s_delay_alu instid0(VALU_DEP_2) | instskip(NEXT) | instid1(VALU_DEP_2)
	v_sub_f32_e32 v10, v10, v11
	v_fmac_f32_e32 v12, 0x32a5705f, v9
	v_cvt_i32_f32_e32 v11, v11
	s_delay_alu instid0(VALU_DEP_2) | instskip(NEXT) | instid1(VALU_DEP_1)
	v_add_f32_e32 v10, v10, v12
	v_exp_f32_e32 v10, v10
	v_nop
	s_delay_alu instid0(TRANS32_DEP_1) | instskip(NEXT) | instid1(VALU_DEP_1)
	v_ldexp_f32 v10, v10, v11
	v_cndmask_b32_e32 v10, 0, v10, vcc_lo
	v_cmp_nlt_f32_e32 vcc_lo, 0x42b17218, v9
	s_delay_alu instid0(VALU_DEP_2) | instskip(NEXT) | instid1(VALU_DEP_1)
	v_cndmask_b32_e32 v9, 0x7f800000, v10, vcc_lo
	v_add_f32_e32 v9, 1.0, v9
	s_delay_alu instid0(VALU_DEP_1) | instskip(SKIP_1) | instid1(TRANS32_DEP_1)
	v_rcp_f32_e32 v9, v9
	v_nop
	v_fma_f32 v9, v9, -2.0, 1.0
.LBB76_67:                              ;   in Loop: Header=BB76_9 Depth=1
	s_and_not1_saveexec_b32 s24, s24
	s_cbranch_execz .LBB76_69
; %bb.68:                               ;   in Loop: Header=BB76_9 Depth=1
	v_mul_f32_e32 v9, v54, v54
	s_delay_alu instid0(VALU_DEP_1) | instskip(NEXT) | instid1(VALU_DEP_1)
	v_fmaak_f32 v10, s3, v9, 0x3ca908c9
	v_fmaak_f32 v10, v9, v10, 0xbd5c1c4e
	s_delay_alu instid0(VALU_DEP_1) | instskip(NEXT) | instid1(VALU_DEP_1)
	v_fmaak_f32 v10, v9, v10, 0x3e088382
	v_fmaak_f32 v10, v9, v10, 0xbeaaaa99
	s_delay_alu instid0(VALU_DEP_1) | instskip(NEXT) | instid1(VALU_DEP_1)
	v_mul_f32_e64 v10, |v54|, v10
	v_fma_f32 v9, v9, v10, |v54|
.LBB76_69:                              ;   in Loop: Header=BB76_9 Depth=1
	s_or_b32 exec_lo, exec_lo, s24
	v_cmp_ngt_f32_e64 s24, 0x3f200000, |v55|
                                        ; implicit-def: $vgpr10
	s_and_saveexec_b32 s25, s24
	s_delay_alu instid0(SALU_CYCLE_1)
	s_xor_b32 s24, exec_lo, s25
	s_cbranch_execz .LBB76_71
; %bb.70:                               ;   in Loop: Header=BB76_9 Depth=1
	v_add_f32_e64 v10, |v55|, |v55|
	s_delay_alu instid0(VALU_DEP_1) | instskip(SKIP_1) | instid1(VALU_DEP_2)
	v_mul_f32_e32 v11, 0x3fb8aa3b, v10
	v_cmp_ngt_f32_e32 vcc_lo, 0xc2ce8ed0, v10
	v_rndne_f32_e32 v12, v11
	v_fma_f32 v13, 0x3fb8aa3b, v10, -v11
	s_delay_alu instid0(VALU_DEP_2) | instskip(NEXT) | instid1(VALU_DEP_2)
	v_sub_f32_e32 v11, v11, v12
	v_fmac_f32_e32 v13, 0x32a5705f, v10
	v_cvt_i32_f32_e32 v12, v12
	s_delay_alu instid0(VALU_DEP_2) | instskip(NEXT) | instid1(VALU_DEP_1)
	v_add_f32_e32 v11, v11, v13
	v_exp_f32_e32 v11, v11
	v_nop
	s_delay_alu instid0(TRANS32_DEP_1) | instskip(NEXT) | instid1(VALU_DEP_1)
	v_ldexp_f32 v11, v11, v12
	v_cndmask_b32_e32 v11, 0, v11, vcc_lo
	v_cmp_nlt_f32_e32 vcc_lo, 0x42b17218, v10
	s_delay_alu instid0(VALU_DEP_2) | instskip(NEXT) | instid1(VALU_DEP_1)
	v_cndmask_b32_e32 v10, 0x7f800000, v11, vcc_lo
	v_add_f32_e32 v10, 1.0, v10
	s_delay_alu instid0(VALU_DEP_1) | instskip(SKIP_1) | instid1(TRANS32_DEP_1)
	v_rcp_f32_e32 v10, v10
	v_nop
	v_fma_f32 v10, v10, -2.0, 1.0
.LBB76_71:                              ;   in Loop: Header=BB76_9 Depth=1
	s_and_not1_saveexec_b32 s24, s24
	s_cbranch_execz .LBB76_73
; %bb.72:                               ;   in Loop: Header=BB76_9 Depth=1
	v_mul_f32_e32 v10, v55, v55
	s_delay_alu instid0(VALU_DEP_1) | instskip(NEXT) | instid1(VALU_DEP_1)
	v_fmaak_f32 v11, s3, v10, 0x3ca908c9
	v_fmaak_f32 v11, v10, v11, 0xbd5c1c4e
	s_delay_alu instid0(VALU_DEP_1) | instskip(NEXT) | instid1(VALU_DEP_1)
	v_fmaak_f32 v11, v10, v11, 0x3e088382
	v_fmaak_f32 v11, v10, v11, 0xbeaaaa99
	s_delay_alu instid0(VALU_DEP_1) | instskip(NEXT) | instid1(VALU_DEP_1)
	v_mul_f32_e64 v11, |v55|, v11
	v_fma_f32 v10, v10, v11, |v55|
.LBB76_73:                              ;   in Loop: Header=BB76_9 Depth=1
	s_or_b32 exec_lo, exec_lo, s24
	v_bfi_b32 v7, 0x7fffffff, v7, v52
	v_bfi_b32 v8, 0x7fffffff, v8, v53
	;; [unrolled: 1-line block ×4, first 2 shown]
	s_wait_dscnt 0x0
	v_dual_max_num_f32 v58, v6, v6 :: v_dual_fmac_f32 v25, s26, v7
	s_delay_alu instid0(VALU_DEP_3) | instskip(NEXT) | instid1(VALU_DEP_3)
	v_dual_fmac_f32 v24, s26, v8 :: v_dual_fmac_f32 v23, s26, v9
	v_fmac_f32_e32 v22, s26, v10
	s_mul_u64 s[24:25], s[4:5], s[10:11]
	s_delay_alu instid0(VALU_DEP_2) | instskip(NEXT) | instid1(VALU_DEP_2)
	v_dual_add_f32 v6, 0x40051340, v25 :: v_dual_add_f32 v7, 0x40051340, v24
	v_dual_max_num_f32 v59, v5, v5 :: v_dual_add_f32 v8, 0x40051340, v22
	v_add_f32_e32 v5, 0x40051340, v23
	s_lshl_b64 s[24:25], s[24:25], 2
	s_delay_alu instid0(VALU_DEP_3) | instskip(SKIP_3) | instid1(VALU_DEP_3)
	v_max3_num_f32 v6, v40, v6, v7
	s_add_nc_u64 s[24:25], s[8:9], s[24:25]
	v_dual_max_num_f32 v60, v4, v4 :: v_dual_max_num_f32 v2, v2, v2
	v_add_nc_u64_e32 v[10:11], s[24:25], v[86:87]
	v_max3_num_f32 v61, v6, v5, v8
	v_add_nc_u64_e32 v[4:5], s[24:25], v[80:81]
	v_add_nc_u64_e32 v[6:7], s[24:25], v[82:83]
	v_add_nc_u64_e32 v[8:9], s[24:25], v[84:85]
	v_max_num_f32_e32 v63, v1, v1
	ds_bpermute_b32 v62, v0, v61
	v_add_nc_u64_e32 v[56:57], v[10:11], v[72:73]
	s_wait_dscnt 0x0
	v_add_nc_u64_e32 v[0:1], v[4:5], v[72:73]
	v_add_nc_u64_e32 v[52:53], v[6:7], v[72:73]
	;; [unrolled: 1-line block ×3, first 2 shown]
	s_barrier_signal -1
	s_barrier_wait -1
	s_clause 0x3
	global_load_b128 v[4:7], v[0:1], off
	global_load_b128 v[8:11], v[52:53], off
	;; [unrolled: 1-line block ×4, first 2 shown]
	s_wait_xcnt 0x3
	v_max_num_f32_e32 v1, v51, v51
	v_max_num_f32_e32 v0, v63, v2
	s_or_b32 s24, s4, 64
	s_delay_alu instid0(SALU_CYCLE_1) | instskip(NEXT) | instid1(VALU_DEP_2)
	s_ashr_i32 s25, s24, 31
	v_max_num_f32_e32 v1, v1, v60
	s_wait_xcnt 0x2
	v_dual_sub_f32 v26, v26, v0 :: v_dual_sub_f32 v52, v28, v0
	v_dual_sub_f32 v27, v27, v0 :: v_dual_max_num_f32 v51, v62, v62
	v_dual_sub_f32 v29, v29, v0 :: v_dual_max_num_f32 v2, v59, v58
	s_delay_alu instid0(VALU_DEP_2)
	v_dual_sub_f32 v42, v42, v0 :: v_dual_mul_f32 v53, 0x3fb8aa3b, v27
	s_wait_xcnt 0x1
	v_mul_f32_e32 v54, 0x3fb8aa3b, v52
	v_dual_max_num_f32 v28, v61, v51 :: v_dual_sub_f32 v51, v43, v1
	v_sub_f32_e32 v43, v47, v1
	v_fma_f32 v111, 0x3fb8aa3b, v27, -v53
	v_dual_sub_f32 v47, v48, v1 :: v_dual_sub_f32 v50, v50, v1
	ds_bpermute_b32 v30, v30, v28
	v_mul_f32_e32 v61, 0x3fb8aa3b, v51
	v_dual_sub_f32 v49, v49, v1 :: v_dual_mul_f32 v48, 0x3fb8aa3b, v26
	s_wait_xcnt 0x0
	v_mul_f32_e32 v57, 0x3fb8aa3b, v43
	v_dual_mul_f32 v58, 0x3fb8aa3b, v47 :: v_dual_mul_f32 v59, 0x3fb8aa3b, v50
	s_delay_alu instid0(VALU_DEP_3) | instskip(SKIP_1) | instid1(VALU_DEP_4)
	v_mul_f32_e32 v60, 0x3fb8aa3b, v49
	v_dual_mul_f32 v55, 0x3fb8aa3b, v29 :: v_dual_mul_f32 v56, 0x3fb8aa3b, v42
	v_rndne_f32_e32 v120, v57
	s_delay_alu instid0(VALU_DEP_4)
	v_fma_f32 v122, 0x3fb8aa3b, v50, -v59
	v_fma_f32 v119, 0x3fb8aa3b, v43, -v57
	v_rndne_f32_e32 v114, v54
	v_fma_f32 v115, 0x3fb8aa3b, v29, -v55
	v_rndne_f32_e32 v116, v55
	;; [unrolled: 2-line block ×4, first 2 shown]
	s_wait_dscnt 0x0
	v_max_num_f32_e32 v30, v30, v30
	v_rndne_f32_e32 v112, v53
	v_fmac_f32_e32 v111, 0x32a5705f, v27
	v_fma_f32 v113, 0x3fb8aa3b, v52, -v54
	v_dual_sub_f32 v54, v54, v114 :: v_dual_fmac_f32 v115, 0x32a5705f, v29
	v_max_num_f32_e32 v28, v28, v30
	v_fma_f32 v30, 0x3fb8aa3b, v47, -v58
	v_dual_sub_f32 v55, v55, v116 :: v_dual_sub_f32 v56, v56, v118
	v_fmac_f32_e32 v117, 0x32a5705f, v42
	ds_bpermute_b32 v21, v21, v28
	v_rndne_f32_e32 v121, v58
	v_rndne_f32_e32 v123, v59
	v_dual_fmac_f32 v62, 0x32a5705f, v26 :: v_dual_sub_f32 v53, v53, v112
	v_dual_sub_f32 v48, v48, v63 :: v_dual_fmac_f32 v113, 0x32a5705f, v52
	v_fmac_f32_e32 v30, 0x32a5705f, v47
	v_dual_add_f32 v55, v55, v115 :: v_dual_add_f32 v56, v56, v117
	v_fmac_f32_e32 v119, 0x32a5705f, v43
	s_delay_alu instid0(VALU_DEP_4) | instskip(SKIP_1) | instid1(VALU_DEP_4)
	v_dual_sub_f32 v59, v59, v123 :: v_dual_add_f32 v48, v48, v62
	v_dual_add_f32 v53, v53, v111 :: v_dual_add_f32 v54, v54, v113
	v_exp_f32_e32 v56, v56
	v_fmac_f32_e32 v122, 0x32a5705f, v50
	v_cvt_i32_f32_e32 v118, v118
	v_exp_f32_e32 v48, v48
	v_exp_f32_e32 v53, v53
	s_wait_dscnt 0x0
	v_max_num_f32_e32 v21, v21, v21
	v_sub_f32_e32 v57, v57, v120
	v_exp_f32_e32 v54, v54
	v_cvt_i32_f32_e32 v63, v63
	v_cvt_i32_f32_e32 v112, v112
	v_max_num_f32_e32 v21, v28, v21
	v_dual_sub_f32 v28, v58, v121 :: v_dual_add_f32 v57, v57, v119
	v_cvt_i32_f32_e32 v114, v114
	v_ldexp_f32 v56, v56, v118
	ds_bpermute_b32 v20, v20, v21
	v_add_f32_e32 v28, v28, v30
	v_add_f32_e32 v30, v59, v122
	v_cmp_ngt_f32_e32 vcc_lo, 0xc2ce8ed0, v42
	v_exp_f32_e32 v55, v55
	v_cvt_i32_f32_e32 v116, v116
	v_exp_f32_e32 v28, v28
	v_cvt_i32_f32_e32 v58, v121
	v_ldexp_f32 v48, v48, v63
	v_ldexp_f32 v53, v53, v112
	;; [unrolled: 1-line block ×4, first 2 shown]
	v_exp_f32_e32 v57, v57
	v_ldexp_f32 v58, v28, v58
	v_cvt_i32_f32_e32 v120, v120
	v_fma_f32 v126, 0x3fb8aa3b, v51, -v61
	v_rndne_f32_e32 v125, v60
	v_rndne_f32_e32 v127, v61
	v_fma_f32 v124, 0x3fb8aa3b, v49, -v60
	v_ldexp_f32 v57, v57, v120
	s_wait_dscnt 0x0
	v_max_num_f32_e32 v20, v20, v20
	v_exp_f32_e32 v30, v30
	v_dual_sub_f32 v31, v31, v2 :: v_dual_sub_f32 v41, v41, v2
	v_add_nc_u32_e32 v111, 0x800, v91
	s_delay_alu instid0(VALU_DEP_3)
	v_max_num_f32_e32 v21, v21, v20
	v_cndmask_b32_e32 v20, 0, v56, vcc_lo
	v_cmp_ngt_f32_e32 vcc_lo, 0xc2ce8ed0, v26
	v_add_nc_u32_e32 v112, 0x1000, v91
	v_add_nc_u32_e32 v113, 0x1800, v91
	;; [unrolled: 1-line block ×3, first 2 shown]
	v_dual_cndmask_b32 v28, 0, v48 :: v_dual_add_nc_u32 v115, 0x2800, v91
	v_cmp_ngt_f32_e32 vcc_lo, 0xc2ce8ed0, v27
	s_mul_u64 s[24:25], s[24:25], s[10:11]
	v_fmac_f32_e32 v126, 0x32a5705f, v51
	v_fmac_f32_e32 v124, 0x32a5705f, v49
	s_lshl_b64 s[24:25], s[24:25], 2
	v_cndmask_b32_e32 v48, 0, v53, vcc_lo
	v_cmp_nlt_f32_e32 vcc_lo, 0x42b17218, v42
	ds_bpermute_b32 v3, v3, v21
	s_add_nc_u64 s[24:25], s[8:9], s[24:25]
	v_sub_f32_e32 v46, v46, v2
	v_add_nc_u64_e32 v[140:141], s[24:25], v[80:81]
	v_cndmask_b32_e32 v20, 0x7f800000, v20, vcc_lo
	v_cmp_ngt_f32_e32 vcc_lo, 0xc2ce8ed0, v52
	v_add_nc_u64_e32 v[142:143], s[24:25], v[82:83]
	v_add_nc_u64_e32 v[144:145], s[24:25], v[84:85]
	;; [unrolled: 1-line block ×3, first 2 shown]
	v_cndmask_b32_e32 v42, 0, v54, vcc_lo
	v_cmp_ngt_f32_e32 vcc_lo, 0xc2ce8ed0, v29
	v_add_nc_u64_e32 v[148:149], v[140:141], v[72:73]
	v_add_nc_u64_e32 v[150:151], v[142:143], v[72:73]
	;; [unrolled: 1-line block ×4, first 2 shown]
	v_cndmask_b32_e32 v53, 0, v55, vcc_lo
	v_cmp_ngt_f32_e32 vcc_lo, 0xc2ce8ed0, v43
	s_wait_dscnt 0x0
	v_max_num_f32_e32 v3, v3, v3
	v_cvt_f16_f32_e32 v54, v20
	v_cndmask_b32_e32 v55, 0, v57, vcc_lo
	v_cmp_nlt_f32_e32 vcc_lo, 0x42b17218, v26
	s_delay_alu instid0(VALU_DEP_4)
	v_max_num_f32_e32 v3, v21, v3
	v_cvt_i32_f32_e32 v21, v123
	v_and_b32_e32 v54, 0xffff, v54
	v_cndmask_b32_e32 v26, 0x7f800000, v28, vcc_lo
	v_cmp_nlt_f32_e32 vcc_lo, 0x42b17218, v27
	v_sub_f32_e32 v22, v22, v3
	v_ldexp_f32 v21, v30, v21
	v_mul_u32_u24_e32 v56, 0x10001, v54
	v_dual_sub_f32 v23, v23, v3 :: v_dual_cndmask_b32 v28, 0x7f800000, v48
	v_cmp_nlt_f32_e32 vcc_lo, 0x42b17218, v52
	s_delay_alu instid0(VALU_DEP_3)
	v_pk_mul_f16 v39, v39, v56
	v_cndmask_b32_e32 v42, 0x7f800000, v42, vcc_lo
	v_cmp_nlt_f32_e32 vcc_lo, 0x42b17218, v29
	v_sub_f32_e32 v29, v60, v125
	v_cndmask_b32_e32 v48, 0x7f800000, v53, vcc_lo
	v_cmp_nlt_f32_e32 vcc_lo, 0x42b17218, v43
	v_sub_f32_e32 v43, v61, v127
	v_cvt_i32_f32_e32 v53, v125
	v_cndmask_b32_e32 v27, 0x7f800000, v55, vcc_lo
	v_cmp_ngt_f32_e32 vcc_lo, 0xc2ce8ed0, v47
	s_delay_alu instid0(VALU_DEP_4) | instskip(SKIP_2) | instid1(VALU_DEP_3)
	v_dual_add_f32 v43, v43, v126 :: v_dual_add_f32 v29, v29, v124
	v_cndmask_b32_e32 v52, 0, v58, vcc_lo
	v_cmp_nlt_f32_e32 vcc_lo, 0x42b17218, v47
	v_exp_f32_e32 v43, v43
	s_delay_alu instid0(VALU_DEP_3)
	v_exp_f32_e32 v30, v29
	v_cvt_i32_f32_e32 v47, v127
	v_cndmask_b32_e32 v29, 0x7f800000, v52, vcc_lo
	v_cmp_ngt_f32_e32 vcc_lo, 0xc2ce8ed0, v50
	s_delay_alu instid0(TRANS32_DEP_2) | instid1(VALU_DEP_3)
	v_ldexp_f32 v43, v43, v47
	s_delay_alu instid0(TRANS32_DEP_1) | instskip(SKIP_2) | instid1(VALU_DEP_4)
	v_ldexp_f32 v30, v30, v53
	v_cndmask_b32_e32 v21, 0, v21, vcc_lo
	v_cmp_ngt_f32_e32 vcc_lo, 0xc2ce8ed0, v51
	v_dual_sub_f32 v45, v45, v2 :: v_dual_cndmask_b32 v54, 0, v43
	s_delay_alu instid0(VALU_DEP_1) | instskip(SKIP_1) | instid1(VALU_DEP_2)
	v_dual_mul_f32 v52, 0x3fb8aa3b, v46 :: v_dual_mul_f32 v55, 0x3fb8aa3b, v45
	v_cmp_nlt_f32_e32 vcc_lo, 0x42b17218, v50
	v_fma_f32 v47, 0x3fb8aa3b, v46, -v52
	v_rndne_f32_e32 v53, v52
	v_cndmask_b32_e32 v43, 0x7f800000, v21, vcc_lo
	v_cmp_ngt_f32_e32 vcc_lo, 0xc2ce8ed0, v49
	v_fma_f32 v50, 0x3fb8aa3b, v45, -v55
	s_delay_alu instid0(VALU_DEP_4) | instskip(NEXT) | instid1(VALU_DEP_2)
	v_dual_fmac_f32 v47, 0x32a5705f, v46 :: v_dual_sub_f32 v52, v52, v53
	v_fmac_f32_e32 v50, 0x32a5705f, v45
	s_delay_alu instid0(VALU_DEP_2) | instskip(SKIP_3) | instid1(VALU_DEP_4)
	v_dual_cndmask_b32 v30, 0, v30 :: v_dual_add_f32 v47, v52, v47
	v_cmp_nlt_f32_e32 vcc_lo, 0x42b17218, v51
	v_rndne_f32_e32 v51, v55
	v_sub_f32_e32 v52, v44, v2
	v_exp_f32_e32 v44, v47
	v_cndmask_b32_e32 v21, 0x7f800000, v54, vcc_lo
	v_cvt_i32_f32_e32 v47, v53
	s_delay_alu instid0(VALU_DEP_3)
	v_dual_sub_f32 v53, v55, v51 :: v_dual_mul_f32 v54, 0x3fb8aa3b, v52
	v_cmp_nlt_f32_e32 vcc_lo, 0x42b17218, v49
	v_cvt_i32_f32_e32 v51, v51
	v_cndmask_b32_e32 v49, 0x7f800000, v30, vcc_lo
	v_ldexp_f32 v30, v44, v47
	v_fma_f32 v47, 0x3fb8aa3b, v52, -v54
	v_add_f32_e32 v44, v53, v50
	v_rndne_f32_e32 v50, v54
	v_cmp_ngt_f32_e32 vcc_lo, 0xc2ce8ed0, v46
	s_delay_alu instid0(VALU_DEP_4) | instskip(NEXT) | instid1(VALU_DEP_4)
	v_fmac_f32_e32 v47, 0x32a5705f, v52
	v_exp_f32_e32 v44, v44
	s_delay_alu instid0(VALU_DEP_3) | instskip(SKIP_3) | instid1(VALU_DEP_4)
	v_dual_sub_f32 v53, v54, v50 :: v_dual_mul_f32 v54, 0x3fb8aa3b, v41
	v_cndmask_b32_e32 v30, 0, v30, vcc_lo
	v_cmp_nlt_f32_e32 vcc_lo, 0x42b17218, v46
	v_cvt_i32_f32_e32 v50, v50
	v_add_f32_e32 v47, v53, v47
	s_delay_alu instid0(TRANS32_DEP_1)
	v_ldexp_f32 v44, v44, v51
	v_fma_f32 v51, 0x3fb8aa3b, v41, -v54
	v_cndmask_b32_e32 v30, 0x7f800000, v30, vcc_lo
	v_cmp_ngt_f32_e32 vcc_lo, 0xc2ce8ed0, v45
	v_exp_f32_e32 v46, v47
	v_mul_f32_e32 v53, 0x3fb8aa3b, v31
	v_rndne_f32_e32 v55, v54
	v_cndmask_b32_e32 v44, 0, v44, vcc_lo
	v_cmp_ngt_f32_e32 vcc_lo, 0xc2ce8ed0, v52
	s_delay_alu instid0(VALU_DEP_4) | instskip(NEXT) | instid1(TRANS32_DEP_1)
	v_fma_f32 v47, 0x3fb8aa3b, v31, -v53
	v_ldexp_f32 v46, v46, v50
	v_rndne_f32_e32 v58, v53
	v_sub_f32_e32 v54, v54, v55
	v_cvt_f16_f32_e32 v57, v21
	s_delay_alu instid0(VALU_DEP_4) | instskip(SKIP_2) | instid1(VALU_DEP_4)
	v_dual_fmac_f32 v47, 0x32a5705f, v31 :: v_dual_cndmask_b32 v46, 0, v46
	v_cmp_nlt_f32_e32 vcc_lo, 0x42b17218, v45
	v_sub_f32_e32 v53, v53, v58
	v_and_b32_e32 v57, 0xffff, v57
	v_cndmask_b32_e32 v44, 0x7f800000, v44, vcc_lo
	v_cmp_nlt_f32_e32 vcc_lo, 0x42b17218, v52
	v_sub_f32_e32 v25, v25, v3
	v_dual_add_f32 v47, v53, v47 :: v_dual_cndmask_b32 v46, 0x7f800000, v46
	v_cmp_ngt_f32_e32 vcc_lo, 0xc2ce8ed0, v41
	s_delay_alu instid0(VALU_DEP_3) | instskip(NEXT) | instid1(VALU_DEP_3)
	v_mul_f32_e32 v53, 0x3fb8aa3b, v25
	v_exp_f32_e32 v47, v47
	s_delay_alu instid0(VALU_DEP_1) | instskip(SKIP_1) | instid1(VALU_DEP_1)
	v_rndne_f32_e32 v52, v53
	v_fmac_f32_e32 v51, 0x32a5705f, v41
	v_add_f32_e32 v50, v54, v51
	v_cvt_i32_f32_e32 v51, v55
	v_cvt_i32_f32_e32 v54, v58
	s_delay_alu instid0(VALU_DEP_3) | instskip(NEXT) | instid1(VALU_DEP_1)
	v_exp_f32_e32 v50, v50
	v_ldexp_f32 v47, v47, v54
	s_delay_alu instid0(TRANS32_DEP_1) | instskip(NEXT) | instid1(VALU_DEP_1)
	v_ldexp_f32 v50, v50, v51
	v_cndmask_b32_e32 v50, 0, v50, vcc_lo
	v_fma_f32 v45, 0x3fb8aa3b, v25, -v53
	v_cmp_ngt_f32_e32 vcc_lo, 0xc2ce8ed0, v31
	s_delay_alu instid0(VALU_DEP_2) | instskip(SKIP_3) | instid1(VALU_DEP_3)
	v_fmac_f32_e32 v45, 0x32a5705f, v25
	v_dual_sub_f32 v51, v24, v3 :: v_dual_sub_f32 v24, v53, v52
	v_cndmask_b32_e32 v47, 0, v47, vcc_lo
	v_cmp_nlt_f32_e32 vcc_lo, 0x42b17218, v41
	v_dual_add_f32 v45, v24, v45 :: v_dual_cndmask_b32 v24, 0x7f800000, v50
	v_cmp_nlt_f32_e32 vcc_lo, 0x42b17218, v31
	v_cvt_i32_f32_e32 v31, v52
	s_delay_alu instid0(VALU_DEP_3) | instskip(NEXT) | instid1(VALU_DEP_3)
	v_exp_f32_e32 v45, v45
	v_cvt_f16_f32_e32 v60, v24
	v_cndmask_b32_e32 v50, 0x7f800000, v47, vcc_lo
	v_mul_f32_e32 v47, 0x3fb8aa3b, v23
	v_cmp_ngt_f32_e32 vcc_lo, 0xc2ce8ed0, v25
	s_delay_alu instid0(TRANS32_DEP_1) | instskip(NEXT) | instid1(VALU_DEP_3)
	v_ldexp_f32 v31, v45, v31
	v_rndne_f32_e32 v45, v47
	v_sub_f32_e32 v58, v40, v3
	v_fma_f32 v40, 0x3fb8aa3b, v23, -v47
	s_delay_alu instid0(VALU_DEP_3) | instskip(SKIP_1) | instid1(VALU_DEP_3)
	v_sub_f32_e32 v47, v47, v45
	v_cvt_i32_f32_e32 v45, v45
	v_fmac_f32_e32 v40, 0x32a5705f, v23
	s_delay_alu instid0(VALU_DEP_1) | instskip(NEXT) | instid1(VALU_DEP_1)
	v_dual_mul_f32 v53, 0x3fb8aa3b, v51 :: v_dual_add_f32 v40, v47, v40
	v_rndne_f32_e32 v54, v53
	v_fma_f32 v41, 0x3fb8aa3b, v51, -v53
	s_delay_alu instid0(VALU_DEP_3) | instskip(NEXT) | instid1(VALU_DEP_2)
	v_exp_f32_e32 v40, v40
	v_sub_f32_e32 v52, v53, v54
	v_mul_f32_e32 v53, 0x3fb8aa3b, v22
	s_delay_alu instid0(VALU_DEP_3) | instskip(SKIP_1) | instid1(VALU_DEP_3)
	v_fmac_f32_e32 v41, 0x32a5705f, v51
	v_cvt_i32_f32_e32 v47, v54
	v_rndne_f32_e32 v59, v53
	v_fma_f32 v55, 0x3fb8aa3b, v22, -v53
	s_delay_alu instid0(VALU_DEP_4) | instskip(SKIP_1) | instid1(VALU_DEP_4)
	v_add_f32_e32 v41, v52, v41
	v_ldexp_f32 v40, v40, v45
	v_dual_sub_f32 v52, v53, v59 :: v_dual_mul_f32 v53, 0x3fb8aa3b, v58
	s_delay_alu instid0(VALU_DEP_4) | instskip(NEXT) | instid1(VALU_DEP_4)
	v_fmac_f32_e32 v55, 0x32a5705f, v22
	v_exp_f32_e32 v41, v41
	v_cvt_i32_f32_e32 v59, v59
	s_delay_alu instid0(VALU_DEP_3) | instskip(NEXT) | instid1(VALU_DEP_3)
	v_fma_f32 v54, 0x3fb8aa3b, v58, -v53
	v_add_f32_e32 v52, v52, v55
	v_rndne_f32_e32 v55, v53
	s_delay_alu instid0(TRANS32_DEP_1) | instskip(NEXT) | instid1(VALU_DEP_4)
	v_ldexp_f32 v41, v41, v47
	v_dual_fmac_f32 v54, 0x32a5705f, v58 :: v_dual_cndmask_b32 v31, 0, v31
	v_cmp_ngt_f32_e32 vcc_lo, 0xc2ce8ed0, v51
	v_exp_f32_e32 v52, v52
	s_delay_alu instid0(VALU_DEP_3) | instskip(SKIP_1) | instid1(VALU_DEP_2)
	v_dual_sub_f32 v53, v53, v55 :: v_dual_cndmask_b32 v41, 0, v41, vcc_lo
	v_cmp_ngt_f32_e32 vcc_lo, 0xc2ce8ed0, v23
	v_add_f32_e32 v45, v53, v54
	s_delay_alu instid0(TRANS32_DEP_1)
	v_ldexp_f32 v47, v52, v59
	v_cvt_i32_f32_e32 v54, v55
	v_dual_cndmask_b32 v40, 0, v40 :: v_dual_add_nc_u32 v59, v102, v91
	v_cmp_ngt_f32_e32 vcc_lo, 0xc2ce8ed0, v22
	v_exp_f32_e32 v52, v45
	v_cndmask_b32_e32 v53, 0, v47, vcc_lo
	v_cmp_nlt_f32_e32 vcc_lo, 0x42b17218, v25
	s_delay_alu instid0(TRANS32_DEP_1)
	v_ldexp_f32 v25, v52, v54
	v_cvt_pk_f16_f32 v52, v42, v43
	v_cvt_pk_f16_f32 v54, v48, v49
	v_cndmask_b32_e32 v31, 0x7f800000, v31, vcc_lo
	v_cmp_nlt_f32_e32 vcc_lo, 0x42b17218, v51
	v_cndmask_b32_e32 v45, 0x7f800000, v41, vcc_lo
	v_cmp_nlt_f32_e32 vcc_lo, 0x42b17218, v23
	s_delay_alu instid0(VALU_DEP_4) | instskip(NEXT) | instid1(VALU_DEP_3)
	v_cvt_pk_f16_f32 v23, v30, v31
	v_cvt_pk_f16_f32 v41, v44, v45
	v_cndmask_b32_e32 v47, 0x7f800000, v40, vcc_lo
	v_cmp_nlt_f32_e32 vcc_lo, 0x42b17218, v22
	v_cvt_pk_f16_f32 v22, v26, v27
	v_cvt_pk_f16_f32 v40, v28, v29
	v_cndmask_b32_e32 v51, 0x7f800000, v53, vcc_lo
	v_cvt_pk_f16_f32 v53, v46, v47
	v_cmp_ngt_f32_e32 vcc_lo, 0xc2ce8ed0, v58
	s_delay_alu instid0(VALU_DEP_3)
	v_cvt_pk_f16_f32 v55, v50, v51
	ds_store_2addr_b64 v59, v[22:23], v[40:41] offset1:32
	ds_store_2addr_b64 v59, v[52:53], v[54:55] offset0:64 offset1:96
	s_wait_loadcnt 0x3
	ds_store_b128 v100, v[4:7]
	s_wait_loadcnt 0x2
	ds_store_b128 v103, v[8:11]
	;; [unrolled: 2-line block ×4, first 2 shown]
	s_wait_dscnt 0x0
	s_barrier_signal -1
	s_barrier_wait -1
	ds_load_b128 v[4:7], v102
	v_cndmask_b32_e32 v25, 0, v25, vcc_lo
	v_pk_add_f32 v[8:9], v[30:31], v[44:45]
	v_pk_add_f32 v[10:11], v[26:27], v[28:29]
	v_cmp_nlt_f32_e32 vcc_lo, 0x42b17218, v58
	v_and_b32_e32 v16, 0xffff, v60
	v_mul_u32_u24_e32 v26, 0x10001, v57
	v_pk_add_f32 v[12:13], v[46:47], v[8:9]
	v_pk_add_f32 v[14:15], v[42:43], v[10:11]
	v_cndmask_b32_e32 v25, 0x7f800000, v25, vcc_lo
	ds_load_2addr_b64 v[8:11], v91 offset1:32
	v_mul_u32_u24_e32 v27, 0x10001, v16
	v_pk_add_f32 v[12:13], v[50:51], v[12:13]
	v_pk_add_f32 v[14:15], v[48:49], v[14:15]
	v_cvt_f16_f32_e32 v17, v25
	v_pk_mul_f16 v28, v37, v26
	v_pk_mul_f16 v29, v35, v27
	v_pk_fma_f32 v[64:65], v[64:65], v[24:25], v[12:13]
	v_pk_fma_f32 v[66:67], v[66:67], v[20:21], v[14:15]
	v_and_b32_e32 v16, 0xffff, v17
	ds_load_b128 v[12:15], v102 offset:16
	s_wait_dscnt 0x2
	v_and_b32_e32 v17, 0xffff, v4
	v_lshrrev_b32_e32 v4, 16, v4
	v_and_b32_e32 v18, 0xffff, v5
	v_mul_u32_u24_e32 v16, 0x10001, v16
	v_lshrrev_b32_e32 v5, 16, v5
	v_mul_u32_u24_e32 v25, 0x10001, v17
	v_mul_u32_u24_e32 v4, 0x10001, v4
	;; [unrolled: 1-line block ×3, first 2 shown]
	v_pk_mul_f16 v24, v33, v16
	v_pk_mul_f16 v31, v32, v16
	v_mul_u32_u24_e32 v32, 0x10001, v5
	s_wait_dscnt 0x1
	v_pk_mul_f16 v5, v8, v25
	v_pk_mul_f16 v33, v8, v4
	;; [unrolled: 1-line block ×3, first 2 shown]
	ds_load_b128 v[16:19], v102 offset:32
	ds_load_b128 v[20:23], v102 offset:48
	v_pk_fma_f16 v8, v8, v32, v24
	v_pk_fma_f16 v37, v38, v56, v5
	;; [unrolled: 1-line block ×4, first 2 shown]
	v_and_b32_e32 v4, 0xffff, v6
	v_lshrrev_b32_e32 v5, 16, v6
	v_pk_fma_f16 v26, v36, v26, v33
	v_pk_fma_f16 v27, v34, v27, v35
	;; [unrolled: 1-line block ×3, first 2 shown]
	v_and_b32_e32 v29, 0xffff, v7
	v_lshrrev_b32_e32 v30, 16, v7
	v_mul_u32_u24_e32 v33, 0x10001, v4
	v_pk_fma_f16 v9, v9, v32, v31
	s_wait_dscnt 0x2
	v_and_b32_e32 v32, 0xffff, v13
	v_lshrrev_b32_e32 v13, 16, v13
	v_mul_u32_u24_e32 v34, 0x10001, v5
	ds_load_2addr_b64 v[4:7], v91 offset0:64 offset1:96
	v_mul_u32_u24_e32 v29, 0x10001, v29
	v_mul_u32_u24_e32 v30, 0x10001, v30
	v_pk_fma_f16 v31, v10, v33, v37
	v_pk_fma_f16 v26, v10, v34, v26
	v_mul_u32_u24_e32 v13, 0x10001, v13
	v_pk_fma_f16 v27, v10, v29, v27
	v_pk_fma_f16 v8, v10, v30, v8
	;; [unrolled: 1-line block ×4, first 2 shown]
	v_and_b32_e32 v25, 0xffff, v12
	v_lshrrev_b32_e32 v12, 16, v12
	v_pk_fma_f16 v28, v11, v29, v28
	v_mul_u32_u24_e32 v29, 0x10001, v32
	v_pk_fma_f16 v30, v11, v30, v9
	v_mul_u32_u24_e32 v25, 0x10001, v25
	v_mul_u32_u24_e32 v12, 0x10001, v12
	v_lshrrev_b32_e32 v9, 16, v14
	s_wait_dscnt 0x0
	s_delay_alu instid0(VALU_DEP_3) | instskip(NEXT) | instid1(VALU_DEP_3)
	v_pk_fma_f16 v31, v4, v25, v31
	v_pk_fma_f16 v26, v4, v12, v26
	;; [unrolled: 1-line block ×4, first 2 shown]
	v_and_b32_e32 v8, 0xffff, v14
	v_pk_fma_f16 v25, v5, v25, v10
	v_pk_fma_f16 v12, v5, v12, v24
	;; [unrolled: 1-line block ×3, first 2 shown]
	v_and_b32_e32 v24, 0xffff, v15
	v_lshrrev_b32_e32 v15, 16, v15
	v_mul_u32_u24_e32 v28, 0x10001, v8
	v_mul_u32_u24_e32 v29, 0x10001, v9
	ds_load_2addr_b64 v[8:11], v91 offset0:128 offset1:160
	v_mul_u32_u24_e32 v24, 0x10001, v24
	v_mul_u32_u24_e32 v15, 0x10001, v15
	v_pk_fma_f16 v5, v5, v13, v30
	v_pk_fma_f16 v13, v6, v28, v31
	v_pk_fma_f16 v26, v6, v29, v26
	v_pk_fma_f16 v27, v6, v24, v27
	v_pk_fma_f16 v4, v6, v15, v4
	v_pk_fma_f16 v6, v7, v28, v25
	v_and_b32_e32 v25, 0xffff, v16
	v_lshrrev_b32_e32 v16, 16, v16
	v_and_b32_e32 v28, 0xffff, v17
	v_lshrrev_b32_e32 v17, 16, v17
	v_pk_fma_f16 v14, v7, v24, v14
	v_mul_u32_u24_e32 v24, 0x10001, v25
	v_mul_u32_u24_e32 v16, 0x10001, v16
	;; [unrolled: 1-line block ×3, first 2 shown]
	v_pk_fma_f16 v15, v7, v15, v5
	v_lshrrev_b32_e32 v5, 16, v18
	v_mul_u32_u24_e32 v17, 0x10001, v17
	v_pk_fma_f16 v12, v7, v29, v12
	s_wait_dscnt 0x0
	v_pk_fma_f16 v13, v8, v24, v13
	v_pk_fma_f16 v26, v8, v16, v26
	;; [unrolled: 1-line block ×4, first 2 shown]
	v_and_b32_e32 v4, 0xffff, v18
	v_pk_fma_f16 v24, v9, v24, v6
	v_pk_fma_f16 v12, v9, v16, v12
	;; [unrolled: 1-line block ×3, first 2 shown]
	v_and_b32_e32 v16, 0xffff, v19
	v_lshrrev_b32_e32 v18, 16, v19
	v_mul_u32_u24_e32 v19, 0x10001, v4
	v_mul_u32_u24_e32 v25, 0x10001, v5
	ds_load_2addr_b64 v[4:7], v91 offset0:192 offset1:224
	v_mul_u32_u24_e32 v16, 0x10001, v16
	v_mul_u32_u24_e32 v18, 0x10001, v18
	v_pk_fma_f16 v9, v9, v17, v15
	v_pk_fma_f16 v13, v10, v19, v13
	;; [unrolled: 1-line block ×6, first 2 shown]
	v_and_b32_e32 v19, 0xffff, v20
	v_lshrrev_b32_e32 v20, 16, v20
	v_and_b32_e32 v24, 0xffff, v21
	v_lshrrev_b32_e32 v21, 16, v21
	v_pk_fma_f16 v14, v11, v16, v14
	v_mul_u32_u24_e32 v16, 0x10001, v19
	v_mul_u32_u24_e32 v19, 0x10001, v20
	v_mul_u32_u24_e32 v20, 0x10001, v24
	v_mul_u32_u24_e32 v21, 0x10001, v21
	v_pk_fma_f16 v12, v11, v25, v12
	v_pk_fma_f16 v18, v11, v18, v9
	s_wait_dscnt 0x0
	v_pk_fma_f16 v24, v4, v16, v13
	v_pk_fma_f16 v25, v4, v19, v15
	;; [unrolled: 1-line block ×5, first 2 shown]
	ds_load_b128 v[8:11], v102 offset:64
	v_pk_fma_f16 v19, v5, v19, v12
	v_pk_fma_f16 v20, v5, v20, v14
	v_and_b32_e32 v12, 0xffff, v22
	v_dual_lshrrev_b32 v13, 16, v22 :: v_dual_lshrrev_b32 v22, 16, v23
	v_and_b32_e32 v14, 0xffff, v23
	v_pk_fma_f16 v5, v5, v21, v18
	s_delay_alu instid0(VALU_DEP_4) | instskip(NEXT) | instid1(VALU_DEP_4)
	v_mul_u32_u24_e32 v23, 0x10001, v12
	v_mul_u32_u24_e32 v26, 0x10001, v13
	;; [unrolled: 1-line block ×4, first 2 shown]
	ds_load_2addr_b64 v[12:15], v111 offset1:32
	v_pk_fma_f16 v21, v6, v23, v24
	v_pk_fma_f16 v24, v6, v26, v25
	;; [unrolled: 1-line block ×6, first 2 shown]
	ds_load_b128 v[16:19], v102 offset:80
	s_wait_dscnt 0x2
	v_and_b32_e32 v26, 0xffff, v8
	v_lshrrev_b32_e32 v8, 16, v8
	v_and_b32_e32 v28, 0xffff, v9
	v_lshrrev_b32_e32 v9, 16, v9
	v_pk_fma_f16 v20, v7, v27, v20
	v_mul_u32_u24_e32 v26, 0x10001, v26
	v_mul_u32_u24_e32 v8, 0x10001, v8
	;; [unrolled: 1-line block ×4, first 2 shown]
	v_pk_fma_f16 v22, v7, v22, v5
	v_lshrrev_b32_e32 v5, 16, v10
	s_wait_dscnt 0x1
	v_pk_fma_f16 v21, v12, v26, v21
	v_pk_fma_f16 v24, v12, v8, v24
	;; [unrolled: 1-line block ×4, first 2 shown]
	v_and_b32_e32 v4, 0xffff, v10
	v_pk_fma_f16 v26, v13, v26, v6
	v_pk_fma_f16 v8, v13, v8, v23
	;; [unrolled: 1-line block ×3, first 2 shown]
	v_and_b32_e32 v20, 0xffff, v11
	v_lshrrev_b32_e32 v11, 16, v11
	v_mul_u32_u24_e32 v23, 0x10001, v4
	v_mul_u32_u24_e32 v27, 0x10001, v5
	ds_load_2addr_b64 v[4:7], v111 offset0:64 offset1:96
	v_mul_u32_u24_e32 v20, 0x10001, v20
	v_mul_u32_u24_e32 v11, 0x10001, v11
	v_pk_fma_f16 v9, v13, v9, v22
	v_pk_fma_f16 v13, v14, v23, v21
	;; [unrolled: 1-line block ×7, first 2 shown]
	s_wait_dscnt 0x1
	v_and_b32_e32 v8, 0xffff, v16
	v_lshrrev_b32_e32 v16, 16, v16
	v_and_b32_e32 v24, 0xffff, v17
	v_lshrrev_b32_e32 v17, 16, v17
	v_pk_fma_f16 v20, v15, v20, v10
	v_mul_u32_u24_e32 v8, 0x10001, v8
	v_mul_u32_u24_e32 v16, 0x10001, v16
	;; [unrolled: 1-line block ×4, first 2 shown]
	v_pk_fma_f16 v25, v15, v11, v9
	s_wait_dscnt 0x0
	v_pk_fma_f16 v26, v4, v8, v13
	v_pk_fma_f16 v27, v5, v8, v14
	ds_load_b128 v[8:11], v102 offset:96
	v_pk_fma_f16 v21, v4, v16, v21
	v_pk_fma_f16 v22, v4, v24, v22
	;; [unrolled: 1-line block ×3, first 2 shown]
	v_and_b32_e32 v12, 0xffff, v18
	v_dual_lshrrev_b32 v13, 16, v18 :: v_dual_lshrrev_b32 v18, 16, v19
	v_and_b32_e32 v14, 0xffff, v19
	v_pk_fma_f16 v16, v5, v16, v23
	v_pk_fma_f16 v20, v5, v24, v20
	v_mul_u32_u24_e32 v19, 0x10001, v12
	v_mul_u32_u24_e32 v23, 0x10001, v13
	;; [unrolled: 1-line block ×3, first 2 shown]
	ds_load_2addr_b64 v[12:15], v111 offset0:128 offset1:160
	v_mul_u32_u24_e32 v28, 0x10001, v18
	v_pk_fma_f16 v5, v5, v17, v25
	v_pk_fma_f16 v25, v6, v19, v26
	v_pk_fma_f16 v21, v6, v23, v21
	v_pk_fma_f16 v22, v6, v24, v22
	v_pk_fma_f16 v4, v6, v28, v4
	v_pk_fma_f16 v6, v7, v19, v27
	v_pk_fma_f16 v23, v7, v23, v16
	ds_load_b128 v[16:19], v102 offset:112
	s_wait_dscnt 0x2
	v_and_b32_e32 v26, 0xffff, v8
	v_lshrrev_b32_e32 v8, 16, v8
	v_and_b32_e32 v27, 0xffff, v9
	v_lshrrev_b32_e32 v9, 16, v9
	v_pk_fma_f16 v20, v7, v24, v20
	v_mul_u32_u24_e32 v24, 0x10001, v26
	v_mul_u32_u24_e32 v8, 0x10001, v8
	;; [unrolled: 1-line block ×4, first 2 shown]
	v_pk_fma_f16 v27, v7, v28, v5
	s_wait_dscnt 0x1
	v_pk_fma_f16 v25, v12, v24, v25
	v_pk_fma_f16 v21, v12, v8, v21
	;; [unrolled: 1-line block ×4, first 2 shown]
	v_and_b32_e32 v4, 0xffff, v10
	v_lshrrev_b32_e32 v5, 16, v10
	v_pk_fma_f16 v24, v13, v24, v6
	v_pk_fma_f16 v8, v13, v8, v23
	;; [unrolled: 1-line block ×3, first 2 shown]
	v_and_b32_e32 v20, 0xffff, v11
	v_lshrrev_b32_e32 v11, 16, v11
	v_mul_u32_u24_e32 v23, 0x10001, v4
	v_mul_u32_u24_e32 v26, 0x10001, v5
	ds_load_2addr_b64 v[4:7], v111 offset0:192 offset1:224
	v_mul_u32_u24_e32 v20, 0x10001, v20
	v_mul_u32_u24_e32 v11, 0x10001, v11
	v_pk_fma_f16 v9, v13, v9, v27
	v_pk_fma_f16 v13, v14, v23, v25
	;; [unrolled: 1-line block ×6, first 2 shown]
	s_wait_dscnt 0x1
	v_and_b32_e32 v23, 0xffff, v16
	v_lshrrev_b32_e32 v16, 16, v16
	v_pk_fma_f16 v8, v15, v26, v8
	v_and_b32_e32 v24, 0xffff, v17
	v_lshrrev_b32_e32 v17, 16, v17
	v_pk_fma_f16 v20, v15, v20, v10
	v_mul_u32_u24_e32 v10, 0x10001, v23
	v_mul_u32_u24_e32 v16, 0x10001, v16
	;; [unrolled: 1-line block ×4, first 2 shown]
	v_pk_fma_f16 v24, v15, v11, v9
	s_wait_dscnt 0x0
	v_pk_fma_f16 v25, v4, v10, v13
	v_pk_fma_f16 v21, v4, v16, v21
	;; [unrolled: 1-line block ×4, first 2 shown]
	ds_load_b128 v[8:11], v102 offset:128
	v_pk_fma_f16 v22, v4, v23, v22
	v_pk_fma_f16 v4, v4, v17, v12
	v_and_b32_e32 v12, 0xffff, v18
	v_dual_lshrrev_b32 v13, 16, v18 :: v_dual_lshrrev_b32 v18, 16, v19
	v_and_b32_e32 v14, 0xffff, v19
	v_pk_fma_f16 v20, v5, v23, v20
	s_delay_alu instid0(VALU_DEP_4) | instskip(NEXT) | instid1(VALU_DEP_4)
	v_mul_u32_u24_e32 v19, 0x10001, v12
	v_mul_u32_u24_e32 v23, 0x10001, v13
	;; [unrolled: 1-line block ×4, first 2 shown]
	ds_load_2addr_b64 v[12:15], v112 offset1:32
	v_pk_fma_f16 v5, v5, v17, v24
	v_pk_fma_f16 v24, v6, v19, v25
	;; [unrolled: 1-line block ×7, first 2 shown]
	ds_load_b128 v[16:19], v102 offset:144
	s_wait_dscnt 0x2
	v_and_b32_e32 v25, 0xffff, v8
	v_lshrrev_b32_e32 v8, 16, v8
	v_and_b32_e32 v26, 0xffff, v9
	v_lshrrev_b32_e32 v9, 16, v9
	v_pk_fma_f16 v20, v7, v27, v20
	v_mul_u32_u24_e32 v25, 0x10001, v25
	v_mul_u32_u24_e32 v8, 0x10001, v8
	;; [unrolled: 1-line block ×4, first 2 shown]
	v_pk_fma_f16 v27, v7, v28, v5
	v_lshrrev_b32_e32 v5, 16, v10
	s_wait_dscnt 0x1
	v_pk_fma_f16 v24, v12, v25, v24
	v_pk_fma_f16 v21, v12, v8, v21
	;; [unrolled: 1-line block ×4, first 2 shown]
	v_and_b32_e32 v4, 0xffff, v10
	v_pk_fma_f16 v25, v13, v25, v6
	v_pk_fma_f16 v8, v13, v8, v23
	;; [unrolled: 1-line block ×3, first 2 shown]
	v_and_b32_e32 v20, 0xffff, v11
	v_lshrrev_b32_e32 v11, 16, v11
	v_mul_u32_u24_e32 v23, 0x10001, v4
	v_mul_u32_u24_e32 v26, 0x10001, v5
	ds_load_2addr_b64 v[4:7], v112 offset0:64 offset1:96
	v_mul_u32_u24_e32 v20, 0x10001, v20
	v_mul_u32_u24_e32 v11, 0x10001, v11
	v_pk_fma_f16 v9, v13, v9, v27
	v_pk_fma_f16 v13, v14, v23, v24
	;; [unrolled: 1-line block ×7, first 2 shown]
	s_wait_dscnt 0x1
	v_and_b32_e32 v8, 0xffff, v16
	v_lshrrev_b32_e32 v16, 16, v16
	v_and_b32_e32 v24, 0xffff, v17
	v_lshrrev_b32_e32 v17, 16, v17
	v_pk_fma_f16 v20, v15, v20, v10
	v_mul_u32_u24_e32 v8, 0x10001, v8
	v_mul_u32_u24_e32 v16, 0x10001, v16
	;; [unrolled: 1-line block ×4, first 2 shown]
	v_pk_fma_f16 v25, v15, v11, v9
	s_wait_dscnt 0x0
	v_pk_fma_f16 v26, v4, v8, v13
	v_pk_fma_f16 v27, v5, v8, v14
	ds_load_b128 v[8:11], v102 offset:160
	v_pk_fma_f16 v21, v4, v16, v21
	v_pk_fma_f16 v22, v4, v24, v22
	;; [unrolled: 1-line block ×3, first 2 shown]
	v_and_b32_e32 v12, 0xffff, v18
	v_dual_lshrrev_b32 v13, 16, v18 :: v_dual_lshrrev_b32 v18, 16, v19
	v_and_b32_e32 v14, 0xffff, v19
	v_pk_fma_f16 v16, v5, v16, v23
	v_pk_fma_f16 v20, v5, v24, v20
	v_mul_u32_u24_e32 v19, 0x10001, v12
	v_mul_u32_u24_e32 v23, 0x10001, v13
	;; [unrolled: 1-line block ×3, first 2 shown]
	ds_load_2addr_b64 v[12:15], v112 offset0:128 offset1:160
	v_mul_u32_u24_e32 v28, 0x10001, v18
	v_pk_fma_f16 v5, v5, v17, v25
	v_pk_fma_f16 v25, v6, v19, v26
	;; [unrolled: 1-line block ×7, first 2 shown]
	ds_load_b128 v[16:19], v102 offset:176
	s_wait_dscnt 0x2
	v_and_b32_e32 v26, 0xffff, v8
	v_lshrrev_b32_e32 v8, 16, v8
	v_and_b32_e32 v27, 0xffff, v9
	v_lshrrev_b32_e32 v9, 16, v9
	v_pk_fma_f16 v20, v7, v24, v20
	v_mul_u32_u24_e32 v24, 0x10001, v26
	v_mul_u32_u24_e32 v8, 0x10001, v8
	;; [unrolled: 1-line block ×4, first 2 shown]
	v_pk_fma_f16 v27, v7, v28, v5
	s_wait_dscnt 0x1
	v_pk_fma_f16 v25, v12, v24, v25
	v_pk_fma_f16 v21, v12, v8, v21
	;; [unrolled: 1-line block ×4, first 2 shown]
	v_and_b32_e32 v4, 0xffff, v10
	v_lshrrev_b32_e32 v5, 16, v10
	v_pk_fma_f16 v24, v13, v24, v6
	v_pk_fma_f16 v8, v13, v8, v23
	;; [unrolled: 1-line block ×3, first 2 shown]
	v_and_b32_e32 v20, 0xffff, v11
	v_lshrrev_b32_e32 v11, 16, v11
	v_mul_u32_u24_e32 v23, 0x10001, v4
	v_mul_u32_u24_e32 v26, 0x10001, v5
	ds_load_2addr_b64 v[4:7], v112 offset0:192 offset1:224
	v_mul_u32_u24_e32 v20, 0x10001, v20
	v_mul_u32_u24_e32 v11, 0x10001, v11
	v_pk_fma_f16 v9, v13, v9, v27
	v_pk_fma_f16 v13, v14, v23, v25
	;; [unrolled: 1-line block ×6, first 2 shown]
	s_wait_dscnt 0x1
	v_and_b32_e32 v23, 0xffff, v16
	v_lshrrev_b32_e32 v16, 16, v16
	v_pk_fma_f16 v8, v15, v26, v8
	v_and_b32_e32 v24, 0xffff, v17
	v_lshrrev_b32_e32 v17, 16, v17
	v_pk_fma_f16 v20, v15, v20, v10
	v_mul_u32_u24_e32 v10, 0x10001, v23
	v_mul_u32_u24_e32 v16, 0x10001, v16
	;; [unrolled: 1-line block ×4, first 2 shown]
	v_pk_fma_f16 v24, v15, v11, v9
	s_wait_dscnt 0x0
	v_pk_fma_f16 v25, v4, v10, v13
	v_pk_fma_f16 v21, v4, v16, v21
	;; [unrolled: 1-line block ×4, first 2 shown]
	ds_load_b128 v[8:11], v102 offset:192
	v_pk_fma_f16 v22, v4, v23, v22
	v_pk_fma_f16 v4, v4, v17, v12
	v_and_b32_e32 v12, 0xffff, v18
	v_dual_lshrrev_b32 v13, 16, v18 :: v_dual_lshrrev_b32 v18, 16, v19
	v_and_b32_e32 v14, 0xffff, v19
	v_pk_fma_f16 v20, v5, v23, v20
	s_delay_alu instid0(VALU_DEP_4) | instskip(NEXT) | instid1(VALU_DEP_4)
	v_mul_u32_u24_e32 v19, 0x10001, v12
	v_mul_u32_u24_e32 v23, 0x10001, v13
	;; [unrolled: 1-line block ×4, first 2 shown]
	ds_load_2addr_b64 v[12:15], v113 offset1:32
	v_pk_fma_f16 v5, v5, v17, v24
	v_pk_fma_f16 v24, v6, v19, v25
	;; [unrolled: 1-line block ×7, first 2 shown]
	ds_load_b128 v[16:19], v102 offset:208
	s_wait_dscnt 0x2
	v_and_b32_e32 v25, 0xffff, v8
	v_lshrrev_b32_e32 v8, 16, v8
	v_and_b32_e32 v26, 0xffff, v9
	v_lshrrev_b32_e32 v9, 16, v9
	v_pk_fma_f16 v20, v7, v27, v20
	v_mul_u32_u24_e32 v25, 0x10001, v25
	v_mul_u32_u24_e32 v8, 0x10001, v8
	;; [unrolled: 1-line block ×4, first 2 shown]
	v_pk_fma_f16 v27, v7, v28, v5
	v_lshrrev_b32_e32 v5, 16, v10
	s_wait_dscnt 0x1
	v_pk_fma_f16 v24, v12, v25, v24
	v_pk_fma_f16 v21, v12, v8, v21
	;; [unrolled: 1-line block ×4, first 2 shown]
	v_and_b32_e32 v4, 0xffff, v10
	v_pk_fma_f16 v25, v13, v25, v6
	v_pk_fma_f16 v8, v13, v8, v23
	;; [unrolled: 1-line block ×3, first 2 shown]
	v_and_b32_e32 v20, 0xffff, v11
	v_lshrrev_b32_e32 v11, 16, v11
	v_mul_u32_u24_e32 v23, 0x10001, v4
	v_mul_u32_u24_e32 v26, 0x10001, v5
	ds_load_2addr_b64 v[4:7], v113 offset0:64 offset1:96
	v_mul_u32_u24_e32 v20, 0x10001, v20
	v_mul_u32_u24_e32 v11, 0x10001, v11
	v_pk_fma_f16 v9, v13, v9, v27
	v_pk_fma_f16 v13, v14, v23, v24
	;; [unrolled: 1-line block ×7, first 2 shown]
	s_wait_dscnt 0x1
	v_and_b32_e32 v8, 0xffff, v16
	v_lshrrev_b32_e32 v16, 16, v16
	v_and_b32_e32 v24, 0xffff, v17
	v_lshrrev_b32_e32 v17, 16, v17
	v_pk_fma_f16 v20, v15, v20, v10
	v_mul_u32_u24_e32 v8, 0x10001, v8
	v_mul_u32_u24_e32 v16, 0x10001, v16
	;; [unrolled: 1-line block ×4, first 2 shown]
	v_pk_fma_f16 v25, v15, v11, v9
	s_wait_dscnt 0x0
	v_pk_fma_f16 v26, v4, v8, v13
	v_pk_fma_f16 v27, v5, v8, v14
	ds_load_b128 v[8:11], v102 offset:224
	v_pk_fma_f16 v21, v4, v16, v21
	v_pk_fma_f16 v22, v4, v24, v22
	;; [unrolled: 1-line block ×3, first 2 shown]
	v_and_b32_e32 v12, 0xffff, v18
	v_dual_lshrrev_b32 v13, 16, v18 :: v_dual_lshrrev_b32 v18, 16, v19
	v_and_b32_e32 v14, 0xffff, v19
	v_pk_fma_f16 v16, v5, v16, v23
	v_pk_fma_f16 v20, v5, v24, v20
	v_mul_u32_u24_e32 v19, 0x10001, v12
	v_mul_u32_u24_e32 v23, 0x10001, v13
	;; [unrolled: 1-line block ×3, first 2 shown]
	ds_load_2addr_b64 v[12:15], v113 offset0:128 offset1:160
	v_mul_u32_u24_e32 v28, 0x10001, v18
	v_pk_fma_f16 v5, v5, v17, v25
	v_pk_fma_f16 v25, v6, v19, v26
	;; [unrolled: 1-line block ×7, first 2 shown]
	ds_load_b128 v[16:19], v102 offset:240
	s_wait_dscnt 0x2
	v_and_b32_e32 v26, 0xffff, v8
	v_lshrrev_b32_e32 v8, 16, v8
	v_and_b32_e32 v27, 0xffff, v9
	v_lshrrev_b32_e32 v9, 16, v9
	v_pk_fma_f16 v20, v7, v24, v20
	v_mul_u32_u24_e32 v24, 0x10001, v26
	v_mul_u32_u24_e32 v8, 0x10001, v8
	v_mul_u32_u24_e32 v26, 0x10001, v27
	v_mul_u32_u24_e32 v9, 0x10001, v9
	v_pk_fma_f16 v27, v7, v28, v5
	s_wait_dscnt 0x1
	v_pk_fma_f16 v25, v12, v24, v25
	v_pk_fma_f16 v21, v12, v8, v21
	;; [unrolled: 1-line block ×4, first 2 shown]
	v_and_b32_e32 v4, 0xffff, v10
	v_lshrrev_b32_e32 v5, 16, v10
	v_pk_fma_f16 v24, v13, v24, v6
	v_pk_fma_f16 v8, v13, v8, v23
	;; [unrolled: 1-line block ×3, first 2 shown]
	v_and_b32_e32 v20, 0xffff, v11
	v_lshrrev_b32_e32 v11, 16, v11
	v_mul_u32_u24_e32 v23, 0x10001, v4
	v_mul_u32_u24_e32 v26, 0x10001, v5
	ds_load_2addr_b64 v[4:7], v113 offset0:192 offset1:224
	v_mul_u32_u24_e32 v20, 0x10001, v20
	v_mul_u32_u24_e32 v11, 0x10001, v11
	v_pk_fma_f16 v9, v13, v9, v27
	v_pk_fma_f16 v13, v14, v23, v25
	;; [unrolled: 1-line block ×6, first 2 shown]
	s_wait_dscnt 0x1
	v_and_b32_e32 v23, 0xffff, v16
	v_lshrrev_b32_e32 v16, 16, v16
	v_pk_fma_f16 v8, v15, v26, v8
	v_and_b32_e32 v24, 0xffff, v17
	v_lshrrev_b32_e32 v17, 16, v17
	v_pk_fma_f16 v20, v15, v20, v10
	v_mul_u32_u24_e32 v10, 0x10001, v23
	v_mul_u32_u24_e32 v16, 0x10001, v16
	;; [unrolled: 1-line block ×4, first 2 shown]
	v_pk_fma_f16 v24, v15, v11, v9
	s_wait_dscnt 0x0
	v_pk_fma_f16 v25, v4, v10, v13
	v_pk_fma_f16 v21, v4, v16, v21
	;; [unrolled: 1-line block ×4, first 2 shown]
	ds_load_b128 v[8:11], v102 offset:256
	v_pk_fma_f16 v22, v4, v23, v22
	v_pk_fma_f16 v4, v4, v17, v12
	v_and_b32_e32 v12, 0xffff, v18
	v_dual_lshrrev_b32 v13, 16, v18 :: v_dual_lshrrev_b32 v18, 16, v19
	v_and_b32_e32 v14, 0xffff, v19
	v_pk_fma_f16 v20, v5, v23, v20
	s_delay_alu instid0(VALU_DEP_4) | instskip(NEXT) | instid1(VALU_DEP_4)
	v_mul_u32_u24_e32 v19, 0x10001, v12
	v_mul_u32_u24_e32 v23, 0x10001, v13
	v_mul_u32_u24_e32 v28, 0x10001, v18
	v_mul_u32_u24_e32 v27, 0x10001, v14
	ds_load_2addr_b64 v[12:15], v114 offset1:32
	v_pk_fma_f16 v5, v5, v17, v24
	v_pk_fma_f16 v24, v6, v19, v25
	;; [unrolled: 1-line block ×7, first 2 shown]
	ds_load_b128 v[16:19], v102 offset:272
	s_wait_dscnt 0x2
	v_and_b32_e32 v25, 0xffff, v8
	v_lshrrev_b32_e32 v8, 16, v8
	v_and_b32_e32 v26, 0xffff, v9
	v_lshrrev_b32_e32 v9, 16, v9
	v_pk_fma_f16 v20, v7, v27, v20
	v_mul_u32_u24_e32 v25, 0x10001, v25
	v_mul_u32_u24_e32 v8, 0x10001, v8
	v_mul_u32_u24_e32 v26, 0x10001, v26
	v_mul_u32_u24_e32 v9, 0x10001, v9
	v_pk_fma_f16 v27, v7, v28, v5
	v_lshrrev_b32_e32 v5, 16, v10
	s_wait_dscnt 0x1
	v_pk_fma_f16 v24, v12, v25, v24
	v_pk_fma_f16 v21, v12, v8, v21
	;; [unrolled: 1-line block ×4, first 2 shown]
	v_and_b32_e32 v4, 0xffff, v10
	v_pk_fma_f16 v25, v13, v25, v6
	v_pk_fma_f16 v8, v13, v8, v23
	;; [unrolled: 1-line block ×3, first 2 shown]
	v_and_b32_e32 v20, 0xffff, v11
	v_lshrrev_b32_e32 v11, 16, v11
	v_mul_u32_u24_e32 v23, 0x10001, v4
	v_mul_u32_u24_e32 v26, 0x10001, v5
	ds_load_2addr_b64 v[4:7], v114 offset0:64 offset1:96
	v_mul_u32_u24_e32 v20, 0x10001, v20
	v_mul_u32_u24_e32 v11, 0x10001, v11
	v_pk_fma_f16 v9, v13, v9, v27
	v_pk_fma_f16 v13, v14, v23, v24
	;; [unrolled: 1-line block ×7, first 2 shown]
	s_wait_dscnt 0x1
	v_and_b32_e32 v8, 0xffff, v16
	v_lshrrev_b32_e32 v16, 16, v16
	v_and_b32_e32 v24, 0xffff, v17
	v_lshrrev_b32_e32 v17, 16, v17
	v_pk_fma_f16 v20, v15, v20, v10
	v_mul_u32_u24_e32 v8, 0x10001, v8
	v_mul_u32_u24_e32 v16, 0x10001, v16
	;; [unrolled: 1-line block ×4, first 2 shown]
	v_pk_fma_f16 v25, v15, v11, v9
	s_wait_dscnt 0x0
	v_pk_fma_f16 v26, v4, v8, v13
	v_pk_fma_f16 v27, v5, v8, v14
	ds_load_b128 v[8:11], v102 offset:288
	v_pk_fma_f16 v21, v4, v16, v21
	v_pk_fma_f16 v22, v4, v24, v22
	;; [unrolled: 1-line block ×3, first 2 shown]
	v_and_b32_e32 v12, 0xffff, v18
	v_dual_lshrrev_b32 v13, 16, v18 :: v_dual_lshrrev_b32 v18, 16, v19
	v_and_b32_e32 v14, 0xffff, v19
	v_pk_fma_f16 v16, v5, v16, v23
	v_pk_fma_f16 v20, v5, v24, v20
	v_mul_u32_u24_e32 v19, 0x10001, v12
	v_mul_u32_u24_e32 v23, 0x10001, v13
	;; [unrolled: 1-line block ×3, first 2 shown]
	ds_load_2addr_b64 v[12:15], v114 offset0:128 offset1:160
	v_mul_u32_u24_e32 v28, 0x10001, v18
	v_pk_fma_f16 v5, v5, v17, v25
	v_pk_fma_f16 v25, v6, v19, v26
	;; [unrolled: 1-line block ×7, first 2 shown]
	ds_load_b128 v[16:19], v102 offset:304
	s_wait_dscnt 0x2
	v_and_b32_e32 v26, 0xffff, v8
	v_lshrrev_b32_e32 v8, 16, v8
	v_and_b32_e32 v27, 0xffff, v9
	v_lshrrev_b32_e32 v9, 16, v9
	v_pk_fma_f16 v20, v7, v24, v20
	v_mul_u32_u24_e32 v24, 0x10001, v26
	v_mul_u32_u24_e32 v8, 0x10001, v8
	;; [unrolled: 1-line block ×4, first 2 shown]
	v_pk_fma_f16 v27, v7, v28, v5
	s_wait_dscnt 0x1
	v_pk_fma_f16 v25, v12, v24, v25
	v_pk_fma_f16 v21, v12, v8, v21
	;; [unrolled: 1-line block ×4, first 2 shown]
	v_and_b32_e32 v4, 0xffff, v10
	v_lshrrev_b32_e32 v5, 16, v10
	v_pk_fma_f16 v24, v13, v24, v6
	v_pk_fma_f16 v8, v13, v8, v23
	;; [unrolled: 1-line block ×3, first 2 shown]
	v_and_b32_e32 v20, 0xffff, v11
	v_lshrrev_b32_e32 v11, 16, v11
	v_mul_u32_u24_e32 v23, 0x10001, v4
	v_mul_u32_u24_e32 v26, 0x10001, v5
	ds_load_2addr_b64 v[4:7], v114 offset0:192 offset1:224
	v_mul_u32_u24_e32 v20, 0x10001, v20
	v_mul_u32_u24_e32 v11, 0x10001, v11
	v_pk_fma_f16 v9, v13, v9, v27
	v_pk_fma_f16 v13, v14, v23, v25
	;; [unrolled: 1-line block ×6, first 2 shown]
	s_wait_dscnt 0x1
	v_and_b32_e32 v23, 0xffff, v16
	v_lshrrev_b32_e32 v16, 16, v16
	v_pk_fma_f16 v8, v15, v26, v8
	v_and_b32_e32 v24, 0xffff, v17
	v_lshrrev_b32_e32 v17, 16, v17
	v_pk_fma_f16 v20, v15, v20, v10
	v_mul_u32_u24_e32 v10, 0x10001, v23
	v_mul_u32_u24_e32 v16, 0x10001, v16
	;; [unrolled: 1-line block ×4, first 2 shown]
	v_pk_fma_f16 v24, v15, v11, v9
	s_wait_dscnt 0x0
	v_pk_fma_f16 v25, v4, v10, v13
	v_pk_fma_f16 v21, v4, v16, v21
	;; [unrolled: 1-line block ×4, first 2 shown]
	ds_load_b128 v[8:11], v102 offset:320
	v_pk_fma_f16 v22, v4, v23, v22
	v_pk_fma_f16 v4, v4, v17, v12
	v_and_b32_e32 v12, 0xffff, v18
	v_dual_lshrrev_b32 v13, 16, v18 :: v_dual_lshrrev_b32 v18, 16, v19
	v_and_b32_e32 v14, 0xffff, v19
	v_pk_fma_f16 v20, v5, v23, v20
	s_delay_alu instid0(VALU_DEP_4) | instskip(NEXT) | instid1(VALU_DEP_4)
	v_mul_u32_u24_e32 v19, 0x10001, v12
	v_mul_u32_u24_e32 v23, 0x10001, v13
	;; [unrolled: 1-line block ×4, first 2 shown]
	ds_load_2addr_b64 v[12:15], v115 offset1:32
	v_pk_fma_f16 v5, v5, v17, v24
	v_pk_fma_f16 v24, v6, v19, v25
	;; [unrolled: 1-line block ×7, first 2 shown]
	ds_load_b128 v[16:19], v102 offset:336
	s_wait_dscnt 0x2
	v_and_b32_e32 v25, 0xffff, v8
	v_lshrrev_b32_e32 v8, 16, v8
	v_and_b32_e32 v26, 0xffff, v9
	v_lshrrev_b32_e32 v9, 16, v9
	v_pk_fma_f16 v20, v7, v27, v20
	v_mul_u32_u24_e32 v25, 0x10001, v25
	v_mul_u32_u24_e32 v8, 0x10001, v8
	;; [unrolled: 1-line block ×4, first 2 shown]
	v_pk_fma_f16 v27, v7, v28, v5
	v_lshrrev_b32_e32 v5, 16, v10
	s_wait_dscnt 0x1
	v_pk_fma_f16 v24, v12, v25, v24
	v_pk_fma_f16 v21, v12, v8, v21
	v_pk_fma_f16 v22, v12, v26, v22
	v_pk_fma_f16 v12, v12, v9, v4
	v_and_b32_e32 v4, 0xffff, v10
	v_pk_fma_f16 v25, v13, v25, v6
	v_pk_fma_f16 v8, v13, v8, v23
	;; [unrolled: 1-line block ×3, first 2 shown]
	v_and_b32_e32 v20, 0xffff, v11
	v_lshrrev_b32_e32 v11, 16, v11
	v_mul_u32_u24_e32 v23, 0x10001, v4
	v_mul_u32_u24_e32 v26, 0x10001, v5
	ds_load_2addr_b64 v[4:7], v115 offset0:64 offset1:96
	v_mul_u32_u24_e32 v20, 0x10001, v20
	v_mul_u32_u24_e32 v11, 0x10001, v11
	v_pk_fma_f16 v9, v13, v9, v27
	v_pk_fma_f16 v13, v14, v23, v24
	;; [unrolled: 1-line block ×6, first 2 shown]
	s_wait_dscnt 0x1
	v_and_b32_e32 v23, 0xffff, v16
	v_lshrrev_b32_e32 v16, 16, v16
	v_and_b32_e32 v24, 0xffff, v17
	v_lshrrev_b32_e32 v17, 16, v17
	v_pk_fma_f16 v8, v15, v26, v8
	v_pk_fma_f16 v10, v15, v20, v10
	v_mul_u32_u24_e32 v16, 0x10001, v16
	v_mul_u32_u24_e32 v20, 0x10001, v23
	;; [unrolled: 1-line block ×4, first 2 shown]
	v_pk_fma_f16 v15, v15, v11, v9
	s_wait_dscnt 0x0
	v_pk_fma_f16 v21, v4, v16, v21
	v_pk_fma_f16 v13, v4, v20, v13
	;; [unrolled: 1-line block ×4, first 2 shown]
	v_and_b32_e32 v8, 0xffff, v18
	v_pk_fma_f16 v22, v4, v23, v22
	v_pk_fma_f16 v4, v5, v20, v14
	v_dual_lshrrev_b32 v9, 16, v18 :: v_dual_lshrrev_b32 v157, 16, v19
	v_and_b32_e32 v11, 0xffff, v19
	v_mul_u32_u24_e32 v16, 0x10001, v8
	v_pk_fma_f16 v14, v5, v23, v10
	s_delay_alu instid0(VALU_DEP_4)
	v_mul_u32_u24_e32 v18, 0x10001, v9
	v_pk_fma_f16 v158, v5, v17, v15
	v_mul_u32_u24_e32 v19, 0x10001, v11
	v_pk_fma_f16 v162, v7, v16, v4
	v_add_nc_u32_e32 v5, 0x3000, v91
	v_add_nc_u32_e32 v4, 0x3800, v91
	ds_load_2addr_b64 v[8:11], v115 offset0:128 offset1:160
	v_pk_fma_f16 v159, v6, v16, v13
	v_pk_fma_f16 v160, v6, v18, v21
	v_pk_fma_f16 v161, v6, v19, v22
	v_pk_fma_f16 v163, v7, v18, v12
	ds_load_b128 v[40:43], v102 offset:352
	ds_load_b128 v[32:35], v102 offset:368
	v_pk_fma_f16 v164, v7, v19, v14
	ds_load_2addr_b64 v[20:23], v115 offset0:192 offset1:224
	ds_load_2addr_b64 v[12:15], v5 offset1:32
	ds_load_b128 v[16:19], v102 offset:384
	ds_load_b128 v[24:27], v102 offset:400
	ds_load_2addr_b64 v[28:31], v5 offset0:64 offset1:96
	ds_load_2addr_b64 v[36:39], v5 offset0:128 offset1:160
	;; [unrolled: 1-line block ×3, first 2 shown]
	ds_load_b128 v[56:59], v102 offset:416
	ds_load_b128 v[52:55], v102 offset:432
	ds_load_2addr_b64 v[116:119], v4 offset1:32
	ds_load_2addr_b64 v[120:123], v4 offset0:64 offset1:96
	ds_load_b128 v[124:127], v102 offset:448
	ds_load_b128 v[128:131], v102 offset:464
	ds_load_2addr_b64 v[132:135], v4 offset0:128 offset1:160
	ds_load_2addr_b64 v[48:51], v4 offset0:192 offset1:224
	ds_load_b128 v[136:139], v102 offset:480
	ds_load_b128 v[60:63], v102 offset:496
	s_wait_dscnt 0x0
	s_barrier_signal -1
	s_barrier_wait -1
	s_clause 0x3
	global_load_b128 v[140:143], v[148:149], off
	global_load_b128 v[144:147], v[150:151], off
	; meta instruction
	; meta instruction
	global_load_b128 v[148:151], v[152:153], off
	global_load_b128 v[152:155], v[154:155], off
	v_mul_u32_u24_e32 v157, 0x10001, v157
	s_wait_loadcnt 0x3
	ds_store_b128 v100, v[140:143]
	s_wait_loadcnt 0x2
	ds_store_b128 v103, v[144:147]
	;; [unrolled: 2-line block ×4, first 2 shown]
	v_pk_fma_f16 v6, v6, v157, v156
	v_pk_fma_f16 v7, v7, v157, v158
	v_and_b32_e32 v156, 0xffff, v40
	v_lshrrev_b32_e32 v40, 16, v40
	v_and_b32_e32 v157, 0xffff, v41
	v_lshrrev_b32_e32 v41, 16, v41
	s_wait_dscnt 0x0
	v_mul_u32_u24_e32 v156, 0x10001, v156
	v_mul_u32_u24_e32 v40, 0x10001, v40
	;; [unrolled: 1-line block ×4, first 2 shown]
	s_barrier_signal -1
	v_pk_fma_f16 v158, v8, v156, v159
	v_pk_fma_f16 v159, v8, v40, v160
	v_pk_fma_f16 v160, v8, v157, v161
	v_pk_fma_f16 v6, v8, v41, v6
	v_pk_fma_f16 v8, v9, v156, v162
	v_and_b32_e32 v156, 0xffff, v42
	v_lshrrev_b32_e32 v42, 16, v42
	v_and_b32_e32 v161, 0xffff, v43
	v_lshrrev_b32_e32 v43, 16, v43
	v_pk_fma_f16 v40, v9, v40, v163
	v_mul_u32_u24_e32 v156, 0x10001, v156
	v_mul_u32_u24_e32 v42, 0x10001, v42
	v_mul_u32_u24_e32 v161, 0x10001, v161
	v_mul_u32_u24_e32 v43, 0x10001, v43
	v_pk_fma_f16 v157, v9, v157, v164
	v_pk_fma_f16 v7, v9, v41, v7
	v_pk_fma_f16 v9, v10, v156, v158
	v_pk_fma_f16 v41, v10, v42, v159
	v_pk_fma_f16 v158, v10, v161, v160
	v_pk_fma_f16 v6, v10, v43, v6
	v_pk_fma_f16 v10, v11, v42, v40
	v_and_b32_e32 v40, 0xffff, v32
	v_lshrrev_b32_e32 v32, 16, v32
	v_and_b32_e32 v42, 0xffff, v33
	v_lshrrev_b32_e32 v33, 16, v33
	v_pk_fma_f16 v8, v11, v156, v8
	v_mul_u32_u24_e32 v40, 0x10001, v40
	v_mul_u32_u24_e32 v32, 0x10001, v32
	v_mul_u32_u24_e32 v42, 0x10001, v42
	v_mul_u32_u24_e32 v33, 0x10001, v33
	v_pk_fma_f16 v156, v11, v161, v157
	v_pk_fma_f16 v7, v11, v43, v7
	;; [unrolled: 16-line block ×4, first 2 shown]
	v_pk_fma_f16 v9, v12, v20, v9
	v_pk_fma_f16 v11, v12, v16, v11
	;; [unrolled: 1-line block ×4, first 2 shown]
	v_and_b32_e32 v12, 0xffff, v18
	v_pk_fma_f16 v8, v13, v20, v8
	v_lshrrev_b32_e32 v18, 16, v18
	v_and_b32_e32 v20, 0xffff, v19
	v_lshrrev_b32_e32 v19, 16, v19
	v_pk_fma_f16 v10, v13, v16, v10
	v_pk_fma_f16 v16, v13, v22, v32
	v_mul_u32_u24_e32 v12, 0x10001, v12
	v_mul_u32_u24_e32 v18, 0x10001, v18
	v_pk_fma_f16 v7, v13, v17, v7
	v_mul_u32_u24_e32 v13, 0x10001, v20
	v_mul_u32_u24_e32 v17, 0x10001, v19
	v_pk_fma_f16 v9, v14, v12, v9
	v_pk_fma_f16 v11, v14, v18, v11
	v_pk_fma_f16 v8, v15, v12, v8
	v_pk_fma_f16 v10, v15, v18, v10
	v_pk_fma_f16 v12, v14, v13, v21
	v_pk_fma_f16 v6, v14, v17, v6
	v_and_b32_e32 v14, 0xffff, v24
	v_dual_lshrrev_b32 v18, 16, v24 :: v_dual_lshrrev_b32 v20, 16, v25
	v_and_b32_e32 v19, 0xffff, v25
	v_pk_fma_f16 v13, v15, v13, v16
	s_delay_alu instid0(VALU_DEP_4) | instskip(NEXT) | instid1(VALU_DEP_4)
	v_mul_u32_u24_e32 v14, 0x10001, v14
	v_mul_u32_u24_e32 v16, 0x10001, v18
	v_pk_fma_f16 v7, v15, v17, v7
	v_lshrrev_b32_e32 v15, 16, v26
	v_and_b32_e32 v17, 0xffff, v27
	v_mul_u32_u24_e32 v18, 0x10001, v19
	v_pk_fma_f16 v9, v28, v14, v9
	v_pk_fma_f16 v11, v28, v16, v11
	;; [unrolled: 1-line block ×3, first 2 shown]
	v_and_b32_e32 v14, 0xffff, v26
	v_pk_fma_f16 v10, v29, v16, v10
	v_mul_u32_u24_e32 v16, 0x10001, v17
	v_lshrrev_b32_e32 v17, 16, v27
	v_mul_u32_u24_e32 v15, 0x10001, v15
	v_mul_u32_u24_e32 v19, 0x10001, v20
	v_pk_fma_f16 v12, v28, v18, v12
	v_pk_fma_f16 v13, v29, v18, v13
	v_mul_u32_u24_e32 v14, 0x10001, v14
	v_pk_fma_f16 v11, v30, v15, v11
	v_pk_fma_f16 v10, v31, v15, v10
	v_and_b32_e32 v15, 0xffff, v56
	v_pk_fma_f16 v6, v28, v19, v6
	v_pk_fma_f16 v7, v29, v19, v7
	;; [unrolled: 1-line block ×6, first 2 shown]
	v_mul_u32_u24_e32 v14, 0x10001, v17
	v_dual_lshrrev_b32 v16, 16, v56 :: v_dual_lshrrev_b32 v18, 16, v57
	v_mul_u32_u24_e32 v15, 0x10001, v15
	v_and_b32_e32 v17, 0xffff, v57
	s_delay_alu instid0(VALU_DEP_4) | instskip(NEXT) | instid1(VALU_DEP_4)
	v_pk_fma_f16 v6, v30, v14, v6
	v_mul_u32_u24_e32 v16, 0x10001, v16
	v_pk_fma_f16 v7, v31, v14, v7
	v_pk_fma_f16 v9, v36, v15, v9
	;; [unrolled: 1-line block ×3, first 2 shown]
	v_and_b32_e32 v14, 0xffff, v58
	v_dual_lshrrev_b32 v15, 16, v58 :: v_dual_lshrrev_b32 v19, 16, v59
	v_pk_fma_f16 v11, v36, v16, v11
	v_pk_fma_f16 v10, v37, v16, v10
	s_delay_alu instid0(VALU_DEP_4) | instskip(NEXT) | instid1(VALU_DEP_4)
	v_mul_u32_u24_e32 v14, 0x10001, v14
	v_mul_u32_u24_e32 v15, 0x10001, v15
	;; [unrolled: 1-line block ×4, first 2 shown]
	v_and_b32_e32 v16, 0xffff, v59
	v_pk_fma_f16 v9, v38, v14, v9
	v_pk_fma_f16 v11, v38, v15, v11
	;; [unrolled: 1-line block ×4, first 2 shown]
	v_and_b32_e32 v14, 0xffff, v52
	v_lshrrev_b32_e32 v15, 16, v52
	v_pk_fma_f16 v12, v36, v17, v12
	v_pk_fma_f16 v13, v37, v17, v13
	v_mul_u32_u24_e32 v17, 0x10001, v19
	v_lshrrev_b32_e32 v19, 16, v53
	v_mul_u32_u24_e32 v14, 0x10001, v14
	v_mul_u32_u24_e32 v15, 0x10001, v15
	v_pk_fma_f16 v6, v36, v18, v6
	v_mul_u32_u24_e32 v16, 0x10001, v16
	v_pk_fma_f16 v7, v37, v18, v7
	v_and_b32_e32 v18, 0xffff, v53
	v_pk_fma_f16 v9, v44, v14, v9
	v_pk_fma_f16 v11, v44, v15, v11
	v_pk_fma_f16 v8, v45, v14, v8
	v_pk_fma_f16 v10, v45, v15, v10
	v_and_b32_e32 v14, 0xffff, v54
	v_lshrrev_b32_e32 v15, 16, v54
	v_pk_fma_f16 v12, v38, v16, v12
	v_pk_fma_f16 v13, v39, v16, v13
	v_mul_u32_u24_e32 v16, 0x10001, v18
	v_mul_u32_u24_e32 v18, 0x10001, v19
	v_lshrrev_b32_e32 v19, 16, v55
	v_mul_u32_u24_e32 v14, 0x10001, v14
	v_mul_u32_u24_e32 v15, 0x10001, v15
	v_pk_fma_f16 v6, v38, v17, v6
	v_pk_fma_f16 v7, v39, v17, v7
	v_and_b32_e32 v17, 0xffff, v55
	v_pk_fma_f16 v9, v46, v14, v9
	v_pk_fma_f16 v11, v46, v15, v11
	v_pk_fma_f16 v8, v47, v14, v8
	v_pk_fma_f16 v10, v47, v15, v10
	v_and_b32_e32 v14, 0xffff, v124
	v_lshrrev_b32_e32 v15, 16, v124
	v_pk_fma_f16 v12, v44, v16, v12
	v_pk_fma_f16 v13, v45, v16, v13
	v_mul_u32_u24_e32 v16, 0x10001, v17
	v_mul_u32_u24_e32 v17, 0x10001, v19
	v_lshrrev_b32_e32 v19, 16, v125
	v_mul_u32_u24_e32 v14, 0x10001, v14
	v_mul_u32_u24_e32 v15, 0x10001, v15
	v_pk_fma_f16 v6, v44, v18, v6
	;; [unrolled: 16-line block ×6, first 2 shown]
	v_pk_fma_f16 v7, v121, v18, v7
	v_and_b32_e32 v18, 0xffff, v137
	v_pk_fma_f16 v9, v132, v14, v9
	v_pk_fma_f16 v11, v132, v15, v11
	;; [unrolled: 1-line block ×4, first 2 shown]
	v_and_b32_e32 v14, 0xffff, v138
	v_lshrrev_b32_e32 v15, 16, v138
	v_pk_fma_f16 v12, v122, v16, v12
	v_pk_fma_f16 v6, v122, v17, v6
	;; [unrolled: 1-line block ×3, first 2 shown]
	v_mul_u32_u24_e32 v16, 0x10001, v18
	v_mul_u32_u24_e32 v18, 0x10001, v19
	v_pk_fma_f16 v7, v123, v17, v7
	v_and_b32_e32 v17, 0xffff, v139
	v_lshrrev_b32_e32 v19, 16, v139
	v_mul_u32_u24_e32 v14, 0x10001, v14
	v_mul_u32_u24_e32 v15, 0x10001, v15
	v_pk_fma_f16 v12, v132, v16, v12
	v_pk_fma_f16 v6, v132, v18, v6
	;; [unrolled: 1-line block ×3, first 2 shown]
	v_mul_u32_u24_e32 v16, 0x10001, v17
	v_mul_u32_u24_e32 v17, 0x10001, v19
	v_pk_fma_f16 v7, v133, v18, v7
	v_pk_fma_f16 v9, v134, v14, v9
	;; [unrolled: 1-line block ×5, first 2 shown]
	v_and_b32_e32 v14, 0xffff, v60
	v_dual_lshrrev_b32 v15, 16, v60 :: v_dual_lshrrev_b32 v19, 16, v61
	v_and_b32_e32 v18, 0xffff, v61
	v_pk_fma_f16 v12, v134, v16, v12
	v_pk_fma_f16 v6, v134, v17, v6
	;; [unrolled: 1-line block ×3, first 2 shown]
	v_mul_u32_u24_e32 v14, 0x10001, v14
	v_mul_u32_u24_e32 v16, 0x10001, v18
	;; [unrolled: 1-line block ×4, first 2 shown]
	v_pk_fma_f16 v17, v135, v17, v7
	v_pk_fma_f16 v19, v48, v14, v9
	;; [unrolled: 1-line block ×4, first 2 shown]
	s_barrier_wait -1
	ds_load_b128 v[6:9], v102 offset:512
	v_pk_fma_f16 v20, v48, v15, v11
	v_pk_fma_f16 v21, v48, v16, v12
	;; [unrolled: 1-line block ×4, first 2 shown]
	v_and_b32_e32 v10, 0xffff, v62
	v_dual_lshrrev_b32 v11, 16, v62 :: v_dual_lshrrev_b32 v13, 16, v63
	v_and_b32_e32 v12, 0xffff, v63
	v_pk_fma_f16 v18, v49, v18, v17
	s_delay_alu instid0(VALU_DEP_4) | instskip(NEXT) | instid1(VALU_DEP_4)
	v_mul_u32_u24_e32 v17, 0x10001, v10
	v_mul_u32_u24_e32 v23, 0x10001, v11
	;; [unrolled: 1-line block ×4, first 2 shown]
	ds_load_2addr_b64 v[10:13], v91 offset1:32
	v_pk_fma_f16 v26, v50, v17, v19
	v_pk_fma_f16 v27, v50, v23, v20
	;; [unrolled: 1-line block ×5, first 2 shown]
	ds_load_b128 v[14:17], v102 offset:528
	s_wait_dscnt 0x2
	v_and_b32_e32 v19, 0xffff, v6
	v_lshrrev_b32_e32 v6, 16, v6
	v_and_b32_e32 v20, 0xffff, v7
	v_lshrrev_b32_e32 v7, 16, v7
	v_pk_fma_f16 v28, v50, v24, v21
	v_pk_fma_f16 v29, v50, v25, v22
	v_mul_u32_u24_e32 v34, 0x10001, v19
	v_mul_u32_u24_e32 v6, 0x10001, v6
	;; [unrolled: 1-line block ×4, first 2 shown]
	v_lshrrev_b32_e32 v7, 16, v8
	v_pk_fma_f16 v33, v51, v25, v18
	ds_load_b128 v[18:21], v102 offset:544
	ds_load_b128 v[22:25], v102 offset:560
	s_wait_dscnt 0x3
	v_pk_fma_f16 v26, v10, v34, v26
	v_pk_fma_f16 v27, v10, v6, v27
	;; [unrolled: 1-line block ×6, first 2 shown]
	v_and_b32_e32 v6, 0xffff, v8
	v_pk_fma_f16 v31, v11, v35, v32
	v_and_b32_e32 v32, 0xffff, v9
	v_lshrrev_b32_e32 v34, 16, v9
	v_mul_u32_u24_e32 v37, 0x10001, v7
	v_mul_u32_u24_e32 v35, 0x10001, v6
	ds_load_2addr_b64 v[6:9], v91 offset0:64 offset1:96
	v_mul_u32_u24_e32 v32, 0x10001, v32
	v_mul_u32_u24_e32 v34, 0x10001, v34
	v_pk_fma_f16 v11, v11, v36, v33
	v_pk_fma_f16 v26, v12, v35, v26
	;; [unrolled: 1-line block ×7, first 2 shown]
	s_wait_dscnt 0x3
	v_and_b32_e32 v30, 0xffff, v14
	v_lshrrev_b32_e32 v14, 16, v14
	v_and_b32_e32 v33, 0xffff, v15
	v_lshrrev_b32_e32 v15, 16, v15
	v_pk_fma_f16 v31, v13, v32, v31
	v_mul_u32_u24_e32 v30, 0x10001, v30
	v_mul_u32_u24_e32 v14, 0x10001, v14
	;; [unrolled: 1-line block ×4, first 2 shown]
	v_pk_fma_f16 v33, v13, v34, v11
	s_wait_dscnt 0x0
	v_pk_fma_f16 v26, v6, v30, v26
	v_pk_fma_f16 v27, v6, v14, v27
	;; [unrolled: 1-line block ×4, first 2 shown]
	v_and_b32_e32 v10, 0xffff, v16
	v_lshrrev_b32_e32 v11, 16, v16
	v_pk_fma_f16 v30, v7, v30, v12
	v_pk_fma_f16 v14, v7, v14, v29
	;; [unrolled: 1-line block ×3, first 2 shown]
	v_and_b32_e32 v29, 0xffff, v17
	v_lshrrev_b32_e32 v17, 16, v17
	v_mul_u32_u24_e32 v31, 0x10001, v10
	v_mul_u32_u24_e32 v32, 0x10001, v11
	ds_load_2addr_b64 v[10:13], v91 offset0:128 offset1:160
	v_mul_u32_u24_e32 v29, 0x10001, v29
	v_mul_u32_u24_e32 v17, 0x10001, v17
	v_pk_fma_f16 v7, v7, v15, v33
	v_pk_fma_f16 v15, v8, v31, v26
	;; [unrolled: 1-line block ×6, first 2 shown]
	v_and_b32_e32 v28, 0xffff, v18
	v_lshrrev_b32_e32 v18, 16, v18
	v_and_b32_e32 v30, 0xffff, v19
	v_lshrrev_b32_e32 v19, 16, v19
	v_pk_fma_f16 v16, v9, v29, v16
	v_mul_u32_u24_e32 v28, 0x10001, v28
	v_mul_u32_u24_e32 v18, 0x10001, v18
	;; [unrolled: 1-line block ×4, first 2 shown]
	v_pk_fma_f16 v14, v9, v32, v14
	v_pk_fma_f16 v17, v9, v17, v7
	s_wait_dscnt 0x0
	v_pk_fma_f16 v15, v10, v28, v15
	v_pk_fma_f16 v26, v10, v18, v26
	;; [unrolled: 1-line block ×4, first 2 shown]
	v_and_b32_e32 v6, 0xffff, v20
	v_dual_lshrrev_b32 v7, 16, v20 :: v_dual_lshrrev_b32 v20, 16, v21
	v_pk_fma_f16 v28, v11, v28, v8
	v_pk_fma_f16 v14, v11, v18, v14
	;; [unrolled: 1-line block ×3, first 2 shown]
	v_and_b32_e32 v18, 0xffff, v21
	v_mul_u32_u24_e32 v21, 0x10001, v6
	v_mul_u32_u24_e32 v29, 0x10001, v7
	ds_load_2addr_b64 v[6:9], v91 offset0:192 offset1:224
	v_mul_u32_u24_e32 v20, 0x10001, v20
	v_mul_u32_u24_e32 v18, 0x10001, v18
	v_pk_fma_f16 v11, v11, v19, v17
	v_pk_fma_f16 v15, v12, v21, v15
	;; [unrolled: 1-line block ×6, first 2 shown]
	v_and_b32_e32 v21, 0xffff, v22
	v_lshrrev_b32_e32 v22, 16, v22
	v_and_b32_e32 v26, 0xffff, v23
	v_lshrrev_b32_e32 v23, 16, v23
	v_pk_fma_f16 v16, v13, v18, v16
	v_mul_u32_u24_e32 v18, 0x10001, v21
	v_mul_u32_u24_e32 v21, 0x10001, v22
	;; [unrolled: 1-line block ×4, first 2 shown]
	v_pk_fma_f16 v14, v13, v29, v14
	v_pk_fma_f16 v20, v13, v20, v11
	s_wait_dscnt 0x0
	v_pk_fma_f16 v26, v6, v18, v15
	v_pk_fma_f16 v27, v6, v21, v17
	;; [unrolled: 1-line block ×5, first 2 shown]
	ds_load_b128 v[10:13], v102 offset:576
	v_pk_fma_f16 v21, v7, v21, v14
	v_and_b32_e32 v14, 0xffff, v24
	v_dual_lshrrev_b32 v15, 16, v24 :: v_dual_lshrrev_b32 v24, 16, v25
	v_and_b32_e32 v17, 0xffff, v25
	v_pk_fma_f16 v22, v7, v22, v16
	s_delay_alu instid0(VALU_DEP_4) | instskip(NEXT) | instid1(VALU_DEP_4)
	v_mul_u32_u24_e32 v25, 0x10001, v14
	v_mul_u32_u24_e32 v28, 0x10001, v15
	;; [unrolled: 1-line block ×4, first 2 shown]
	ds_load_2addr_b64 v[14:17], v111 offset1:32
	v_pk_fma_f16 v7, v7, v23, v20
	v_pk_fma_f16 v23, v8, v25, v26
	;; [unrolled: 1-line block ×7, first 2 shown]
	ds_load_b128 v[18:21], v102 offset:592
	s_wait_dscnt 0x2
	v_and_b32_e32 v28, 0xffff, v10
	v_lshrrev_b32_e32 v10, 16, v10
	v_and_b32_e32 v30, 0xffff, v11
	v_lshrrev_b32_e32 v11, 16, v11
	v_pk_fma_f16 v22, v9, v29, v22
	v_mul_u32_u24_e32 v28, 0x10001, v28
	v_mul_u32_u24_e32 v10, 0x10001, v10
	;; [unrolled: 1-line block ×4, first 2 shown]
	v_pk_fma_f16 v24, v9, v24, v7
	v_lshrrev_b32_e32 v7, 16, v12
	s_wait_dscnt 0x1
	v_pk_fma_f16 v23, v14, v28, v23
	v_pk_fma_f16 v26, v14, v10, v26
	;; [unrolled: 1-line block ×4, first 2 shown]
	v_and_b32_e32 v6, 0xffff, v12
	v_pk_fma_f16 v28, v15, v28, v8
	v_pk_fma_f16 v10, v15, v10, v25
	;; [unrolled: 1-line block ×3, first 2 shown]
	v_and_b32_e32 v22, 0xffff, v13
	v_lshrrev_b32_e32 v13, 16, v13
	v_mul_u32_u24_e32 v25, 0x10001, v6
	v_mul_u32_u24_e32 v29, 0x10001, v7
	ds_load_2addr_b64 v[6:9], v111 offset0:64 offset1:96
	v_mul_u32_u24_e32 v22, 0x10001, v22
	v_mul_u32_u24_e32 v13, 0x10001, v13
	v_pk_fma_f16 v11, v15, v11, v24
	v_pk_fma_f16 v15, v16, v25, v23
	;; [unrolled: 1-line block ×7, first 2 shown]
	s_wait_dscnt 0x1
	v_and_b32_e32 v10, 0xffff, v18
	v_lshrrev_b32_e32 v18, 16, v18
	v_and_b32_e32 v26, 0xffff, v19
	v_lshrrev_b32_e32 v19, 16, v19
	v_pk_fma_f16 v22, v17, v22, v12
	v_mul_u32_u24_e32 v10, 0x10001, v10
	v_mul_u32_u24_e32 v18, 0x10001, v18
	;; [unrolled: 1-line block ×4, first 2 shown]
	v_pk_fma_f16 v27, v17, v13, v11
	s_wait_dscnt 0x0
	v_pk_fma_f16 v28, v6, v10, v15
	v_pk_fma_f16 v29, v7, v10, v16
	ds_load_b128 v[10:13], v102 offset:608
	v_pk_fma_f16 v23, v6, v18, v23
	v_pk_fma_f16 v24, v6, v26, v24
	;; [unrolled: 1-line block ×3, first 2 shown]
	v_and_b32_e32 v14, 0xffff, v20
	v_dual_lshrrev_b32 v15, 16, v20 :: v_dual_lshrrev_b32 v20, 16, v21
	v_and_b32_e32 v16, 0xffff, v21
	v_pk_fma_f16 v18, v7, v18, v25
	v_pk_fma_f16 v22, v7, v26, v22
	v_mul_u32_u24_e32 v21, 0x10001, v14
	v_mul_u32_u24_e32 v25, 0x10001, v15
	;; [unrolled: 1-line block ×3, first 2 shown]
	ds_load_2addr_b64 v[14:17], v111 offset0:128 offset1:160
	v_mul_u32_u24_e32 v30, 0x10001, v20
	v_pk_fma_f16 v7, v7, v19, v27
	v_pk_fma_f16 v27, v8, v21, v28
	;; [unrolled: 1-line block ×7, first 2 shown]
	ds_load_b128 v[18:21], v102 offset:624
	s_wait_dscnt 0x2
	v_and_b32_e32 v28, 0xffff, v10
	v_lshrrev_b32_e32 v10, 16, v10
	v_and_b32_e32 v29, 0xffff, v11
	v_lshrrev_b32_e32 v11, 16, v11
	v_pk_fma_f16 v22, v9, v26, v22
	v_mul_u32_u24_e32 v26, 0x10001, v28
	v_mul_u32_u24_e32 v10, 0x10001, v10
	v_mul_u32_u24_e32 v28, 0x10001, v29
	v_mul_u32_u24_e32 v11, 0x10001, v11
	v_pk_fma_f16 v29, v9, v30, v7
	s_wait_dscnt 0x1
	v_pk_fma_f16 v27, v14, v26, v27
	v_pk_fma_f16 v23, v14, v10, v23
	;; [unrolled: 1-line block ×4, first 2 shown]
	v_and_b32_e32 v6, 0xffff, v12
	v_lshrrev_b32_e32 v7, 16, v12
	v_pk_fma_f16 v26, v15, v26, v8
	v_pk_fma_f16 v10, v15, v10, v25
	;; [unrolled: 1-line block ×3, first 2 shown]
	v_and_b32_e32 v22, 0xffff, v13
	v_lshrrev_b32_e32 v13, 16, v13
	v_mul_u32_u24_e32 v25, 0x10001, v6
	v_mul_u32_u24_e32 v28, 0x10001, v7
	ds_load_2addr_b64 v[6:9], v111 offset0:192 offset1:224
	v_mul_u32_u24_e32 v22, 0x10001, v22
	v_mul_u32_u24_e32 v13, 0x10001, v13
	v_pk_fma_f16 v11, v15, v11, v29
	v_pk_fma_f16 v15, v16, v25, v27
	;; [unrolled: 1-line block ×7, first 2 shown]
	s_wait_dscnt 0x1
	v_and_b32_e32 v10, 0xffff, v18
	v_lshrrev_b32_e32 v18, 16, v18
	v_and_b32_e32 v26, 0xffff, v19
	v_lshrrev_b32_e32 v19, 16, v19
	v_pk_fma_f16 v22, v17, v22, v12
	v_mul_u32_u24_e32 v10, 0x10001, v10
	v_mul_u32_u24_e32 v18, 0x10001, v18
	;; [unrolled: 1-line block ×4, first 2 shown]
	v_pk_fma_f16 v27, v17, v13, v11
	s_wait_dscnt 0x0
	v_pk_fma_f16 v28, v6, v10, v15
	v_pk_fma_f16 v29, v7, v10, v16
	ds_load_b128 v[10:13], v102 offset:640
	v_pk_fma_f16 v23, v6, v18, v23
	v_pk_fma_f16 v24, v6, v26, v24
	;; [unrolled: 1-line block ×3, first 2 shown]
	v_and_b32_e32 v14, 0xffff, v20
	v_dual_lshrrev_b32 v15, 16, v20 :: v_dual_lshrrev_b32 v20, 16, v21
	v_and_b32_e32 v16, 0xffff, v21
	v_pk_fma_f16 v18, v7, v18, v25
	v_pk_fma_f16 v22, v7, v26, v22
	v_mul_u32_u24_e32 v21, 0x10001, v14
	v_mul_u32_u24_e32 v25, 0x10001, v15
	;; [unrolled: 1-line block ×3, first 2 shown]
	ds_load_2addr_b64 v[14:17], v112 offset1:32
	v_mul_u32_u24_e32 v30, 0x10001, v20
	v_pk_fma_f16 v7, v7, v19, v27
	v_pk_fma_f16 v27, v8, v21, v28
	;; [unrolled: 1-line block ×7, first 2 shown]
	ds_load_b128 v[18:21], v102 offset:656
	s_wait_dscnt 0x2
	v_and_b32_e32 v28, 0xffff, v10
	v_lshrrev_b32_e32 v10, 16, v10
	v_and_b32_e32 v29, 0xffff, v11
	v_lshrrev_b32_e32 v11, 16, v11
	v_pk_fma_f16 v22, v9, v26, v22
	v_mul_u32_u24_e32 v26, 0x10001, v28
	v_mul_u32_u24_e32 v10, 0x10001, v10
	;; [unrolled: 1-line block ×4, first 2 shown]
	v_pk_fma_f16 v29, v9, v30, v7
	s_wait_dscnt 0x1
	v_pk_fma_f16 v27, v14, v26, v27
	v_pk_fma_f16 v23, v14, v10, v23
	;; [unrolled: 1-line block ×4, first 2 shown]
	v_and_b32_e32 v6, 0xffff, v12
	v_lshrrev_b32_e32 v7, 16, v12
	v_pk_fma_f16 v26, v15, v26, v8
	v_pk_fma_f16 v10, v15, v10, v25
	;; [unrolled: 1-line block ×3, first 2 shown]
	v_and_b32_e32 v22, 0xffff, v13
	v_lshrrev_b32_e32 v13, 16, v13
	v_mul_u32_u24_e32 v25, 0x10001, v6
	v_mul_u32_u24_e32 v28, 0x10001, v7
	ds_load_2addr_b64 v[6:9], v112 offset0:64 offset1:96
	v_mul_u32_u24_e32 v22, 0x10001, v22
	v_mul_u32_u24_e32 v13, 0x10001, v13
	v_pk_fma_f16 v11, v15, v11, v29
	v_pk_fma_f16 v15, v16, v25, v27
	;; [unrolled: 1-line block ×7, first 2 shown]
	s_wait_dscnt 0x1
	v_and_b32_e32 v10, 0xffff, v18
	v_lshrrev_b32_e32 v18, 16, v18
	v_and_b32_e32 v26, 0xffff, v19
	v_lshrrev_b32_e32 v19, 16, v19
	v_pk_fma_f16 v22, v17, v22, v12
	v_mul_u32_u24_e32 v10, 0x10001, v10
	v_mul_u32_u24_e32 v18, 0x10001, v18
	;; [unrolled: 1-line block ×4, first 2 shown]
	v_pk_fma_f16 v27, v17, v13, v11
	s_wait_dscnt 0x0
	v_pk_fma_f16 v28, v6, v10, v15
	v_pk_fma_f16 v29, v7, v10, v16
	ds_load_b128 v[10:13], v102 offset:672
	v_pk_fma_f16 v23, v6, v18, v23
	v_pk_fma_f16 v24, v6, v26, v24
	;; [unrolled: 1-line block ×3, first 2 shown]
	v_and_b32_e32 v14, 0xffff, v20
	v_dual_lshrrev_b32 v15, 16, v20 :: v_dual_lshrrev_b32 v20, 16, v21
	v_and_b32_e32 v16, 0xffff, v21
	v_pk_fma_f16 v18, v7, v18, v25
	v_pk_fma_f16 v22, v7, v26, v22
	v_mul_u32_u24_e32 v21, 0x10001, v14
	v_mul_u32_u24_e32 v25, 0x10001, v15
	;; [unrolled: 1-line block ×3, first 2 shown]
	ds_load_2addr_b64 v[14:17], v112 offset0:128 offset1:160
	v_mul_u32_u24_e32 v30, 0x10001, v20
	v_pk_fma_f16 v7, v7, v19, v27
	v_pk_fma_f16 v27, v8, v21, v28
	;; [unrolled: 1-line block ×7, first 2 shown]
	ds_load_b128 v[18:21], v102 offset:688
	s_wait_dscnt 0x2
	v_and_b32_e32 v28, 0xffff, v10
	v_lshrrev_b32_e32 v10, 16, v10
	v_and_b32_e32 v29, 0xffff, v11
	v_lshrrev_b32_e32 v11, 16, v11
	v_pk_fma_f16 v22, v9, v26, v22
	v_mul_u32_u24_e32 v26, 0x10001, v28
	v_mul_u32_u24_e32 v10, 0x10001, v10
	;; [unrolled: 1-line block ×4, first 2 shown]
	v_pk_fma_f16 v29, v9, v30, v7
	s_wait_dscnt 0x1
	v_pk_fma_f16 v27, v14, v26, v27
	v_pk_fma_f16 v23, v14, v10, v23
	;; [unrolled: 1-line block ×4, first 2 shown]
	v_and_b32_e32 v6, 0xffff, v12
	v_lshrrev_b32_e32 v7, 16, v12
	v_pk_fma_f16 v26, v15, v26, v8
	v_pk_fma_f16 v10, v15, v10, v25
	;; [unrolled: 1-line block ×3, first 2 shown]
	v_and_b32_e32 v22, 0xffff, v13
	v_lshrrev_b32_e32 v13, 16, v13
	v_mul_u32_u24_e32 v25, 0x10001, v6
	v_mul_u32_u24_e32 v28, 0x10001, v7
	ds_load_2addr_b64 v[6:9], v112 offset0:192 offset1:224
	v_mul_u32_u24_e32 v22, 0x10001, v22
	v_mul_u32_u24_e32 v13, 0x10001, v13
	v_pk_fma_f16 v11, v15, v11, v29
	v_pk_fma_f16 v15, v16, v25, v27
	v_pk_fma_f16 v23, v16, v28, v23
	v_pk_fma_f16 v24, v16, v22, v24
	v_pk_fma_f16 v14, v16, v13, v14
	v_pk_fma_f16 v16, v17, v25, v26
	v_pk_fma_f16 v25, v17, v28, v10
	s_wait_dscnt 0x1
	v_and_b32_e32 v10, 0xffff, v18
	v_lshrrev_b32_e32 v18, 16, v18
	v_and_b32_e32 v26, 0xffff, v19
	v_lshrrev_b32_e32 v19, 16, v19
	v_pk_fma_f16 v22, v17, v22, v12
	v_mul_u32_u24_e32 v10, 0x10001, v10
	v_mul_u32_u24_e32 v18, 0x10001, v18
	;; [unrolled: 1-line block ×4, first 2 shown]
	v_pk_fma_f16 v27, v17, v13, v11
	s_wait_dscnt 0x0
	v_pk_fma_f16 v28, v6, v10, v15
	v_pk_fma_f16 v29, v7, v10, v16
	ds_load_b128 v[10:13], v102 offset:704
	v_pk_fma_f16 v23, v6, v18, v23
	v_pk_fma_f16 v24, v6, v26, v24
	;; [unrolled: 1-line block ×3, first 2 shown]
	v_and_b32_e32 v14, 0xffff, v20
	v_dual_lshrrev_b32 v15, 16, v20 :: v_dual_lshrrev_b32 v20, 16, v21
	v_and_b32_e32 v16, 0xffff, v21
	v_pk_fma_f16 v18, v7, v18, v25
	v_pk_fma_f16 v22, v7, v26, v22
	v_mul_u32_u24_e32 v21, 0x10001, v14
	v_mul_u32_u24_e32 v25, 0x10001, v15
	;; [unrolled: 1-line block ×3, first 2 shown]
	ds_load_2addr_b64 v[14:17], v113 offset1:32
	v_mul_u32_u24_e32 v30, 0x10001, v20
	v_pk_fma_f16 v7, v7, v19, v27
	v_pk_fma_f16 v27, v8, v21, v28
	;; [unrolled: 1-line block ×7, first 2 shown]
	ds_load_b128 v[18:21], v102 offset:720
	s_wait_dscnt 0x2
	v_and_b32_e32 v28, 0xffff, v10
	v_lshrrev_b32_e32 v10, 16, v10
	v_and_b32_e32 v29, 0xffff, v11
	v_lshrrev_b32_e32 v11, 16, v11
	v_pk_fma_f16 v22, v9, v26, v22
	v_mul_u32_u24_e32 v26, 0x10001, v28
	v_mul_u32_u24_e32 v10, 0x10001, v10
	;; [unrolled: 1-line block ×4, first 2 shown]
	v_pk_fma_f16 v29, v9, v30, v7
	s_wait_dscnt 0x1
	v_pk_fma_f16 v27, v14, v26, v27
	v_pk_fma_f16 v23, v14, v10, v23
	;; [unrolled: 1-line block ×4, first 2 shown]
	v_and_b32_e32 v6, 0xffff, v12
	v_lshrrev_b32_e32 v7, 16, v12
	v_pk_fma_f16 v26, v15, v26, v8
	v_pk_fma_f16 v10, v15, v10, v25
	;; [unrolled: 1-line block ×3, first 2 shown]
	v_and_b32_e32 v22, 0xffff, v13
	v_lshrrev_b32_e32 v13, 16, v13
	v_mul_u32_u24_e32 v25, 0x10001, v6
	v_mul_u32_u24_e32 v28, 0x10001, v7
	ds_load_2addr_b64 v[6:9], v113 offset0:64 offset1:96
	v_mul_u32_u24_e32 v22, 0x10001, v22
	v_mul_u32_u24_e32 v13, 0x10001, v13
	v_pk_fma_f16 v11, v15, v11, v29
	v_pk_fma_f16 v15, v16, v25, v27
	;; [unrolled: 1-line block ×7, first 2 shown]
	s_wait_dscnt 0x1
	v_and_b32_e32 v10, 0xffff, v18
	v_lshrrev_b32_e32 v18, 16, v18
	v_and_b32_e32 v26, 0xffff, v19
	v_lshrrev_b32_e32 v19, 16, v19
	v_pk_fma_f16 v22, v17, v22, v12
	v_mul_u32_u24_e32 v10, 0x10001, v10
	v_mul_u32_u24_e32 v18, 0x10001, v18
	;; [unrolled: 1-line block ×4, first 2 shown]
	v_pk_fma_f16 v27, v17, v13, v11
	s_wait_dscnt 0x0
	v_pk_fma_f16 v28, v6, v10, v15
	v_pk_fma_f16 v29, v7, v10, v16
	ds_load_b128 v[10:13], v102 offset:736
	v_pk_fma_f16 v23, v6, v18, v23
	v_pk_fma_f16 v24, v6, v26, v24
	;; [unrolled: 1-line block ×3, first 2 shown]
	v_and_b32_e32 v14, 0xffff, v20
	v_dual_lshrrev_b32 v15, 16, v20 :: v_dual_lshrrev_b32 v20, 16, v21
	v_and_b32_e32 v16, 0xffff, v21
	v_pk_fma_f16 v18, v7, v18, v25
	v_pk_fma_f16 v22, v7, v26, v22
	v_mul_u32_u24_e32 v21, 0x10001, v14
	v_mul_u32_u24_e32 v25, 0x10001, v15
	v_mul_u32_u24_e32 v26, 0x10001, v16
	ds_load_2addr_b64 v[14:17], v113 offset0:128 offset1:160
	v_mul_u32_u24_e32 v30, 0x10001, v20
	v_pk_fma_f16 v7, v7, v19, v27
	v_pk_fma_f16 v27, v8, v21, v28
	;; [unrolled: 1-line block ×7, first 2 shown]
	ds_load_b128 v[18:21], v102 offset:752
	s_wait_dscnt 0x2
	v_and_b32_e32 v28, 0xffff, v10
	v_lshrrev_b32_e32 v10, 16, v10
	v_and_b32_e32 v29, 0xffff, v11
	v_lshrrev_b32_e32 v11, 16, v11
	v_pk_fma_f16 v22, v9, v26, v22
	v_mul_u32_u24_e32 v26, 0x10001, v28
	v_mul_u32_u24_e32 v10, 0x10001, v10
	;; [unrolled: 1-line block ×4, first 2 shown]
	v_pk_fma_f16 v29, v9, v30, v7
	s_wait_dscnt 0x1
	v_pk_fma_f16 v27, v14, v26, v27
	v_pk_fma_f16 v23, v14, v10, v23
	v_pk_fma_f16 v24, v14, v28, v24
	v_pk_fma_f16 v14, v14, v11, v6
	v_and_b32_e32 v6, 0xffff, v12
	v_lshrrev_b32_e32 v7, 16, v12
	v_pk_fma_f16 v26, v15, v26, v8
	v_pk_fma_f16 v10, v15, v10, v25
	;; [unrolled: 1-line block ×3, first 2 shown]
	v_and_b32_e32 v22, 0xffff, v13
	v_lshrrev_b32_e32 v13, 16, v13
	v_mul_u32_u24_e32 v25, 0x10001, v6
	v_mul_u32_u24_e32 v28, 0x10001, v7
	ds_load_2addr_b64 v[6:9], v113 offset0:192 offset1:224
	v_mul_u32_u24_e32 v22, 0x10001, v22
	v_mul_u32_u24_e32 v13, 0x10001, v13
	v_pk_fma_f16 v11, v15, v11, v29
	v_pk_fma_f16 v15, v16, v25, v27
	;; [unrolled: 1-line block ×7, first 2 shown]
	s_wait_dscnt 0x1
	v_and_b32_e32 v10, 0xffff, v18
	v_lshrrev_b32_e32 v18, 16, v18
	v_and_b32_e32 v26, 0xffff, v19
	v_lshrrev_b32_e32 v19, 16, v19
	v_pk_fma_f16 v22, v17, v22, v12
	v_mul_u32_u24_e32 v10, 0x10001, v10
	v_mul_u32_u24_e32 v18, 0x10001, v18
	;; [unrolled: 1-line block ×4, first 2 shown]
	v_pk_fma_f16 v27, v17, v13, v11
	s_wait_dscnt 0x0
	v_pk_fma_f16 v28, v6, v10, v15
	v_pk_fma_f16 v29, v7, v10, v16
	ds_load_b128 v[10:13], v102 offset:768
	v_pk_fma_f16 v23, v6, v18, v23
	v_pk_fma_f16 v24, v6, v26, v24
	;; [unrolled: 1-line block ×3, first 2 shown]
	v_and_b32_e32 v14, 0xffff, v20
	v_dual_lshrrev_b32 v15, 16, v20 :: v_dual_lshrrev_b32 v20, 16, v21
	v_and_b32_e32 v16, 0xffff, v21
	v_pk_fma_f16 v18, v7, v18, v25
	v_pk_fma_f16 v22, v7, v26, v22
	v_mul_u32_u24_e32 v21, 0x10001, v14
	v_mul_u32_u24_e32 v25, 0x10001, v15
	;; [unrolled: 1-line block ×3, first 2 shown]
	ds_load_2addr_b64 v[14:17], v114 offset1:32
	v_mul_u32_u24_e32 v30, 0x10001, v20
	v_pk_fma_f16 v7, v7, v19, v27
	v_pk_fma_f16 v27, v8, v21, v28
	;; [unrolled: 1-line block ×7, first 2 shown]
	ds_load_b128 v[18:21], v102 offset:784
	s_wait_dscnt 0x2
	v_and_b32_e32 v28, 0xffff, v10
	v_lshrrev_b32_e32 v10, 16, v10
	v_and_b32_e32 v29, 0xffff, v11
	v_lshrrev_b32_e32 v11, 16, v11
	v_pk_fma_f16 v22, v9, v26, v22
	v_mul_u32_u24_e32 v26, 0x10001, v28
	v_mul_u32_u24_e32 v10, 0x10001, v10
	;; [unrolled: 1-line block ×4, first 2 shown]
	v_pk_fma_f16 v29, v9, v30, v7
	s_wait_dscnt 0x1
	v_pk_fma_f16 v27, v14, v26, v27
	v_pk_fma_f16 v23, v14, v10, v23
	;; [unrolled: 1-line block ×4, first 2 shown]
	v_and_b32_e32 v6, 0xffff, v12
	v_lshrrev_b32_e32 v7, 16, v12
	v_pk_fma_f16 v26, v15, v26, v8
	v_pk_fma_f16 v10, v15, v10, v25
	v_pk_fma_f16 v12, v15, v28, v22
	v_and_b32_e32 v22, 0xffff, v13
	v_lshrrev_b32_e32 v13, 16, v13
	v_mul_u32_u24_e32 v25, 0x10001, v6
	v_mul_u32_u24_e32 v28, 0x10001, v7
	ds_load_2addr_b64 v[6:9], v114 offset0:64 offset1:96
	v_mul_u32_u24_e32 v22, 0x10001, v22
	v_mul_u32_u24_e32 v13, 0x10001, v13
	v_pk_fma_f16 v11, v15, v11, v29
	v_pk_fma_f16 v15, v16, v25, v27
	v_pk_fma_f16 v23, v16, v28, v23
	v_pk_fma_f16 v24, v16, v22, v24
	v_pk_fma_f16 v14, v16, v13, v14
	v_pk_fma_f16 v16, v17, v25, v26
	v_pk_fma_f16 v25, v17, v28, v10
	s_wait_dscnt 0x1
	v_and_b32_e32 v10, 0xffff, v18
	v_lshrrev_b32_e32 v18, 16, v18
	v_and_b32_e32 v26, 0xffff, v19
	v_lshrrev_b32_e32 v19, 16, v19
	v_pk_fma_f16 v22, v17, v22, v12
	v_mul_u32_u24_e32 v10, 0x10001, v10
	v_mul_u32_u24_e32 v18, 0x10001, v18
	;; [unrolled: 1-line block ×4, first 2 shown]
	v_pk_fma_f16 v27, v17, v13, v11
	s_wait_dscnt 0x0
	v_pk_fma_f16 v28, v6, v10, v15
	v_pk_fma_f16 v29, v7, v10, v16
	ds_load_b128 v[10:13], v102 offset:800
	v_pk_fma_f16 v23, v6, v18, v23
	v_pk_fma_f16 v24, v6, v26, v24
	;; [unrolled: 1-line block ×3, first 2 shown]
	v_and_b32_e32 v14, 0xffff, v20
	v_dual_lshrrev_b32 v15, 16, v20 :: v_dual_lshrrev_b32 v20, 16, v21
	v_and_b32_e32 v16, 0xffff, v21
	v_pk_fma_f16 v18, v7, v18, v25
	v_pk_fma_f16 v22, v7, v26, v22
	v_mul_u32_u24_e32 v21, 0x10001, v14
	v_mul_u32_u24_e32 v25, 0x10001, v15
	;; [unrolled: 1-line block ×3, first 2 shown]
	ds_load_2addr_b64 v[14:17], v114 offset0:128 offset1:160
	v_mul_u32_u24_e32 v30, 0x10001, v20
	v_pk_fma_f16 v7, v7, v19, v27
	v_pk_fma_f16 v27, v8, v21, v28
	;; [unrolled: 1-line block ×7, first 2 shown]
	ds_load_b128 v[18:21], v102 offset:816
	s_wait_dscnt 0x2
	v_and_b32_e32 v28, 0xffff, v10
	v_lshrrev_b32_e32 v10, 16, v10
	v_and_b32_e32 v29, 0xffff, v11
	v_lshrrev_b32_e32 v11, 16, v11
	v_pk_fma_f16 v22, v9, v26, v22
	v_mul_u32_u24_e32 v26, 0x10001, v28
	v_mul_u32_u24_e32 v10, 0x10001, v10
	v_mul_u32_u24_e32 v28, 0x10001, v29
	v_mul_u32_u24_e32 v11, 0x10001, v11
	v_pk_fma_f16 v29, v9, v30, v7
	s_wait_dscnt 0x1
	v_pk_fma_f16 v27, v14, v26, v27
	v_pk_fma_f16 v23, v14, v10, v23
	;; [unrolled: 1-line block ×4, first 2 shown]
	v_and_b32_e32 v6, 0xffff, v12
	v_lshrrev_b32_e32 v7, 16, v12
	v_pk_fma_f16 v26, v15, v26, v8
	v_pk_fma_f16 v10, v15, v10, v25
	;; [unrolled: 1-line block ×3, first 2 shown]
	v_and_b32_e32 v22, 0xffff, v13
	v_lshrrev_b32_e32 v13, 16, v13
	v_mul_u32_u24_e32 v25, 0x10001, v6
	v_mul_u32_u24_e32 v28, 0x10001, v7
	ds_load_2addr_b64 v[6:9], v114 offset0:192 offset1:224
	v_mul_u32_u24_e32 v22, 0x10001, v22
	v_mul_u32_u24_e32 v13, 0x10001, v13
	v_pk_fma_f16 v11, v15, v11, v29
	v_pk_fma_f16 v15, v16, v25, v27
	;; [unrolled: 1-line block ×7, first 2 shown]
	s_wait_dscnt 0x1
	v_and_b32_e32 v10, 0xffff, v18
	v_lshrrev_b32_e32 v18, 16, v18
	v_and_b32_e32 v26, 0xffff, v19
	v_lshrrev_b32_e32 v19, 16, v19
	v_pk_fma_f16 v22, v17, v22, v12
	v_mul_u32_u24_e32 v10, 0x10001, v10
	v_mul_u32_u24_e32 v18, 0x10001, v18
	;; [unrolled: 1-line block ×4, first 2 shown]
	v_pk_fma_f16 v27, v17, v13, v11
	s_wait_dscnt 0x0
	v_pk_fma_f16 v28, v6, v10, v15
	v_pk_fma_f16 v29, v7, v10, v16
	ds_load_b128 v[10:13], v102 offset:832
	v_pk_fma_f16 v23, v6, v18, v23
	v_pk_fma_f16 v24, v6, v26, v24
	;; [unrolled: 1-line block ×3, first 2 shown]
	v_and_b32_e32 v14, 0xffff, v20
	v_dual_lshrrev_b32 v15, 16, v20 :: v_dual_lshrrev_b32 v20, 16, v21
	v_and_b32_e32 v16, 0xffff, v21
	v_pk_fma_f16 v18, v7, v18, v25
	v_pk_fma_f16 v22, v7, v26, v22
	v_mul_u32_u24_e32 v21, 0x10001, v14
	v_mul_u32_u24_e32 v25, 0x10001, v15
	;; [unrolled: 1-line block ×3, first 2 shown]
	ds_load_2addr_b64 v[14:17], v115 offset1:32
	v_mul_u32_u24_e32 v30, 0x10001, v20
	v_pk_fma_f16 v7, v7, v19, v27
	v_pk_fma_f16 v27, v8, v21, v28
	v_pk_fma_f16 v23, v8, v25, v23
	v_pk_fma_f16 v24, v8, v26, v24
	v_pk_fma_f16 v6, v8, v30, v6
	v_pk_fma_f16 v8, v9, v21, v29
	v_pk_fma_f16 v25, v9, v25, v18
	ds_load_b128 v[18:21], v102 offset:848
	s_wait_dscnt 0x2
	v_and_b32_e32 v28, 0xffff, v10
	v_lshrrev_b32_e32 v10, 16, v10
	v_and_b32_e32 v29, 0xffff, v11
	v_lshrrev_b32_e32 v11, 16, v11
	v_pk_fma_f16 v22, v9, v26, v22
	v_mul_u32_u24_e32 v26, 0x10001, v28
	v_mul_u32_u24_e32 v10, 0x10001, v10
	;; [unrolled: 1-line block ×4, first 2 shown]
	v_pk_fma_f16 v29, v9, v30, v7
	s_wait_dscnt 0x1
	v_pk_fma_f16 v27, v14, v26, v27
	v_pk_fma_f16 v23, v14, v10, v23
	;; [unrolled: 1-line block ×4, first 2 shown]
	v_and_b32_e32 v6, 0xffff, v12
	v_lshrrev_b32_e32 v7, 16, v12
	v_pk_fma_f16 v26, v15, v26, v8
	v_pk_fma_f16 v10, v15, v10, v25
	;; [unrolled: 1-line block ×3, first 2 shown]
	v_and_b32_e32 v22, 0xffff, v13
	v_lshrrev_b32_e32 v13, 16, v13
	v_mul_u32_u24_e32 v25, 0x10001, v6
	v_mul_u32_u24_e32 v28, 0x10001, v7
	ds_load_2addr_b64 v[6:9], v115 offset0:64 offset1:96
	v_mul_u32_u24_e32 v22, 0x10001, v22
	v_mul_u32_u24_e32 v13, 0x10001, v13
	v_pk_fma_f16 v11, v15, v11, v29
	v_pk_fma_f16 v15, v16, v25, v27
	;; [unrolled: 1-line block ×7, first 2 shown]
	s_wait_dscnt 0x1
	v_and_b32_e32 v10, 0xffff, v18
	v_lshrrev_b32_e32 v18, 16, v18
	v_and_b32_e32 v26, 0xffff, v19
	v_lshrrev_b32_e32 v19, 16, v19
	v_pk_fma_f16 v22, v17, v22, v12
	v_mul_u32_u24_e32 v10, 0x10001, v10
	v_mul_u32_u24_e32 v18, 0x10001, v18
	;; [unrolled: 1-line block ×4, first 2 shown]
	v_pk_fma_f16 v27, v17, v13, v11
	s_wait_dscnt 0x0
	v_pk_fma_f16 v28, v6, v10, v15
	v_pk_fma_f16 v29, v7, v10, v16
	ds_load_b128 v[10:13], v102 offset:864
	v_pk_fma_f16 v23, v6, v18, v23
	v_pk_fma_f16 v24, v6, v26, v24
	v_pk_fma_f16 v6, v6, v19, v14
	v_and_b32_e32 v14, 0xffff, v20
	v_dual_lshrrev_b32 v15, 16, v20 :: v_dual_lshrrev_b32 v20, 16, v21
	v_and_b32_e32 v16, 0xffff, v21
	v_pk_fma_f16 v18, v7, v18, v25
	v_pk_fma_f16 v22, v7, v26, v22
	v_mul_u32_u24_e32 v21, 0x10001, v14
	v_mul_u32_u24_e32 v25, 0x10001, v15
	v_mul_u32_u24_e32 v26, 0x10001, v16
	ds_load_2addr_b64 v[14:17], v115 offset0:128 offset1:160
	v_mul_u32_u24_e32 v30, 0x10001, v20
	v_pk_fma_f16 v7, v7, v19, v27
	v_pk_fma_f16 v27, v8, v21, v28
	;; [unrolled: 1-line block ×7, first 2 shown]
	ds_load_b128 v[18:21], v102 offset:880
	s_wait_dscnt 0x2
	v_and_b32_e32 v28, 0xffff, v10
	v_lshrrev_b32_e32 v10, 16, v10
	v_and_b32_e32 v29, 0xffff, v11
	v_lshrrev_b32_e32 v11, 16, v11
	v_pk_fma_f16 v22, v9, v26, v22
	v_mul_u32_u24_e32 v26, 0x10001, v28
	v_mul_u32_u24_e32 v10, 0x10001, v10
	;; [unrolled: 1-line block ×4, first 2 shown]
	v_pk_fma_f16 v29, v9, v30, v7
	s_wait_dscnt 0x1
	v_pk_fma_f16 v27, v14, v26, v27
	v_pk_fma_f16 v23, v14, v10, v23
	;; [unrolled: 1-line block ×4, first 2 shown]
	v_and_b32_e32 v6, 0xffff, v12
	v_lshrrev_b32_e32 v7, 16, v12
	v_pk_fma_f16 v26, v15, v26, v8
	v_pk_fma_f16 v10, v15, v10, v25
	;; [unrolled: 1-line block ×3, first 2 shown]
	v_and_b32_e32 v22, 0xffff, v13
	v_lshrrev_b32_e32 v13, 16, v13
	v_mul_u32_u24_e32 v25, 0x10001, v6
	v_mul_u32_u24_e32 v28, 0x10001, v7
	ds_load_2addr_b64 v[6:9], v115 offset0:192 offset1:224
	v_mul_u32_u24_e32 v22, 0x10001, v22
	v_mul_u32_u24_e32 v13, 0x10001, v13
	v_pk_fma_f16 v11, v15, v11, v29
	v_pk_fma_f16 v15, v16, v25, v27
	;; [unrolled: 1-line block ×7, first 2 shown]
	s_wait_dscnt 0x1
	v_and_b32_e32 v10, 0xffff, v18
	v_lshrrev_b32_e32 v18, 16, v18
	v_and_b32_e32 v26, 0xffff, v19
	v_lshrrev_b32_e32 v19, 16, v19
	v_pk_fma_f16 v22, v17, v22, v12
	v_mul_u32_u24_e32 v10, 0x10001, v10
	v_mul_u32_u24_e32 v18, 0x10001, v18
	;; [unrolled: 1-line block ×4, first 2 shown]
	v_pk_fma_f16 v27, v17, v13, v11
	s_wait_dscnt 0x0
	v_pk_fma_f16 v28, v6, v10, v15
	v_pk_fma_f16 v29, v7, v10, v16
	ds_load_b128 v[10:13], v102 offset:896
	v_pk_fma_f16 v23, v6, v18, v23
	v_pk_fma_f16 v24, v6, v26, v24
	;; [unrolled: 1-line block ×3, first 2 shown]
	v_and_b32_e32 v14, 0xffff, v20
	v_dual_lshrrev_b32 v15, 16, v20 :: v_dual_lshrrev_b32 v20, 16, v21
	v_and_b32_e32 v16, 0xffff, v21
	v_pk_fma_f16 v18, v7, v18, v25
	v_pk_fma_f16 v22, v7, v26, v22
	v_mul_u32_u24_e32 v21, 0x10001, v14
	v_mul_u32_u24_e32 v25, 0x10001, v15
	;; [unrolled: 1-line block ×3, first 2 shown]
	ds_load_2addr_b64 v[14:17], v5 offset1:32
	v_mul_u32_u24_e32 v30, 0x10001, v20
	v_pk_fma_f16 v7, v7, v19, v27
	v_pk_fma_f16 v27, v8, v21, v28
	;; [unrolled: 1-line block ×7, first 2 shown]
	ds_load_b128 v[18:21], v102 offset:912
	s_wait_dscnt 0x2
	v_and_b32_e32 v28, 0xffff, v10
	v_lshrrev_b32_e32 v10, 16, v10
	v_and_b32_e32 v29, 0xffff, v11
	v_lshrrev_b32_e32 v11, 16, v11
	v_pk_fma_f16 v22, v9, v26, v22
	v_mul_u32_u24_e32 v26, 0x10001, v28
	v_mul_u32_u24_e32 v10, 0x10001, v10
	;; [unrolled: 1-line block ×4, first 2 shown]
	v_pk_fma_f16 v29, v9, v30, v7
	s_wait_dscnt 0x1
	v_pk_fma_f16 v27, v14, v26, v27
	v_pk_fma_f16 v23, v14, v10, v23
	;; [unrolled: 1-line block ×4, first 2 shown]
	v_and_b32_e32 v6, 0xffff, v12
	v_lshrrev_b32_e32 v7, 16, v12
	v_pk_fma_f16 v26, v15, v26, v8
	v_pk_fma_f16 v10, v15, v10, v25
	;; [unrolled: 1-line block ×3, first 2 shown]
	v_and_b32_e32 v22, 0xffff, v13
	v_lshrrev_b32_e32 v13, 16, v13
	v_mul_u32_u24_e32 v25, 0x10001, v6
	v_mul_u32_u24_e32 v28, 0x10001, v7
	ds_load_2addr_b64 v[6:9], v5 offset0:64 offset1:96
	v_mul_u32_u24_e32 v22, 0x10001, v22
	v_mul_u32_u24_e32 v13, 0x10001, v13
	v_pk_fma_f16 v11, v15, v11, v29
	v_pk_fma_f16 v15, v16, v25, v27
	;; [unrolled: 1-line block ×7, first 2 shown]
	s_wait_dscnt 0x1
	v_and_b32_e32 v10, 0xffff, v18
	v_lshrrev_b32_e32 v18, 16, v18
	v_and_b32_e32 v26, 0xffff, v19
	v_lshrrev_b32_e32 v19, 16, v19
	v_pk_fma_f16 v22, v17, v22, v12
	v_mul_u32_u24_e32 v10, 0x10001, v10
	v_mul_u32_u24_e32 v18, 0x10001, v18
	;; [unrolled: 1-line block ×4, first 2 shown]
	v_pk_fma_f16 v27, v17, v13, v11
	s_wait_dscnt 0x0
	v_pk_fma_f16 v28, v6, v10, v15
	v_pk_fma_f16 v29, v7, v10, v16
	ds_load_b128 v[10:13], v102 offset:928
	v_pk_fma_f16 v23, v6, v18, v23
	v_pk_fma_f16 v24, v6, v26, v24
	;; [unrolled: 1-line block ×3, first 2 shown]
	v_and_b32_e32 v14, 0xffff, v20
	v_dual_lshrrev_b32 v15, 16, v20 :: v_dual_lshrrev_b32 v20, 16, v21
	v_and_b32_e32 v16, 0xffff, v21
	v_pk_fma_f16 v18, v7, v18, v25
	v_pk_fma_f16 v22, v7, v26, v22
	v_mul_u32_u24_e32 v21, 0x10001, v14
	v_mul_u32_u24_e32 v25, 0x10001, v15
	v_mul_u32_u24_e32 v26, 0x10001, v16
	ds_load_2addr_b64 v[14:17], v5 offset0:128 offset1:160
	v_mul_u32_u24_e32 v30, 0x10001, v20
	v_pk_fma_f16 v7, v7, v19, v27
	v_pk_fma_f16 v27, v8, v21, v28
	;; [unrolled: 1-line block ×7, first 2 shown]
	ds_load_b128 v[18:21], v102 offset:944
	s_wait_dscnt 0x2
	v_and_b32_e32 v28, 0xffff, v10
	v_lshrrev_b32_e32 v10, 16, v10
	v_and_b32_e32 v29, 0xffff, v11
	v_lshrrev_b32_e32 v11, 16, v11
	v_pk_fma_f16 v22, v9, v26, v22
	v_mul_u32_u24_e32 v26, 0x10001, v28
	v_mul_u32_u24_e32 v10, 0x10001, v10
	v_mul_u32_u24_e32 v28, 0x10001, v29
	v_mul_u32_u24_e32 v11, 0x10001, v11
	v_pk_fma_f16 v29, v9, v30, v7
	s_wait_dscnt 0x1
	v_pk_fma_f16 v27, v14, v26, v27
	v_pk_fma_f16 v23, v14, v10, v23
	;; [unrolled: 1-line block ×4, first 2 shown]
	v_and_b32_e32 v6, 0xffff, v12
	v_lshrrev_b32_e32 v7, 16, v12
	v_pk_fma_f16 v26, v15, v26, v8
	v_pk_fma_f16 v10, v15, v10, v25
	;; [unrolled: 1-line block ×3, first 2 shown]
	v_and_b32_e32 v22, 0xffff, v13
	v_lshrrev_b32_e32 v13, 16, v13
	v_mul_u32_u24_e32 v25, 0x10001, v6
	v_mul_u32_u24_e32 v28, 0x10001, v7
	ds_load_2addr_b64 v[6:9], v5 offset0:192 offset1:224
	v_mul_u32_u24_e32 v5, 0x10001, v22
	v_mul_u32_u24_e32 v13, 0x10001, v13
	v_pk_fma_f16 v11, v15, v11, v29
	v_pk_fma_f16 v22, v16, v28, v23
	;; [unrolled: 1-line block ×5, first 2 shown]
	s_wait_dscnt 0x1
	v_and_b32_e32 v10, 0xffff, v18
	v_pk_fma_f16 v14, v16, v13, v14
	v_pk_fma_f16 v16, v17, v25, v26
	v_lshrrev_b32_e32 v18, 16, v18
	v_and_b32_e32 v25, 0xffff, v19
	v_lshrrev_b32_e32 v19, 16, v19
	v_mul_u32_u24_e32 v10, 0x10001, v10
	v_pk_fma_f16 v5, v17, v5, v12
	v_mul_u32_u24_e32 v18, 0x10001, v18
	v_mul_u32_u24_e32 v25, 0x10001, v25
	;; [unrolled: 1-line block ×3, first 2 shown]
	v_pk_fma_f16 v26, v17, v13, v11
	s_wait_dscnt 0x0
	v_pk_fma_f16 v27, v6, v10, v15
	v_pk_fma_f16 v28, v7, v10, v16
	ds_load_b128 v[10:13], v102 offset:960
	v_pk_fma_f16 v22, v6, v18, v22
	v_pk_fma_f16 v23, v6, v25, v23
	;; [unrolled: 1-line block ×3, first 2 shown]
	v_and_b32_e32 v14, 0xffff, v20
	v_dual_lshrrev_b32 v15, 16, v20 :: v_dual_lshrrev_b32 v20, 16, v21
	v_and_b32_e32 v16, 0xffff, v21
	v_pk_fma_f16 v18, v7, v18, v24
	v_pk_fma_f16 v5, v7, v25, v5
	v_mul_u32_u24_e32 v21, 0x10001, v14
	v_mul_u32_u24_e32 v24, 0x10001, v15
	;; [unrolled: 1-line block ×3, first 2 shown]
	ds_load_2addr_b64 v[14:17], v4 offset1:32
	v_mul_u32_u24_e32 v29, 0x10001, v20
	v_pk_fma_f16 v7, v7, v19, v26
	v_pk_fma_f16 v26, v8, v21, v27
	;; [unrolled: 1-line block ×7, first 2 shown]
	ds_load_b128 v[18:21], v102 offset:976
	s_wait_dscnt 0x2
	v_and_b32_e32 v27, 0xffff, v10
	v_lshrrev_b32_e32 v10, 16, v10
	v_and_b32_e32 v28, 0xffff, v11
	v_lshrrev_b32_e32 v11, 16, v11
	v_pk_fma_f16 v5, v9, v25, v5
	v_mul_u32_u24_e32 v25, 0x10001, v27
	v_mul_u32_u24_e32 v10, 0x10001, v10
	;; [unrolled: 1-line block ×4, first 2 shown]
	v_pk_fma_f16 v28, v9, v29, v7
	s_wait_dscnt 0x1
	v_pk_fma_f16 v26, v14, v25, v26
	v_pk_fma_f16 v22, v14, v10, v22
	;; [unrolled: 1-line block ×4, first 2 shown]
	v_and_b32_e32 v6, 0xffff, v12
	v_lshrrev_b32_e32 v7, 16, v12
	v_pk_fma_f16 v25, v15, v25, v8
	v_pk_fma_f16 v10, v15, v10, v24
	;; [unrolled: 1-line block ×3, first 2 shown]
	v_and_b32_e32 v12, 0xffff, v13
	v_lshrrev_b32_e32 v13, 16, v13
	v_mul_u32_u24_e32 v24, 0x10001, v6
	v_mul_u32_u24_e32 v27, 0x10001, v7
	ds_load_2addr_b64 v[6:9], v4 offset0:64 offset1:96
	v_mul_u32_u24_e32 v12, 0x10001, v12
	v_mul_u32_u24_e32 v13, 0x10001, v13
	v_pk_fma_f16 v11, v15, v11, v28
	v_pk_fma_f16 v15, v16, v24, v26
	v_pk_fma_f16 v22, v16, v27, v22
	v_pk_fma_f16 v23, v16, v12, v23
	v_pk_fma_f16 v14, v16, v13, v14
	v_pk_fma_f16 v16, v17, v24, v25
	v_pk_fma_f16 v24, v17, v27, v10
	s_wait_dscnt 0x1
	v_and_b32_e32 v10, 0xffff, v18
	v_lshrrev_b32_e32 v18, 16, v18
	v_and_b32_e32 v25, 0xffff, v19
	v_lshrrev_b32_e32 v19, 16, v19
	v_pk_fma_f16 v5, v17, v12, v5
	v_mul_u32_u24_e32 v10, 0x10001, v10
	v_mul_u32_u24_e32 v18, 0x10001, v18
	;; [unrolled: 1-line block ×4, first 2 shown]
	v_pk_fma_f16 v26, v17, v13, v11
	s_wait_dscnt 0x0
	v_pk_fma_f16 v27, v6, v10, v15
	v_pk_fma_f16 v28, v7, v10, v16
	ds_load_b128 v[10:13], v102 offset:992
	v_pk_fma_f16 v22, v6, v18, v22
	v_pk_fma_f16 v23, v6, v25, v23
	;; [unrolled: 1-line block ×3, first 2 shown]
	v_and_b32_e32 v14, 0xffff, v20
	v_dual_lshrrev_b32 v15, 16, v20 :: v_dual_lshrrev_b32 v20, 16, v21
	v_and_b32_e32 v16, 0xffff, v21
	v_pk_fma_f16 v18, v7, v18, v24
	v_pk_fma_f16 v5, v7, v25, v5
	v_mul_u32_u24_e32 v21, 0x10001, v14
	v_mul_u32_u24_e32 v24, 0x10001, v15
	;; [unrolled: 1-line block ×3, first 2 shown]
	ds_load_2addr_b64 v[14:17], v4 offset0:128 offset1:160
	v_mul_u32_u24_e32 v29, 0x10001, v20
	v_pk_fma_f16 v7, v7, v19, v26
	v_pk_fma_f16 v26, v8, v21, v27
	;; [unrolled: 1-line block ×7, first 2 shown]
	ds_load_b128 v[18:21], v102 offset:1008
	s_wait_dscnt 0x2
	v_and_b32_e32 v27, 0xffff, v10
	v_lshrrev_b32_e32 v10, 16, v10
	v_and_b32_e32 v28, 0xffff, v11
	v_lshrrev_b32_e32 v11, 16, v11
	v_pk_fma_f16 v5, v9, v25, v5
	v_mul_u32_u24_e32 v25, 0x10001, v27
	v_mul_u32_u24_e32 v10, 0x10001, v10
	;; [unrolled: 1-line block ×4, first 2 shown]
	v_pk_fma_f16 v9, v9, v29, v7
	s_wait_dscnt 0x1
	v_pk_fma_f16 v26, v14, v25, v26
	v_pk_fma_f16 v22, v14, v10, v22
	;; [unrolled: 1-line block ×4, first 2 shown]
	v_and_b32_e32 v6, 0xffff, v12
	v_lshrrev_b32_e32 v7, 16, v12
	v_pk_fma_f16 v8, v15, v25, v8
	v_pk_fma_f16 v10, v15, v10, v24
	;; [unrolled: 1-line block ×3, first 2 shown]
	v_and_b32_e32 v24, 0xffff, v13
	v_lshrrev_b32_e32 v13, 16, v13
	v_mul_u32_u24_e32 v25, 0x10001, v6
	v_mul_u32_u24_e32 v27, 0x10001, v7
	ds_load_2addr_b64 v[4:7], v4 offset0:192 offset1:224
	v_mul_u32_u24_e32 v24, 0x10001, v24
	v_mul_u32_u24_e32 v13, 0x10001, v13
	s_wait_dscnt 0x0
	s_barrier_signal -1
	s_barrier_wait -1
	s_load_b32 s5, s[20:21], 0x4
	v_pk_fma_f16 v9, v15, v11, v9
	v_pk_fma_f16 v11, v16, v25, v26
	;; [unrolled: 1-line block ×5, first 2 shown]
	v_and_b32_e32 v16, 0xffff, v18
	v_lshrrev_b32_e32 v18, 16, v18
	v_and_b32_e32 v23, 0xffff, v19
	v_lshrrev_b32_e32 v19, 16, v19
	v_pk_fma_f16 v8, v17, v25, v8
	v_pk_fma_f16 v10, v17, v27, v10
	v_mul_u32_u24_e32 v16, 0x10001, v16
	v_mul_u32_u24_e32 v18, 0x10001, v18
	;; [unrolled: 1-line block ×4, first 2 shown]
	v_pk_fma_f16 v12, v17, v24, v12
	v_pk_fma_f16 v9, v17, v13, v9
	;; [unrolled: 1-line block ×8, first 2 shown]
	v_and_b32_e32 v14, 0xffff, v20
	v_dual_lshrrev_b32 v16, 16, v20 :: v_dual_lshrrev_b32 v18, 16, v21
	v_and_b32_e32 v17, 0xffff, v21
	v_pk_fma_f16 v12, v5, v23, v12
	s_delay_alu instid0(VALU_DEP_4) | instskip(NEXT) | instid1(VALU_DEP_4)
	v_mul_u32_u24_e32 v14, 0x10001, v14
	v_mul_u32_u24_e32 v16, 0x10001, v16
	v_mul_u32_u24_e32 v18, 0x10001, v18
	v_mul_u32_u24_e32 v17, 0x10001, v17
	v_pk_fma_f16 v5, v5, v19, v9
	s_wait_kmcnt 0x0
	s_lshl_b32 s5, s5, 7
	v_pk_fma_f16 v38, v6, v14, v11
	v_pk_fma_f16 v36, v6, v16, v13
	;; [unrolled: 1-line block ×8, first 2 shown]
	s_add_co_i32 s4, s5, s4
	s_delay_alu instid0(SALU_CYCLE_1)
	s_cmp_ge_i32 s4, s30
	s_cbranch_scc1 .LBB76_75
; %bb.74:                               ;   in Loop: Header=BB76_9 Depth=1
	v_dual_mov_b32 v42, v0 :: v_dual_mov_b32 v43, v1
	v_dual_mov_b32 v41, v2 :: v_dual_mov_b32 v40, v3
	s_branch .LBB76_9
.LBB76_75:
	v_mov_b32_e32 v4, v93
.LBB76_76:
	v_cmp_lt_i32_e32 vcc_lo, v110, v94
	s_cmp_lg_u64 s[12:13], 0
	s_cselect_b32 s3, -1, 0
	s_cmp_eq_u32 s31, 0
	v_cndmask_b32_e32 v5, v4, v110, vcc_lo
	v_cmp_lt_i32_e32 vcc_lo, v109, v94
	s_cselect_b32 s4, -1, 0
	s_delay_alu instid0(SALU_CYCLE_1) | instskip(NEXT) | instid1(VALU_DEP_2)
	s_and_b32 s3, s4, s3
	v_lshlrev_b32_e32 v5, 2, v5
	ds_bpermute_b32 v6, v5, v66
	ds_bpermute_b32 v7, v5, v67
	;; [unrolled: 1-line block ×4, first 2 shown]
	v_cndmask_b32_e32 v5, v4, v109, vcc_lo
	v_cmp_lt_i32_e32 vcc_lo, v108, v94
	s_delay_alu instid0(VALU_DEP_2)
	v_lshlrev_b32_e32 v5, 2, v5
	s_wait_dscnt 0x2
	v_pk_add_f32 v[6:7], v[66:67], v[6:7]
	s_wait_dscnt 0x0
	v_pk_add_f32 v[8:9], v[64:65], v[8:9]
	ds_bpermute_b32 v10, v5, v6
	ds_bpermute_b32 v11, v5, v7
	;; [unrolled: 1-line block ×4, first 2 shown]
	v_cndmask_b32_e32 v5, v4, v108, vcc_lo
	v_cmp_lt_i32_e32 vcc_lo, v107, v94
	s_delay_alu instid0(VALU_DEP_2)
	v_lshlrev_b32_e32 v5, 2, v5
	s_wait_dscnt 0x2
	v_pk_add_f32 v[6:7], v[6:7], v[10:11]
	s_wait_dscnt 0x0
	v_pk_add_f32 v[8:9], v[8:9], v[12:13]
	ds_bpermute_b32 v10, v5, v6
	ds_bpermute_b32 v11, v5, v7
	;; [unrolled: 1-line block ×4, first 2 shown]
	v_cndmask_b32_e32 v5, v4, v107, vcc_lo
	v_cmp_lt_i32_e32 vcc_lo, v106, v94
	s_delay_alu instid0(VALU_DEP_2) | instskip(SKIP_1) | instid1(VALU_DEP_1)
	v_dual_cndmask_b32 v4, v4, v106 :: v_dual_lshlrev_b32 v5, 2, v5
	s_and_b32 vcc_lo, exec_lo, s3
	v_lshlrev_b32_e32 v14, 2, v4
	s_wait_dscnt 0x2
	v_pk_add_f32 v[6:7], v[6:7], v[10:11]
	s_wait_dscnt 0x0
	v_pk_add_f32 v[8:9], v[8:9], v[12:13]
	ds_bpermute_b32 v10, v5, v6
	ds_bpermute_b32 v11, v5, v7
	;; [unrolled: 1-line block ×4, first 2 shown]
	s_wait_dscnt 0x2
	v_pk_add_f32 v[4:5], v[6:7], v[10:11]
	s_wait_dscnt 0x0
	v_pk_add_f32 v[8:9], v[8:9], v[12:13]
	ds_bpermute_b32 v6, v14, v4
	ds_bpermute_b32 v7, v14, v5
	;; [unrolled: 1-line block ×4, first 2 shown]
	s_wait_dscnt 0x2
	v_pk_add_f32 v[6:7], v[4:5], v[6:7]
	s_wait_dscnt 0x0
	v_pk_add_f32 v[4:5], v[8:9], v[10:11]
	s_cbranch_vccz .LBB76_78
; %bb.77:
	s_ashr_i32 s29, s28, 31
	v_dual_mov_b32 v8, 0 :: v_dual_max_num_f32 v12, v0, v0
	s_lshl_b64 s[4:5], s[28:29], 2
	v_dual_max_num_f32 v13, v1, v1 :: v_dual_max_num_f32 v14, v2, v2
	s_add_nc_u64 s[4:5], s[12:13], s[4:5]
	v_max_num_f32_e32 v16, v3, v3
	global_load_b128 v[8:11], v8, s[4:5]
	s_wait_loadcnt 0x0
	v_dual_max_num_f32 v15, v8, v8 :: v_dual_max_num_f32 v17, v9, v9
	v_dual_max_num_f32 v18, v10, v10 :: v_dual_max_num_f32 v19, v11, v11
	s_delay_alu instid0(VALU_DEP_2) | instskip(NEXT) | instid1(VALU_DEP_2)
	v_dual_max_num_f32 v12, v12, v15 :: v_dual_max_num_f32 v13, v13, v17
	v_dual_max_num_f32 v14, v14, v18 :: v_dual_max_num_f32 v15, v16, v19
	s_delay_alu instid0(VALU_DEP_2) | instskip(NEXT) | instid1(VALU_DEP_2)
	v_dual_sub_f32 v0, v0, v12 :: v_dual_sub_f32 v9, v9, v13
	v_dual_sub_f32 v8, v8, v12 :: v_dual_sub_f32 v16, v2, v14
	s_delay_alu instid0(VALU_DEP_3) | instskip(NEXT) | instid1(VALU_DEP_3)
	v_dual_sub_f32 v1, v1, v13 :: v_dual_sub_f32 v11, v11, v15
	v_mul_f32_e32 v2, 0x3fb8aa3b, v0
	v_dual_sub_f32 v10, v10, v14 :: v_dual_sub_f32 v17, v3, v15
	s_delay_alu instid0(VALU_DEP_3) | instskip(SKIP_1) | instid1(VALU_DEP_4)
	v_dual_mul_f32 v3, 0x3fb8aa3b, v8 :: v_dual_mul_f32 v18, 0x3fb8aa3b, v1
	v_dual_mul_f32 v19, 0x3fb8aa3b, v9 :: v_dual_mul_f32 v20, 0x3fb8aa3b, v16
	v_fma_f32 v24, 0x3fb8aa3b, v0, -v2
	v_rndne_f32_e32 v25, v2
	v_mul_f32_e32 v23, 0x3fb8aa3b, v11
	v_fma_f32 v26, 0x3fb8aa3b, v8, -v3
	v_rndne_f32_e32 v27, v3
	v_fma_f32 v30, 0x3fb8aa3b, v9, -v19
	v_rndne_f32_e32 v31, v19
	v_rndne_f32_e32 v41, v20
	s_delay_alu instid0(VALU_DEP_4) | instskip(SKIP_4) | instid1(VALU_DEP_4)
	v_dual_fmac_f32 v24, 0x32a5705f, v0 :: v_dual_sub_f32 v3, v3, v27
	v_sub_f32_e32 v2, v2, v25
	v_fma_f32 v40, 0x3fb8aa3b, v16, -v20
	v_dual_fmac_f32 v26, 0x32a5705f, v8 :: v_dual_sub_f32 v19, v19, v31
	v_fmac_f32_e32 v30, 0x32a5705f, v9
	v_dual_sub_f32 v20, v20, v41 :: v_dual_add_f32 v2, v2, v24
	v_dual_mul_f32 v21, 0x3fb8aa3b, v10 :: v_dual_mul_f32 v22, 0x3fb8aa3b, v17
	v_fma_f32 v28, 0x3fb8aa3b, v1, -v18
	v_rndne_f32_e32 v29, v18
	v_dual_add_f32 v3, v3, v26 :: v_dual_fmac_f32 v40, 0x32a5705f, v16
	v_add_f32_e32 v19, v19, v30
	v_exp_f32_e32 v2, v2
	v_rndne_f32_e32 v43, v21
	v_rndne_f32_e32 v47, v23
	v_cvt_i32_f32_e32 v25, v25
	v_fmac_f32_e32 v28, 0x32a5705f, v1
	v_sub_f32_e32 v18, v18, v29
	v_exp_f32_e32 v3, v3
	v_exp_f32_e32 v19, v19
	v_fma_f32 v42, 0x3fb8aa3b, v10, -v21
	v_fma_f32 v46, 0x3fb8aa3b, v11, -v23
	v_cvt_i32_f32_e32 v27, v27
	v_cvt_i32_f32_e32 v31, v31
	v_sub_f32_e32 v21, v21, v43
	v_dual_sub_f32 v23, v23, v47 :: v_dual_add_f32 v18, v18, v28
	v_ldexp_f32 v2, v2, v25
	v_cmp_ngt_f32_e32 vcc_lo, 0xc2ce8ed0, v0
	v_fma_f32 v44, 0x3fb8aa3b, v17, -v22
	v_rndne_f32_e32 v45, v22
	v_exp_f32_e32 v18, v18
	v_ldexp_f32 v3, v3, v27
	v_ldexp_f32 v19, v19, v31
	v_cndmask_b32_e32 v2, 0, v2, vcc_lo
	v_cmp_ngt_f32_e32 vcc_lo, 0xc2ce8ed0, v8
	v_cvt_i32_f32_e32 v29, v29
	v_fmac_f32_e32 v42, 0x32a5705f, v10
	v_dual_sub_f32 v22, v22, v45 :: v_dual_add_f32 v20, v20, v40
	v_dual_cndmask_b32 v3, 0, v3 :: v_dual_fmac_f32 v44, 0x32a5705f, v17
	s_delay_alu instid0(VALU_DEP_3)
	v_add_f32_e32 v21, v21, v42
	v_ldexp_f32 v18, v18, v29
	v_cmp_ngt_f32_e32 vcc_lo, 0xc2ce8ed0, v1
	v_exp_f32_e32 v20, v20
	v_add_f32_e32 v22, v22, v44
	v_cvt_i32_f32_e32 v41, v41
	v_exp_f32_e32 v21, v21
	v_cndmask_b32_e32 v18, 0, v18, vcc_lo
	v_cmp_ngt_f32_e32 vcc_lo, 0xc2ce8ed0, v9
	v_exp_f32_e32 v22, v22
	v_cvt_i32_f32_e32 v43, v43
	v_cvt_i32_f32_e32 v45, v45
	v_ldexp_f32 v20, v20, v41
	v_cndmask_b32_e32 v19, 0, v19, vcc_lo
	v_cmp_ngt_f32_e32 vcc_lo, 0xc2ce8ed0, v16
	v_ldexp_f32 v21, v21, v43
	v_ldexp_f32 v22, v22, v45
	v_cvt_i32_f32_e32 v47, v47
	v_cndmask_b32_e32 v20, 0, v20, vcc_lo
	v_cmp_ngt_f32_e32 vcc_lo, 0xc2ce8ed0, v10
	v_dual_fmac_f32 v46, 0x32a5705f, v11 :: v_dual_cndmask_b32 v21, 0, v21
	s_delay_alu instid0(VALU_DEP_1) | instskip(SKIP_1) | instid1(VALU_DEP_2)
	v_add_f32_e32 v23, v23, v46
	v_cmp_ngt_f32_e32 vcc_lo, 0xc2ce8ed0, v17
	v_exp_f32_e32 v23, v23
	v_cndmask_b32_e32 v22, 0, v22, vcc_lo
	v_cmp_ngt_f32_e32 vcc_lo, 0xc2ce8ed0, v11
	s_delay_alu instid0(TRANS32_DEP_1) | instskip(NEXT) | instid1(VALU_DEP_1)
	v_ldexp_f32 v23, v23, v47
	v_cndmask_b32_e32 v23, 0, v23, vcc_lo
	v_cmp_nlt_f32_e32 vcc_lo, 0x42b17218, v0
	v_cndmask_b32_e32 v0, 0x7f800000, v2, vcc_lo
	v_cmp_nlt_f32_e32 vcc_lo, 0x42b17218, v8
	v_cndmask_b32_e32 v2, 0x7f800000, v3, vcc_lo
	v_cmp_nlt_f32_e32 vcc_lo, 0x42b17218, v1
	v_cndmask_b32_e32 v1, 0x7f800000, v18, vcc_lo
	v_cmp_nlt_f32_e32 vcc_lo, 0x42b17218, v9
	v_cndmask_b32_e32 v3, 0x7f800000, v19, vcc_lo
	v_cmp_nlt_f32_e32 vcc_lo, 0x42b17218, v16
	v_cvt_f16_f32_e32 v16, v0
	s_delay_alu instid0(VALU_DEP_3) | instskip(SKIP_2) | instid1(VALU_DEP_4)
	v_pk_fma_f32 v[6:7], v[6:7], v[0:1], v[2:3]
	v_cndmask_b32_e32 v8, 0x7f800000, v20, vcc_lo
	v_cmp_nlt_f32_e32 vcc_lo, 0x42b17218, v10
	v_and_b32_e32 v16, 0xffff, v16
	s_delay_alu instid0(VALU_DEP_3)
	v_cvt_f16_f32_e32 v18, v8
	v_cndmask_b32_e32 v10, 0x7f800000, v21, vcc_lo
	v_cmp_nlt_f32_e32 vcc_lo, 0x42b17218, v17
	v_cvt_f16_f32_e32 v17, v1
	v_mul_u32_u24_e32 v3, 0x10001, v16
	v_and_b32_e32 v1, 0xffff, v18
	v_cndmask_b32_e32 v9, 0x7f800000, v22, vcc_lo
	s_delay_alu instid0(VALU_DEP_4) | instskip(SKIP_1) | instid1(VALU_DEP_4)
	v_and_b32_e32 v0, 0xffff, v17
	v_cmp_nlt_f32_e32 vcc_lo, 0x42b17218, v11
	v_mul_u32_u24_e32 v1, 0x10001, v1
	v_pk_mul_f16 v38, v38, v3
	v_cvt_f16_f32_e32 v19, v9
	v_mul_u32_u24_e32 v0, 0x10001, v0
	v_cndmask_b32_e32 v11, 0x7f800000, v23, vcc_lo
	v_pk_mul_f16 v39, v39, v3
	v_pk_mul_f16 v34, v34, v1
	v_and_b32_e32 v2, 0xffff, v19
	v_pk_mul_f16 v36, v36, v0
	v_pk_mul_f16 v37, v37, v0
	;; [unrolled: 1-line block ×3, first 2 shown]
	v_pk_fma_f32 v[4:5], v[4:5], v[8:9], v[10:11]
	v_mul_u32_u24_e32 v2, 0x10001, v2
	s_delay_alu instid0(VALU_DEP_1)
	v_pk_mul_f16 v33, v33, v2
	v_pk_mul_f16 v32, v32, v2
	v_mov_b64_e32 v[0:1], v[12:13]
	v_mov_b64_e32 v[2:3], v[14:15]
.LBB76_78:
	s_mov_b32 s3, exec_lo
	v_cmpx_gt_i32_e64 s22, v89
	s_cbranch_execz .LBB76_95
; %bb.79:
	s_load_b32 s0, s[0:1], 0xd4
	v_mov_b32_e32 v8, 1.0
	s_wait_kmcnt 0x0
	s_cmp_lg_u32 s0, 1
	s_cselect_b32 s1, -1, 0
	s_cmp_eq_u32 s0, 1
	s_cselect_b32 s3, -1, 0
	s_and_b32 vcc_lo, exec_lo, s1
	s_cbranch_vccnz .LBB76_81
; %bb.80:
	v_div_scale_f32 v8, null, v6, v6, 1.0
	s_delay_alu instid0(VALU_DEP_1) | instskip(SKIP_1) | instid1(TRANS32_DEP_1)
	v_rcp_f32_e32 v9, v8
	v_nop
	v_fma_f32 v10, -v8, v9, 1.0
	s_delay_alu instid0(VALU_DEP_1) | instskip(SKIP_1) | instid1(VALU_DEP_1)
	v_fmac_f32_e32 v9, v10, v9
	v_div_scale_f32 v10, vcc_lo, 1.0, v6, 1.0
	v_mul_f32_e32 v11, v10, v9
	s_delay_alu instid0(VALU_DEP_1) | instskip(NEXT) | instid1(VALU_DEP_1)
	v_fma_f32 v12, -v8, v11, v10
	v_fmac_f32_e32 v11, v12, v9
	s_delay_alu instid0(VALU_DEP_1) | instskip(NEXT) | instid1(VALU_DEP_1)
	v_fma_f32 v8, -v8, v11, v10
	v_div_fmas_f32 v8, v8, v9, v11
	s_delay_alu instid0(VALU_DEP_1)
	v_div_fixup_f32 v8, v8, v6, 1.0
.LBB76_81:
	v_mad_u32 v9, s2, s22, v89
	v_dual_lshrrev_b32 v11, 16, v38 :: v_dual_mov_b32 v13, 0
	v_lshrrev_b32_e32 v15, 16, v39
	v_cvt_f32_f16_e32 v10, v38
	v_cvt_f32_f16_e32 v14, v39
	s_delay_alu instid0(VALU_DEP_4) | instskip(SKIP_4) | instid1(VALU_DEP_1)
	v_cvt_f32_f16_e32 v11, v11
	v_cmp_eq_u32_e32 vcc_lo, 0, v88
	v_cvt_f32_f16_e32 v15, v15
	v_mad_u32 v9, v9, s23, s28
	s_and_b32 s1, vcc_lo, s1
	v_mad_u32 v9, s0, v9, s31
	s_delay_alu instid0(VALU_DEP_1) | instskip(SKIP_1) | instid1(VALU_DEP_2)
	v_lshl_add_u32 v12, v9, 7, v90
	v_pk_mul_f32 v[10:11], v[8:9], v[10:11] op_sel_hi:[0,1]
	v_lshl_add_u64 v[16:17], v[12:13], 2, s[16:17]
	v_pk_mul_f32 v[12:13], v[8:9], v[14:15] op_sel_hi:[0,1]
	global_store_b128 v[16:17], v[10:13], off
	s_wait_xcnt 0x0
	s_and_saveexec_b32 s2, s1
	s_cbranch_execz .LBB76_83
; %bb.82:
	v_dual_mov_b32 v10, v0 :: v_dual_mov_b32 v11, v6
	global_store_b64 v9, v[10:11], s[18:19] scale_offset
.LBB76_83:
	s_wait_xcnt 0x0
	s_or_b32 exec_lo, exec_lo, s2
	v_cndmask_b32_e64 v8, 0, 1, s3
	v_mov_b32_e32 v0, 1.0
	s_and_not1_b32 vcc_lo, exec_lo, s3
	s_cbranch_vccnz .LBB76_85
; %bb.84:
	v_div_scale_f32 v0, null, v7, v7, 1.0
	s_delay_alu instid0(VALU_DEP_1) | instskip(SKIP_1) | instid1(TRANS32_DEP_1)
	v_rcp_f32_e32 v6, v0
	v_nop
	v_fma_f32 v10, -v0, v6, 1.0
	s_delay_alu instid0(VALU_DEP_1) | instskip(SKIP_1) | instid1(VALU_DEP_1)
	v_fmac_f32_e32 v6, v10, v6
	v_div_scale_f32 v10, vcc_lo, 1.0, v7, 1.0
	v_mul_f32_e32 v11, v10, v6
	s_delay_alu instid0(VALU_DEP_1) | instskip(NEXT) | instid1(VALU_DEP_1)
	v_fma_f32 v12, -v0, v11, v10
	v_fmac_f32_e32 v11, v12, v6
	s_delay_alu instid0(VALU_DEP_1) | instskip(NEXT) | instid1(VALU_DEP_1)
	v_fma_f32 v0, -v0, v11, v10
	v_div_fmas_f32 v0, v0, v6, v11
	s_delay_alu instid0(VALU_DEP_1)
	v_div_fixup_f32 v0, v0, v7, 1.0
.LBB76_85:
	v_dual_add_nc_u32 v9, s0, v9 :: v_dual_lshrrev_b32 v6, 16, v36
	v_dual_mov_b32 v11, 0 :: v_dual_lshrrev_b32 v15, 16, v37
	v_cvt_f32_f16_e32 v12, v36
	s_delay_alu instid0(VALU_DEP_3) | instskip(NEXT) | instid1(VALU_DEP_4)
	v_lshl_add_u32 v10, v9, 7, v90
	v_cvt_f32_f16_e32 v13, v6
	v_cvt_f32_f16_e32 v14, v37
	;; [unrolled: 1-line block ×3, first 2 shown]
	s_delay_alu instid0(VALU_DEP_4) | instskip(NEXT) | instid1(VALU_DEP_4)
	v_lshl_add_u64 v[16:17], v[10:11], 2, s[16:17]
	v_pk_mul_f32 v[10:11], v[0:1], v[12:13] op_sel_hi:[0,1]
	s_delay_alu instid0(VALU_DEP_3)
	v_pk_mul_f32 v[12:13], v[0:1], v[14:15] op_sel_hi:[0,1]
	global_store_b128 v[16:17], v[10:13], off
	s_wait_xcnt 0x0
	s_and_saveexec_b32 s2, s1
	s_cbranch_execz .LBB76_87
; %bb.86:
	v_mov_b32_e32 v6, v1
	global_store_b64 v9, v[6:7], s[18:19] scale_offset
.LBB76_87:
	s_wait_xcnt 0x0
	s_or_b32 exec_lo, exec_lo, s2
	v_cmp_ne_u32_e32 vcc_lo, 1, v8
	v_mov_b32_e32 v0, 1.0
	s_cbranch_vccnz .LBB76_89
; %bb.88:
	v_div_scale_f32 v0, null, v4, v4, 1.0
	s_delay_alu instid0(VALU_DEP_1) | instskip(SKIP_1) | instid1(TRANS32_DEP_1)
	v_rcp_f32_e32 v1, v0
	v_nop
	v_fma_f32 v6, -v0, v1, 1.0
	s_delay_alu instid0(VALU_DEP_1) | instskip(SKIP_1) | instid1(VALU_DEP_1)
	v_fmac_f32_e32 v1, v6, v1
	v_div_scale_f32 v6, vcc_lo, 1.0, v4, 1.0
	v_mul_f32_e32 v7, v6, v1
	s_delay_alu instid0(VALU_DEP_1) | instskip(NEXT) | instid1(VALU_DEP_1)
	v_fma_f32 v10, -v0, v7, v6
	v_fmac_f32_e32 v7, v10, v1
	s_delay_alu instid0(VALU_DEP_1) | instskip(NEXT) | instid1(VALU_DEP_1)
	v_fma_f32 v0, -v0, v7, v6
	v_div_fmas_f32 v0, v0, v1, v7
	s_delay_alu instid0(VALU_DEP_1)
	v_div_fixup_f32 v0, v0, v4, 1.0
.LBB76_89:
	v_dual_add_nc_u32 v1, s0, v9 :: v_dual_lshrrev_b32 v9, 16, v34
	v_dual_mov_b32 v7, 0 :: v_dual_lshrrev_b32 v13, 16, v35
	v_cvt_f32_f16_e32 v10, v34
	s_delay_alu instid0(VALU_DEP_3) | instskip(NEXT) | instid1(VALU_DEP_4)
	v_lshl_add_u32 v6, v1, 7, v90
	v_cvt_f32_f16_e32 v11, v9
	v_cvt_f32_f16_e32 v12, v35
	;; [unrolled: 1-line block ×3, first 2 shown]
	s_delay_alu instid0(VALU_DEP_4) | instskip(NEXT) | instid1(VALU_DEP_4)
	v_lshl_add_u64 v[6:7], v[6:7], 2, s[16:17]
	v_pk_mul_f32 v[10:11], v[0:1], v[10:11] op_sel_hi:[0,1]
	s_delay_alu instid0(VALU_DEP_3)
	v_pk_mul_f32 v[12:13], v[0:1], v[12:13] op_sel_hi:[0,1]
	global_store_b128 v[6:7], v[10:13], off
	s_wait_xcnt 0x0
	s_and_saveexec_b32 s2, s1
	s_cbranch_execz .LBB76_91
; %bb.90:
	v_dual_mov_b32 v6, v2 :: v_dual_mov_b32 v7, v4
	global_store_b64 v1, v[6:7], s[18:19] scale_offset
.LBB76_91:
	s_wait_xcnt 0x0
	s_or_b32 exec_lo, exec_lo, s2
	v_cmp_ne_u32_e32 vcc_lo, 1, v8
	v_mov_b32_e32 v0, 1.0
	s_cbranch_vccnz .LBB76_93
; %bb.92:
	v_div_scale_f32 v0, null, v5, v5, 1.0
	s_delay_alu instid0(VALU_DEP_1) | instskip(SKIP_1) | instid1(TRANS32_DEP_1)
	v_rcp_f32_e32 v2, v0
	v_nop
	v_fma_f32 v4, -v0, v2, 1.0
	s_delay_alu instid0(VALU_DEP_1) | instskip(SKIP_1) | instid1(VALU_DEP_1)
	v_fmac_f32_e32 v2, v4, v2
	v_div_scale_f32 v4, vcc_lo, 1.0, v5, 1.0
	v_mul_f32_e32 v6, v4, v2
	s_delay_alu instid0(VALU_DEP_1) | instskip(NEXT) | instid1(VALU_DEP_1)
	v_fma_f32 v7, -v0, v6, v4
	v_fmac_f32_e32 v6, v7, v2
	s_delay_alu instid0(VALU_DEP_1) | instskip(NEXT) | instid1(VALU_DEP_1)
	v_fma_f32 v0, -v0, v6, v4
	v_div_fmas_f32 v0, v0, v2, v6
	s_delay_alu instid0(VALU_DEP_1)
	v_div_fixup_f32 v0, v0, v5, 1.0
.LBB76_93:
	v_dual_add_nc_u32 v1, s0, v1 :: v_dual_mov_b32 v7, 0
	v_dual_lshrrev_b32 v2, 16, v33 :: v_dual_lshrrev_b32 v4, 16, v32
	v_cvt_f32_f16_e32 v8, v33
	s_delay_alu instid0(VALU_DEP_3) | instskip(SKIP_1) | instid1(VALU_DEP_4)
	v_lshl_add_u32 v6, v1, 7, v90
	v_cvt_f32_f16_e32 v10, v32
	v_cvt_f32_f16_e32 v9, v2
	;; [unrolled: 1-line block ×3, first 2 shown]
	s_delay_alu instid0(VALU_DEP_4) | instskip(NEXT) | instid1(VALU_DEP_3)
	v_lshl_add_u64 v[12:13], v[6:7], 2, s[16:17]
	v_pk_mul_f32 v[6:7], v[0:1], v[8:9] op_sel_hi:[0,1]
	s_delay_alu instid0(VALU_DEP_3)
	v_pk_mul_f32 v[8:9], v[0:1], v[10:11] op_sel_hi:[0,1]
	global_store_b128 v[12:13], v[6:9], off
	s_wait_xcnt 0x0
	s_and_b32 exec_lo, exec_lo, s1
	s_cbranch_execz .LBB76_95
; %bb.94:
	v_mov_b32_e32 v4, v3
	global_store_b64 v1, v[4:5], s[18:19] scale_offset
.LBB76_95:
	s_sendmsg sendmsg(MSG_DEALLOC_VGPRS)
	s_endpgm
	.section	.rodata,"a",@progbits
	.p2align	6, 0x0
	.amdhsa_kernel _ZL15flash_attn_tileILi128ELi128ELi8ELi4ELb1EEvPKcS1_S1_S1_S1_PKiPfP15HIP_vector_typeIfLj2EEffffjfiS5_IjLj3EEiiiiiiiiiiiliiliiiiil
		.amdhsa_group_segment_fixed_size 34816
		.amdhsa_private_segment_fixed_size 0
		.amdhsa_kernarg_size 464
		.amdhsa_user_sgpr_count 2
		.amdhsa_user_sgpr_dispatch_ptr 0
		.amdhsa_user_sgpr_queue_ptr 0
		.amdhsa_user_sgpr_kernarg_segment_ptr 1
		.amdhsa_user_sgpr_dispatch_id 0
		.amdhsa_user_sgpr_kernarg_preload_length 0
		.amdhsa_user_sgpr_kernarg_preload_offset 0
		.amdhsa_user_sgpr_private_segment_size 0
		.amdhsa_wavefront_size32 1
		.amdhsa_uses_dynamic_stack 0
		.amdhsa_enable_private_segment 0
		.amdhsa_system_sgpr_workgroup_id_x 1
		.amdhsa_system_sgpr_workgroup_id_y 1
		.amdhsa_system_sgpr_workgroup_id_z 1
		.amdhsa_system_sgpr_workgroup_info 0
		.amdhsa_system_vgpr_workitem_id 1
		.amdhsa_next_free_vgpr 165
		.amdhsa_next_free_sgpr 43
		.amdhsa_named_barrier_count 0
		.amdhsa_reserve_vcc 1
		.amdhsa_float_round_mode_32 0
		.amdhsa_float_round_mode_16_64 0
		.amdhsa_float_denorm_mode_32 3
		.amdhsa_float_denorm_mode_16_64 3
		.amdhsa_fp16_overflow 0
		.amdhsa_memory_ordered 1
		.amdhsa_forward_progress 1
		.amdhsa_inst_pref_size 244
		.amdhsa_round_robin_scheduling 0
		.amdhsa_exception_fp_ieee_invalid_op 0
		.amdhsa_exception_fp_denorm_src 0
		.amdhsa_exception_fp_ieee_div_zero 0
		.amdhsa_exception_fp_ieee_overflow 0
		.amdhsa_exception_fp_ieee_underflow 0
		.amdhsa_exception_fp_ieee_inexact 0
		.amdhsa_exception_int_div_zero 0
	.end_amdhsa_kernel
	.section	.text._ZL15flash_attn_tileILi128ELi128ELi8ELi4ELb1EEvPKcS1_S1_S1_S1_PKiPfP15HIP_vector_typeIfLj2EEffffjfiS5_IjLj3EEiiiiiiiiiiiliiliiiiil,"axG",@progbits,_ZL15flash_attn_tileILi128ELi128ELi8ELi4ELb1EEvPKcS1_S1_S1_S1_PKiPfP15HIP_vector_typeIfLj2EEffffjfiS5_IjLj3EEiiiiiiiiiiiliiliiiiil,comdat
.Lfunc_end76:
	.size	_ZL15flash_attn_tileILi128ELi128ELi8ELi4ELb1EEvPKcS1_S1_S1_S1_PKiPfP15HIP_vector_typeIfLj2EEffffjfiS5_IjLj3EEiiiiiiiiiiiliiliiiiil, .Lfunc_end76-_ZL15flash_attn_tileILi128ELi128ELi8ELi4ELb1EEvPKcS1_S1_S1_S1_PKiPfP15HIP_vector_typeIfLj2EEffffjfiS5_IjLj3EEiiiiiiiiiiiliiliiiiil
                                        ; -- End function
	.set _ZL15flash_attn_tileILi128ELi128ELi8ELi4ELb1EEvPKcS1_S1_S1_S1_PKiPfP15HIP_vector_typeIfLj2EEffffjfiS5_IjLj3EEiiiiiiiiiiiliiliiiiil.num_vgpr, 165
	.set _ZL15flash_attn_tileILi128ELi128ELi8ELi4ELb1EEvPKcS1_S1_S1_S1_PKiPfP15HIP_vector_typeIfLj2EEffffjfiS5_IjLj3EEiiiiiiiiiiiliiliiiiil.num_agpr, 0
	.set _ZL15flash_attn_tileILi128ELi128ELi8ELi4ELb1EEvPKcS1_S1_S1_S1_PKiPfP15HIP_vector_typeIfLj2EEffffjfiS5_IjLj3EEiiiiiiiiiiiliiliiiiil.numbered_sgpr, 43
	.set _ZL15flash_attn_tileILi128ELi128ELi8ELi4ELb1EEvPKcS1_S1_S1_S1_PKiPfP15HIP_vector_typeIfLj2EEffffjfiS5_IjLj3EEiiiiiiiiiiiliiliiiiil.num_named_barrier, 0
	.set _ZL15flash_attn_tileILi128ELi128ELi8ELi4ELb1EEvPKcS1_S1_S1_S1_PKiPfP15HIP_vector_typeIfLj2EEffffjfiS5_IjLj3EEiiiiiiiiiiiliiliiiiil.private_seg_size, 0
	.set _ZL15flash_attn_tileILi128ELi128ELi8ELi4ELb1EEvPKcS1_S1_S1_S1_PKiPfP15HIP_vector_typeIfLj2EEffffjfiS5_IjLj3EEiiiiiiiiiiiliiliiiiil.uses_vcc, 1
	.set _ZL15flash_attn_tileILi128ELi128ELi8ELi4ELb1EEvPKcS1_S1_S1_S1_PKiPfP15HIP_vector_typeIfLj2EEffffjfiS5_IjLj3EEiiiiiiiiiiiliiliiiiil.uses_flat_scratch, 0
	.set _ZL15flash_attn_tileILi128ELi128ELi8ELi4ELb1EEvPKcS1_S1_S1_S1_PKiPfP15HIP_vector_typeIfLj2EEffffjfiS5_IjLj3EEiiiiiiiiiiiliiliiiiil.has_dyn_sized_stack, 0
	.set _ZL15flash_attn_tileILi128ELi128ELi8ELi4ELb1EEvPKcS1_S1_S1_S1_PKiPfP15HIP_vector_typeIfLj2EEffffjfiS5_IjLj3EEiiiiiiiiiiiliiliiiiil.has_recursion, 0
	.set _ZL15flash_attn_tileILi128ELi128ELi8ELi4ELb1EEvPKcS1_S1_S1_S1_PKiPfP15HIP_vector_typeIfLj2EEffffjfiS5_IjLj3EEiiiiiiiiiiiliiliiiiil.has_indirect_call, 0
	.section	.AMDGPU.csdata,"",@progbits
; Kernel info:
; codeLenInByte = 31128
; TotalNumSgprs: 45
; NumVgprs: 165
; ScratchSize: 0
; MemoryBound: 0
; FloatMode: 240
; IeeeMode: 1
; LDSByteSize: 34816 bytes/workgroup (compile time only)
; SGPRBlocks: 0
; VGPRBlocks: 10
; NumSGPRsForWavesPerEU: 45
; NumVGPRsForWavesPerEU: 165
; NamedBarCnt: 0
; Occupancy: 5
; WaveLimiterHint : 1
; COMPUTE_PGM_RSRC2:SCRATCH_EN: 0
; COMPUTE_PGM_RSRC2:USER_SGPR: 2
; COMPUTE_PGM_RSRC2:TRAP_HANDLER: 0
; COMPUTE_PGM_RSRC2:TGID_X_EN: 1
; COMPUTE_PGM_RSRC2:TGID_Y_EN: 1
; COMPUTE_PGM_RSRC2:TGID_Z_EN: 1
; COMPUTE_PGM_RSRC2:TIDIG_COMP_CNT: 1
	.section	.text._ZL15flash_attn_tileILi128ELi128ELi4ELi4ELb1EEvPKcS1_S1_S1_S1_PKiPfP15HIP_vector_typeIfLj2EEffffjfiS5_IjLj3EEiiiiiiiiiiiliiliiiiil,"axG",@progbits,_ZL15flash_attn_tileILi128ELi128ELi4ELi4ELb1EEvPKcS1_S1_S1_S1_PKiPfP15HIP_vector_typeIfLj2EEffffjfiS5_IjLj3EEiiiiiiiiiiiliiliiiiil,comdat
	.globl	_ZL15flash_attn_tileILi128ELi128ELi4ELi4ELb1EEvPKcS1_S1_S1_S1_PKiPfP15HIP_vector_typeIfLj2EEffffjfiS5_IjLj3EEiiiiiiiiiiiliiliiiiil ; -- Begin function _ZL15flash_attn_tileILi128ELi128ELi4ELi4ELb1EEvPKcS1_S1_S1_S1_PKiPfP15HIP_vector_typeIfLj2EEffffjfiS5_IjLj3EEiiiiiiiiiiiliiliiiiil
	.p2align	8
	.type	_ZL15flash_attn_tileILi128ELi128ELi4ELi4ELb1EEvPKcS1_S1_S1_S1_PKiPfP15HIP_vector_typeIfLj2EEffffjfiS5_IjLj3EEiiiiiiiiiiiliiliiiiil,@function
_ZL15flash_attn_tileILi128ELi128ELi4ELi4ELb1EEvPKcS1_S1_S1_S1_PKiPfP15HIP_vector_typeIfLj2EEffffjfiS5_IjLj3EEiiiiiiiiiiiliiliiiiil: ; @_ZL15flash_attn_tileILi128ELi128ELi4ELi4ELb1EEvPKcS1_S1_S1_S1_PKiPfP15HIP_vector_typeIfLj2EEffffjfiS5_IjLj3EEiiiiiiiiiiiliiliiiiil
; %bb.0:
	s_clause 0x1
	s_load_b128 s[20:23], s[0:1], 0x5c
	s_load_b64 s[28:29], s[0:1], 0x80
	s_bfe_u32 s5, ttmp6, 0x40014
	s_lshr_b32 s4, ttmp7, 16
	s_add_co_i32 s5, s5, 1
	s_bfe_u32 s6, ttmp6, 0x40008
	s_mul_i32 s5, s4, s5
	s_getreg_b32 s27, hwreg(HW_REG_IB_STS2, 6, 4)
	s_add_co_i32 s6, s6, s5
	s_load_b64 s[36:37], s[0:1], 0xb8
	s_mov_b32 s35, 0
	s_mov_b64 s[30:31], 0
	s_wait_kmcnt 0x0
	s_ashr_i32 s2, s23, 31
	s_delay_alu instid0(SALU_CYCLE_1) | instskip(NEXT) | instid1(SALU_CYCLE_1)
	s_lshr_b32 s2, s2, 30
	s_add_co_i32 s2, s23, s2
	s_delay_alu instid0(SALU_CYCLE_1) | instskip(NEXT) | instid1(SALU_CYCLE_1)
	s_ashr_i32 s2, s2, 2
	s_cvt_f32_u32 s3, s2
	s_sub_co_i32 s7, 0, s2
	s_delay_alu instid0(SALU_CYCLE_2) | instskip(SKIP_1) | instid1(TRANS32_DEP_1)
	v_rcp_iflag_f32_e32 v1, s3
	v_nop
	v_readfirstlane_b32 s3, v1
	s_mul_f32 s3, s3, 0x4f7ffffe
	s_delay_alu instid0(SALU_CYCLE_3) | instskip(NEXT) | instid1(SALU_CYCLE_3)
	s_cvt_u32_f32 s3, s3
	s_mul_i32 s7, s7, s3
	s_delay_alu instid0(SALU_CYCLE_1) | instskip(NEXT) | instid1(SALU_CYCLE_1)
	s_mul_hi_u32 s7, s3, s7
	s_add_co_i32 s3, s3, s7
	s_cmp_eq_u32 s27, 0
	s_cselect_b32 s4, s4, s6
	s_delay_alu instid0(SALU_CYCLE_1) | instskip(NEXT) | instid1(SALU_CYCLE_1)
	s_mul_hi_u32 s3, s4, s3
	s_mul_i32 s5, s3, s2
	s_add_co_i32 s6, s3, 1
	s_sub_co_i32 s5, s4, s5
	s_delay_alu instid0(SALU_CYCLE_1)
	s_sub_co_i32 s7, s5, s2
	s_cmp_ge_u32 s5, s2
	s_cselect_b32 s3, s6, s3
	s_cselect_b32 s5, s7, s5
	s_add_co_i32 s6, s3, 1
	s_cmp_ge_u32 s5, s2
	s_cselect_b32 s2, s6, s3
	s_abs_i32 s3, s29
	s_lshl_b32 s4, s4, 2
	s_cvt_f32_u32 s5, s3
	s_sub_co_i32 s6, 0, s3
	s_mul_i32 s7, s2, s23
	s_abs_i32 s8, s23
	v_rcp_iflag_f32_e32 v1, s5
	s_sub_co_i32 s33, s4, s7
	v_nop
	s_delay_alu instid0(TRANS32_DEP_1) | instskip(SKIP_1) | instid1(SALU_CYCLE_3)
	v_readfirstlane_b32 s5, v1
	s_mul_f32 s5, s5, 0x4f7ffffe
	s_cvt_u32_f32 s5, s5
	s_delay_alu instid0(SALU_CYCLE_3) | instskip(NEXT) | instid1(SALU_CYCLE_1)
	s_mul_i32 s6, s6, s5
	s_mul_hi_u32 s6, s5, s6
	s_delay_alu instid0(SALU_CYCLE_1) | instskip(NEXT) | instid1(SALU_CYCLE_1)
	s_add_co_i32 s5, s5, s6
	s_mul_hi_u32 s4, s8, s5
	s_xor_b32 s5, s23, s29
	s_mul_i32 s6, s4, s3
	s_ashr_i32 s24, s5, 31
	s_sub_co_i32 s5, s8, s6
	s_add_co_i32 s6, s4, 1
	s_sub_co_i32 s7, s5, s3
	s_cmp_ge_u32 s5, s3
	s_cselect_b32 s4, s6, s4
	s_cselect_b32 s5, s7, s5
	s_add_co_i32 s6, s4, 1
	s_cmp_ge_u32 s5, s3
	s_cselect_b32 s3, s6, s4
	s_load_b512 s[4:19], s[0:1], 0x0
	s_xor_b32 s3, s3, s24
	s_delay_alu instid0(SALU_CYCLE_1) | instskip(NEXT) | instid1(SALU_CYCLE_1)
	s_sub_co_i32 s3, s3, s24
	s_abs_i32 s38, s3
	s_delay_alu instid0(SALU_CYCLE_1) | instskip(NEXT) | instid1(SALU_CYCLE_3)
	s_cvt_f32_u32 s24, s38
	v_rcp_iflag_f32_e32 v1, s24
	v_nop
	s_delay_alu instid0(TRANS32_DEP_1)
	v_readfirstlane_b32 s34, v1
	s_wait_kmcnt 0x0
	s_cmp_eq_u64 s[10:11], 0
	s_cbranch_scc1 .LBB77_2
; %bb.1:
	s_abs_i32 s26, s36
	s_abs_i32 s29, s2
	s_cvt_f32_u32 s24, s26
	s_sub_co_i32 s25, 0, s26
	s_delay_alu instid0(SALU_CYCLE_2) | instskip(SKIP_1) | instid1(TRANS32_DEP_1)
	v_rcp_iflag_f32_e32 v1, s24
	v_nop
	v_readfirstlane_b32 s24, v1
	s_mul_f32 s24, s24, 0x4f7ffffe
	s_delay_alu instid0(SALU_CYCLE_3) | instskip(NEXT) | instid1(SALU_CYCLE_3)
	s_cvt_u32_f32 s24, s24
	s_mul_i32 s25, s25, s24
	s_delay_alu instid0(SALU_CYCLE_1) | instskip(NEXT) | instid1(SALU_CYCLE_1)
	s_mul_hi_u32 s25, s24, s25
	s_add_co_i32 s24, s24, s25
	s_delay_alu instid0(SALU_CYCLE_1) | instskip(SKIP_2) | instid1(SALU_CYCLE_1)
	s_mul_hi_u32 s30, s29, s24
	s_load_b64 s[24:25], s[0:1], 0xc8
	s_mul_i32 s30, s30, s26
	s_sub_co_i32 s29, s29, s30
	s_ashr_i32 s30, s2, 31
	s_sub_co_i32 s31, s29, s26
	s_cmp_ge_u32 s29, s26
	s_cselect_b32 s29, s31, s29
	s_delay_alu instid0(SALU_CYCLE_1) | instskip(SKIP_2) | instid1(SALU_CYCLE_1)
	s_sub_co_i32 s31, s29, s26
	s_cmp_ge_u32 s29, s26
	s_cselect_b32 s26, s31, s29
	s_xor_b32 s26, s26, s30
	s_delay_alu instid0(SALU_CYCLE_1) | instskip(NEXT) | instid1(SALU_CYCLE_1)
	s_sub_co_i32 s30, s26, s30
	s_ashr_i32 s31, s30, 31
	s_wait_kmcnt 0x0
	s_mul_u64 s[24:25], s[24:25], s[30:31]
	s_delay_alu instid0(SALU_CYCLE_1)
	s_add_nc_u64 s[30:31], s[10:11], s[24:25]
.LBB77_2:
	s_bfe_u32 s10, ttmp6, 0x4000c
	v_dual_lshrrev_b32 v1, 10, v0 :: v_dual_mov_b32 v3, 0
	s_add_co_i32 s10, s10, 1
	s_and_b32 s11, ttmp6, 15
	s_mul_i32 s10, ttmp9, s10
	s_delay_alu instid0(VALU_DEP_1)
	v_bfe_u32 v1, v1, 1, 9
	s_add_co_i32 s11, s11, s10
	s_cmp_eq_u32 s27, 0
	s_load_b96 s[24:26], s[0:1], 0x70
	s_cselect_b32 s10, ttmp9, s11
	v_bfe_u32 v16, v0, 10, 10
	v_lshl_add_u32 v122, s10, 2, v1
	v_dual_mov_b32 v77, v3 :: v_dual_mov_b32 v7, v3
	v_mov_b32_e32 v11, v3
	s_delay_alu instid0(VALU_DEP_3) | instskip(NEXT) | instid1(VALU_DEP_1)
	v_mul_hi_u32 v1, s20, v122
	v_add_nc_u32_e32 v1, v122, v1
	s_wait_kmcnt 0x0
	s_mul_i32 s20, s33, s25
	s_ashr_i32 s41, s25, 31
	s_mov_b32 s40, s25
	s_ashr_i32 s25, s24, 31
	v_lshrrev_b32_e32 v1, s21, v1
	s_lshr_b64 s[24:25], s[24:25], 2
	s_ashr_i32 s21, s20, 31
	s_delay_alu instid0(VALU_DEP_1) | instskip(NEXT) | instid1(VALU_DEP_1)
	v_mul_lo_u32 v1, v1, s22
	v_dual_sub_nc_u32 v2, v122, v1 :: v_dual_lshlrev_b32 v1, 1, v16
	s_delay_alu instid0(VALU_DEP_1) | instskip(NEXT) | instid1(VALU_DEP_2)
	v_mul_u64_e32 v[4:5], s[24:25], v[2:3]
	v_and_b32_e32 v76, 2, v1
	v_bitop3_b32 v6, v1, 3, 1 bitop3:0xc8
	s_lshr_b64 s[24:25], s[40:41], 2
	s_delay_alu instid0(VALU_DEP_2) | instid1(SALU_CYCLE_1)
	v_mul_u64_e32 v[8:9], s[24:25], v[76:77]
	s_delay_alu instid0(VALU_DEP_2)
	v_mul_u64_e32 v[6:7], s[24:25], v[6:7]
	s_mul_i32 s24, s2, s26
	v_and_b32_e32 v77, 0x3ff, v0
	s_ashr_i32 s25, s24, 31
	v_lshlrev_b32_e32 v0, 9, v16
	s_add_nc_u64 s[4:5], s[4:5], s[24:25]
	s_cmp_eq_u64 s[14:15], 0
	s_add_nc_u64 s[4:5], s[4:5], s[20:21]
	v_dual_lshlrev_b32 v10, 4, v77 :: v_dual_lshlrev_b32 v124, 3, v77
	s_delay_alu instid0(VALU_DEP_1) | instskip(SKIP_2) | instid1(VALU_DEP_1)
	v_add_nc_u32_e32 v3, 0x9800, v124
	v_lshl_add_u64 v[4:5], v[4:5], 2, s[4:5]
	s_load_b32 s4, s[0:1], 0x40
	v_add_nc_u64_e32 v[4:5], v[4:5], v[10:11]
	s_delay_alu instid0(VALU_DEP_1)
	v_lshl_add_u64 v[12:13], v[8:9], 2, v[4:5]
	v_lshl_add_u64 v[14:15], v[6:7], 2, v[4:5]
	s_clause 0x1
	global_load_b128 v[4:7], v[12:13], off
	global_load_b128 v[8:11], v[14:15], off
	s_wait_xcnt 0x1
	v_or_b32_e32 v12, 1, v1
	s_wait_loadcnt 0x1
	s_wait_kmcnt 0x0
	v_fma_mixlo_f16 v4, s4, v4, 0
	v_fma_mixlo_f16 v5, s4, v5, 0
	;; [unrolled: 1-line block ×3, first 2 shown]
	s_wait_loadcnt 0x0
	v_fma_mixlo_f16 v8, s4, v8, 0
	v_fma_mixlo_f16 v9, s4, v9, 0
	v_dual_add_nc_u32 v13, v3, v0 :: v_dual_lshlrev_b32 v5, 16, v5
	v_fma_mixlo_f16 v6, s4, v6, 0
	v_fma_mixlo_f16 v11, s4, v11, 0
	v_and_b32_e32 v4, 0xffff, v4
	v_fma_mixlo_f16 v10, s4, v10, 0
	v_dual_lshlrev_b32 v7, 16, v7 :: v_dual_lshlrev_b32 v9, 16, v9
	v_and_b32_e32 v8, 0xffff, v8
	v_and_b32_e32 v6, 0xffff, v6
	v_dual_lshlrev_b32 v11, 16, v11 :: v_dual_bitop2_b32 v4, v5, v4 bitop3:0x54
	v_and_b32_e32 v10, 0xffff, v10
	s_delay_alu instid0(VALU_DEP_4) | instskip(NEXT) | instid1(VALU_DEP_4)
	v_or_b32_e32 v8, v9, v8
	v_or3_b32 v5, v7, v6, 0
	v_lshl_add_u32 v3, v12, 8, v3
	v_or3_b32 v4, 0, 0, v4
	v_or3_b32 v7, v11, v10, 0
	;; [unrolled: 1-line block ×3, first 2 shown]
	ds_store_b64 v13, v[4:5]
	ds_store_b64 v3, v[6:7]
	s_wait_dscnt 0x0
	s_barrier_signal -1
	s_barrier_wait -1
	s_cbranch_scc1 .LBB77_4
; %bb.3:
	s_load_b32 s4, s[0:1], 0xd0
	s_wait_kmcnt 0x0
	s_mul_i32 s4, s4, s2
	s_delay_alu instid0(SALU_CYCLE_1)
	s_add_co_i32 s4, s4, s10
	s_load_b32 s28, s[14:15], s4 offset:0x0 scale_offset
.LBB77_4:
	s_wait_xcnt 0x0
	s_bfe_u32 s4, ttmp6, 0x40010
	s_and_b32 s5, ttmp7, 0xffff
	s_add_co_i32 s4, s4, 1
	s_bfe_u32 s10, ttmp6, 0x40004
	s_mul_i32 s4, s5, s4
	v_mbcnt_lo_u32_b32 v125, -1, 0
	s_add_co_i32 s10, s10, s4
	s_cmp_eq_u32 s27, 0
	s_cselect_b32 s29, s5, s10
	s_mov_b32 s5, 0
	s_lshl_b32 s4, s29, 7
	s_wait_kmcnt 0x0
	s_cmp_lt_i32 s4, s28
	s_cbranch_scc1 .LBB77_7
; %bb.5:
	v_mbcnt_lo_u32_b32 v3, -1, 0
	s_delay_alu instid0(VALU_DEP_1)
	v_dual_mov_b32 v126, 32 :: v_dual_bitop2_b32 v153, 16, v3 bitop3:0x14
	v_xor_b32_e32 v149, 8, v3
	v_xor_b32_e32 v150, 4, v3
	;; [unrolled: 1-line block ×3, first 2 shown]
	v_dual_lshlrev_b32 v123, 2, v77 :: v_dual_bitop2_b32 v152, 1, v3 bitop3:0x14
	s_and_not1_b32 vcc_lo, exec_lo, s5
	s_cbranch_vccz .LBB77_8
; %bb.6:
	v_dual_mov_b32 v115, 0xfeffffff :: v_dual_mov_b32 v148, 0
	v_dual_mov_b32 v95, 0 :: v_dual_mov_b32 v33, 0
	;; [unrolled: 1-line block ×3, first 2 shown]
	s_delay_alu instid0(VALU_DEP_2)
	v_dual_mov_b32 v114, v115 :: v_dual_mov_b32 v94, v95
	s_branch .LBB77_44
.LBB77_7:
                                        ; implicit-def: $vgpr3
                                        ; implicit-def: $vgpr126
                                        ; implicit-def: $vgpr153
                                        ; implicit-def: $vgpr149
                                        ; implicit-def: $vgpr150
                                        ; implicit-def: $vgpr151
                                        ; implicit-def: $vgpr152
	v_lshlrev_b32_e32 v123, 2, v77
.LBB77_8:
	s_clause 0x1
	s_load_b128 s[24:27], s[0:1], 0x98
	s_load_b64 s[14:15], s[0:1], 0x8c
	s_mul_f32 s5, s34, 0x4f7ffffe
	s_sub_co_i32 s10, 0, s38
	s_abs_i32 s34, s33
	s_mov_b32 s11, s35
	s_cvt_u32_f32 s5, s5
	s_ashr_i32 s39, s33, 31
	s_ashr_i32 s40, s3, 31
	;; [unrolled: 1-line block ×3, first 2 shown]
	s_mul_i32 s10, s10, s5
	s_ashr_i32 s3, s2, 31
	s_mul_hi_u32 s10, s5, s10
	s_clause 0x1
	s_load_b64 s[20:21], s[0:1], 0xa8
	s_load_b32 s36, s[0:1], 0x54
	s_add_co_i32 s10, s5, s10
	s_xor_b32 s5, s39, s40
	s_mul_u64 s[10:11], s[34:35], s[10:11]
	v_mad_u32 v138, v2, s37, v77
	s_mul_i32 s35, s11, s38
	s_wait_kmcnt 0x0
	s_ashr_i32 s10, s26, 2
	s_sub_co_i32 s26, s34, s35
	s_ashr_i32 s14, s14, 2
	s_add_co_i32 s34, s11, 1
	s_sub_co_i32 s35, s26, s38
	s_cmp_ge_u32 s26, s38
	s_mul_u64 s[24:25], s[24:25], s[2:3]
	s_cselect_b32 s11, s34, s11
	s_cselect_b32 s26, s35, s26
	s_add_co_i32 s34, s11, 1
	s_cmp_ge_u32 s26, s38
	s_add_nc_u64 s[6:7], s[6:7], s[24:25]
	s_cselect_b32 s11, s34, s11
	s_mul_u64 s[20:21], s[20:21], s[2:3]
	s_xor_b32 s11, s11, s5
	s_lshl_b32 s3, s10, 4
	s_sub_co_i32 s5, s11, s5
	s_lshl_b32 s11, s14, 4
	v_dual_lshrrev_b32 v3, 4, v77 :: v_dual_bitop2_b32 v4, 60, v123 bitop3:0x40
	s_mul_i32 s24, s5, s15
	s_add_nc_u64 s[8:9], s[8:9], s[20:21]
	s_mul_i32 s20, s5, s27
	s_delay_alu instid0(VALU_DEP_1) | instskip(SKIP_3) | instid1(VALU_DEP_4)
	v_add_nc_u32_e32 v1, v3, v1
	v_mul_u32_u24_e32 v136, 0x110, v77
	v_add_nc_u32_e32 v139, 0x8800, v0
	v_dual_mov_b32 v35, 0xfeffffff :: v_dual_lshlrev_b32 v86, 2, v4
	v_mul_lo_u32 v78, s14, v1
	v_mul_lo_u32 v88, s10, v1
	s_ashr_i32 s25, s24, 31
	s_ashr_i32 s21, s20, 31
	s_add_nc_u64 s[6:7], s[6:7], s[24:25]
	s_add_nc_u64 s[8:9], s[8:9], s[20:21]
	s_ashr_i32 s15, s14, 31
	s_add_nc_u64 s[20:21], s[0:1], 0xd0
	v_mov_b32_e32 v87, 0
	v_dual_mov_b32 v126, 32 :: v_dual_add_nc_u32 v135, 0x9800, v0
	s_delay_alu instid0(VALU_DEP_4) | instskip(SKIP_1) | instid1(VALU_DEP_4)
	v_add_nc_u32_e32 v80, s11, v78
	v_mov_b32_e32 v34, 0xfeffffff
	v_dual_mov_b32 v94, v87 :: v_dual_mov_b32 v95, v87
	s_delay_alu instid0(VALU_DEP_3) | instskip(SKIP_2) | instid1(VALU_DEP_3)
	v_dual_mov_b32 v32, v87 :: v_dual_add_nc_u32 v82, s11, v80
	v_lshlrev_b32_e32 v3, 2, v4
	v_dual_ashrrev_i32 v81, 31, v80 :: v_dual_mov_b32 v147, v87
	v_dual_mov_b32 v33, v87 :: v_dual_add_nc_u32 v84, s11, v82
	v_ashrrev_i32_e32 v79, 31, v78
	s_delay_alu instid0(VALU_DEP_4) | instskip(SKIP_1) | instid1(VALU_DEP_4)
	v_mad_u32_u24 v127, 0x110, v1, v3
	v_lshl_or_b32 v137, v1, 8, v3
	v_dual_ashrrev_i32 v83, 31, v82 :: v_dual_add_nc_u32 v90, s11, v84
	v_add_nc_u32_e32 v96, s3, v88
	v_ashrrev_i32_e32 v85, 31, v84
	v_add_nc_u32_e32 v128, 0x1100, v127
	v_add_nc_u32_e32 v129, 0x2200, v127
	v_dual_add_nc_u32 v92, s11, v90 :: v_dual_ashrrev_i32 v91, 31, v90
	v_add_nc_u32_e32 v130, 0x3300, v127
	v_add_nc_u32_e32 v131, 0x4400, v127
	;; [unrolled: 1-line block ×3, first 2 shown]
	s_delay_alu instid0(VALU_DEP_4) | instskip(SKIP_3) | instid1(VALU_DEP_4)
	v_dual_add_nc_u32 v98, s11, v92 :: v_dual_ashrrev_i32 v93, 31, v92
	v_add_nc_u32_e32 v100, s3, v96
	v_add_nc_u32_e32 v133, 0x6600, v127
	;; [unrolled: 1-line block ×3, first 2 shown]
	v_dual_add_nc_u32 v102, s11, v98 :: v_dual_ashrrev_i32 v99, 31, v98
	s_delay_alu instid0(VALU_DEP_4) | instskip(SKIP_2) | instid1(VALU_DEP_4)
	v_add_nc_u32_e32 v104, s3, v100
	v_add_nc_u32_e32 v140, 0x1000, v137
	;; [unrolled: 1-line block ×3, first 2 shown]
	v_ashrrev_i32_e32 v103, 31, v102
	v_add_nc_u32_e32 v142, 0x3000, v137
	v_add_nc_u32_e32 v106, s3, v104
	v_ashrrev_i32_e32 v89, 31, v88
	v_ashrrev_i32_e32 v97, 31, v96
	v_add_nc_u32_e32 v143, 0x4000, v137
	v_add_nc_u32_e32 v144, 0x5000, v137
	v_dual_add_nc_u32 v108, s3, v106 :: v_dual_ashrrev_i32 v107, 31, v106
	v_add_nc_u32_e32 v145, 0x6000, v137
	v_add_nc_u32_e32 v146, 0x7000, v137
	s_delay_alu instid0(VALU_DEP_3)
	v_dual_mov_b32 v148, v87 :: v_dual_add_nc_u32 v110, s3, v108
	v_ashrrev_i32_e32 v109, 31, v108
	v_ashrrev_i32_e32 v101, 31, v100
	;; [unrolled: 1-line block ×3, first 2 shown]
	s_ashr_i32 s11, s10, 31
	v_dual_add_nc_u32 v112, s3, v110 :: v_dual_ashrrev_i32 v111, 31, v110
	s_mov_b32 s3, 0xbbbac73d
	s_delay_alu instid0(VALU_DEP_1)
	v_ashrrev_i32_e32 v113, 31, v112
.LBB77_9:                               ; =>This Inner Loop Header: Depth=1
	s_ashr_i32 s5, s4, 31
	v_mov_b32_e32 v57, 0
	s_mul_u64 s[24:25], s[4:5], s[14:15]
	v_mov_b32_e32 v58, 0
	s_lshl_b64 s[24:25], s[24:25], 2
	v_mov_b32_e32 v59, 0
	s_add_nc_u64 s[24:25], s[6:7], s[24:25]
	v_mov_b32_e32 v60, 0
	v_lshl_add_u64 v[0:1], v[78:79], 2, s[24:25]
	v_lshl_add_u64 v[2:3], v[80:81], 2, s[24:25]
	v_lshl_add_u64 v[4:5], v[82:83], 2, s[24:25]
	v_lshl_add_u64 v[6:7], v[84:85], 2, s[24:25]
	v_lshl_add_u64 v[8:9], v[90:91], 2, s[24:25]
	v_lshl_add_u64 v[10:11], v[92:93], 2, s[24:25]
	v_add_nc_u64_e32 v[36:37], v[0:1], v[86:87]
	v_lshl_add_u64 v[12:13], v[98:99], 2, s[24:25]
	v_add_nc_u64_e32 v[38:39], v[2:3], v[86:87]
	v_lshl_add_u64 v[14:15], v[102:103], 2, s[24:25]
	v_add_nc_u64_e32 v[40:41], v[4:5], v[86:87]
	v_add_nc_u64_e32 v[42:43], v[6:7], v[86:87]
	;; [unrolled: 1-line block ×6, first 2 shown]
	s_clause 0x7
	global_load_b128 v[0:3], v[36:37], off
	global_load_b128 v[4:7], v[38:39], off
	;; [unrolled: 1-line block ×8, first 2 shown]
	s_wait_loadcnt 0x7
	ds_store_b128 v127, v[0:3]
	s_wait_loadcnt 0x6
	ds_store_b128 v128, v[4:7]
	;; [unrolled: 2-line block ×8, first 2 shown]
	s_wait_dscnt 0x0
	s_barrier_signal -1
	s_barrier_wait -1
	ds_load_b128 v[0:3], v136
	ds_load_b128 v[10:13], v135
	ds_load_b128 v[14:17], v135 offset:256
	ds_load_b128 v[18:21], v136 offset:8704
	v_mov_b32_e32 v6, 0
	ds_load_b128 v[22:25], v136 offset:17408
	ds_load_b128 v[26:29], v136 offset:26112
	v_dual_mov_b32 v7, 0 :: v_dual_mov_b32 v8, 0
	v_mov_b32_e32 v9, 0
	s_wait_dscnt 0x4
	;;#ASMSTART
	v_dot2_f32_f16 v6, v0, v10, v6
	;;#ASMEND
	;;#ASMSTART
	v_dot2_f32_f16 v6, v1, v11, v6
	;;#ASMEND
	;;#ASMSTART
	v_dot2_f32_f16 v6, v2, v12, v6
	;;#ASMEND
	;;#ASMSTART
	v_dot2_f32_f16 v6, v3, v13, v6
	;;#ASMEND
	s_wait_dscnt 0x3
	;;#ASMSTART
	v_dot2_f32_f16 v57, v0, v14, v57
	;;#ASMEND
	;;#ASMSTART
	v_dot2_f32_f16 v57, v1, v15, v57
	;;#ASMEND
	;;#ASMSTART
	v_dot2_f32_f16 v57, v2, v16, v57
	;;#ASMEND
	;;#ASMSTART
	v_dot2_f32_f16 v57, v3, v17, v57
	;;#ASMEND
	;; [unrolled: 13-line block ×3, first 2 shown]
	;;#ASMSTART
	v_dot2_f32_f16 v58, v18, v14, v58
	;;#ASMEND
	;;#ASMSTART
	v_dot2_f32_f16 v58, v19, v15, v58
	;;#ASMEND
	;; [unrolled: 3-line block ×4, first 2 shown]
	s_wait_dscnt 0x1
	;;#ASMSTART
	v_dot2_f32_f16 v8, v22, v10, v8
	;;#ASMEND
	;;#ASMSTART
	v_dot2_f32_f16 v8, v23, v11, v8
	;;#ASMEND
	;;#ASMSTART
	v_dot2_f32_f16 v8, v24, v12, v8
	;;#ASMEND
	;;#ASMSTART
	v_dot2_f32_f16 v8, v25, v13, v8
	;;#ASMEND
	;;#ASMSTART
	v_dot2_f32_f16 v59, v22, v14, v59
	;;#ASMEND
	;;#ASMSTART
	v_dot2_f32_f16 v59, v23, v15, v59
	;;#ASMEND
	;;#ASMSTART
	v_dot2_f32_f16 v59, v24, v16, v59
	;;#ASMEND
	;;#ASMSTART
	v_dot2_f32_f16 v59, v25, v17, v59
	;;#ASMEND
	s_wait_dscnt 0x0
	;;#ASMSTART
	v_dot2_f32_f16 v9, v26, v10, v9
	;;#ASMEND
	;;#ASMSTART
	v_dot2_f32_f16 v9, v27, v11, v9
	;;#ASMEND
	;; [unrolled: 3-line block ×8, first 2 shown]
	ds_load_b128 v[0:3], v136 offset:16
	ds_load_b128 v[10:13], v135 offset:16
	;; [unrolled: 1-line block ×6, first 2 shown]
	s_wait_dscnt 0x4
	;;#ASMSTART
	v_dot2_f32_f16 v6, v0, v10, v6
	;;#ASMEND
	;;#ASMSTART
	v_dot2_f32_f16 v6, v1, v11, v6
	;;#ASMEND
	;;#ASMSTART
	v_dot2_f32_f16 v6, v2, v12, v6
	;;#ASMEND
	;;#ASMSTART
	v_dot2_f32_f16 v6, v3, v13, v6
	;;#ASMEND
	s_wait_dscnt 0x3
	;;#ASMSTART
	v_dot2_f32_f16 v57, v0, v14, v57
	;;#ASMEND
	;;#ASMSTART
	v_dot2_f32_f16 v57, v1, v15, v57
	;;#ASMEND
	;;#ASMSTART
	v_dot2_f32_f16 v57, v2, v16, v57
	;;#ASMEND
	;;#ASMSTART
	v_dot2_f32_f16 v57, v3, v17, v57
	;;#ASMEND
	;; [unrolled: 13-line block ×3, first 2 shown]
	;;#ASMSTART
	v_dot2_f32_f16 v58, v18, v14, v58
	;;#ASMEND
	;;#ASMSTART
	v_dot2_f32_f16 v58, v19, v15, v58
	;;#ASMEND
	;; [unrolled: 3-line block ×4, first 2 shown]
	s_wait_dscnt 0x1
	;;#ASMSTART
	v_dot2_f32_f16 v8, v22, v10, v8
	;;#ASMEND
	;;#ASMSTART
	v_dot2_f32_f16 v8, v23, v11, v8
	;;#ASMEND
	;; [unrolled: 3-line block ×8, first 2 shown]
	s_wait_dscnt 0x0
	;;#ASMSTART
	v_dot2_f32_f16 v9, v26, v10, v9
	;;#ASMEND
	;;#ASMSTART
	v_dot2_f32_f16 v9, v27, v11, v9
	;;#ASMEND
	;; [unrolled: 3-line block ×8, first 2 shown]
	ds_load_b128 v[0:3], v136 offset:32
	ds_load_b128 v[10:13], v135 offset:32
	;; [unrolled: 1-line block ×6, first 2 shown]
	s_wait_dscnt 0x4
	;;#ASMSTART
	v_dot2_f32_f16 v6, v0, v10, v6
	;;#ASMEND
	;;#ASMSTART
	v_dot2_f32_f16 v6, v1, v11, v6
	;;#ASMEND
	;;#ASMSTART
	v_dot2_f32_f16 v6, v2, v12, v6
	;;#ASMEND
	;;#ASMSTART
	v_dot2_f32_f16 v6, v3, v13, v6
	;;#ASMEND
	s_wait_dscnt 0x3
	;;#ASMSTART
	v_dot2_f32_f16 v57, v0, v14, v57
	;;#ASMEND
	;;#ASMSTART
	v_dot2_f32_f16 v57, v1, v15, v57
	;;#ASMEND
	;;#ASMSTART
	v_dot2_f32_f16 v57, v2, v16, v57
	;;#ASMEND
	;;#ASMSTART
	v_dot2_f32_f16 v57, v3, v17, v57
	;;#ASMEND
	;; [unrolled: 13-line block ×3, first 2 shown]
	;;#ASMSTART
	v_dot2_f32_f16 v58, v18, v14, v58
	;;#ASMEND
	;;#ASMSTART
	v_dot2_f32_f16 v58, v19, v15, v58
	;;#ASMEND
	;; [unrolled: 3-line block ×4, first 2 shown]
	s_wait_dscnt 0x1
	;;#ASMSTART
	v_dot2_f32_f16 v8, v22, v10, v8
	;;#ASMEND
	;;#ASMSTART
	v_dot2_f32_f16 v8, v23, v11, v8
	;;#ASMEND
	;; [unrolled: 3-line block ×8, first 2 shown]
	s_wait_dscnt 0x0
	;;#ASMSTART
	v_dot2_f32_f16 v9, v26, v10, v9
	;;#ASMEND
	;;#ASMSTART
	v_dot2_f32_f16 v9, v27, v11, v9
	;;#ASMEND
	;; [unrolled: 3-line block ×8, first 2 shown]
	ds_load_b128 v[0:3], v136 offset:48
	ds_load_b128 v[10:13], v135 offset:48
	;; [unrolled: 1-line block ×6, first 2 shown]
	s_wait_dscnt 0x4
	;;#ASMSTART
	v_dot2_f32_f16 v6, v0, v10, v6
	;;#ASMEND
	;;#ASMSTART
	v_dot2_f32_f16 v6, v1, v11, v6
	;;#ASMEND
	;;#ASMSTART
	v_dot2_f32_f16 v6, v2, v12, v6
	;;#ASMEND
	;;#ASMSTART
	v_dot2_f32_f16 v6, v3, v13, v6
	;;#ASMEND
	s_wait_dscnt 0x3
	;;#ASMSTART
	v_dot2_f32_f16 v57, v0, v14, v57
	;;#ASMEND
	;;#ASMSTART
	v_dot2_f32_f16 v57, v1, v15, v57
	;;#ASMEND
	;;#ASMSTART
	v_dot2_f32_f16 v57, v2, v16, v57
	;;#ASMEND
	;;#ASMSTART
	v_dot2_f32_f16 v57, v3, v17, v57
	;;#ASMEND
	;; [unrolled: 13-line block ×3, first 2 shown]
	;;#ASMSTART
	v_dot2_f32_f16 v58, v18, v14, v58
	;;#ASMEND
	;;#ASMSTART
	v_dot2_f32_f16 v58, v19, v15, v58
	;;#ASMEND
	;; [unrolled: 3-line block ×4, first 2 shown]
	s_wait_dscnt 0x1
	;;#ASMSTART
	v_dot2_f32_f16 v8, v22, v10, v8
	;;#ASMEND
	;;#ASMSTART
	v_dot2_f32_f16 v8, v23, v11, v8
	;;#ASMEND
	;; [unrolled: 3-line block ×8, first 2 shown]
	s_wait_dscnt 0x0
	;;#ASMSTART
	v_dot2_f32_f16 v9, v26, v10, v9
	;;#ASMEND
	;;#ASMSTART
	v_dot2_f32_f16 v9, v27, v11, v9
	;;#ASMEND
	;; [unrolled: 3-line block ×8, first 2 shown]
	ds_load_b128 v[0:3], v136 offset:64
	ds_load_b128 v[10:13], v135 offset:64
	;; [unrolled: 1-line block ×6, first 2 shown]
	s_wait_dscnt 0x4
	;;#ASMSTART
	v_dot2_f32_f16 v6, v0, v10, v6
	;;#ASMEND
	;;#ASMSTART
	v_dot2_f32_f16 v6, v1, v11, v6
	;;#ASMEND
	;;#ASMSTART
	v_dot2_f32_f16 v6, v2, v12, v6
	;;#ASMEND
	;;#ASMSTART
	v_dot2_f32_f16 v6, v3, v13, v6
	;;#ASMEND
	s_wait_dscnt 0x3
	;;#ASMSTART
	v_dot2_f32_f16 v57, v0, v14, v57
	;;#ASMEND
	;;#ASMSTART
	v_dot2_f32_f16 v57, v1, v15, v57
	;;#ASMEND
	;;#ASMSTART
	v_dot2_f32_f16 v57, v2, v16, v57
	;;#ASMEND
	;;#ASMSTART
	v_dot2_f32_f16 v57, v3, v17, v57
	;;#ASMEND
	;; [unrolled: 13-line block ×3, first 2 shown]
	;;#ASMSTART
	v_dot2_f32_f16 v58, v18, v14, v58
	;;#ASMEND
	;;#ASMSTART
	v_dot2_f32_f16 v58, v19, v15, v58
	;;#ASMEND
	;; [unrolled: 3-line block ×4, first 2 shown]
	s_wait_dscnt 0x1
	;;#ASMSTART
	v_dot2_f32_f16 v8, v22, v10, v8
	;;#ASMEND
	;;#ASMSTART
	v_dot2_f32_f16 v8, v23, v11, v8
	;;#ASMEND
	;; [unrolled: 3-line block ×8, first 2 shown]
	s_wait_dscnt 0x0
	;;#ASMSTART
	v_dot2_f32_f16 v9, v26, v10, v9
	;;#ASMEND
	;;#ASMSTART
	v_dot2_f32_f16 v9, v27, v11, v9
	;;#ASMEND
	;;#ASMSTART
	v_dot2_f32_f16 v9, v28, v12, v9
	;;#ASMEND
	;;#ASMSTART
	v_dot2_f32_f16 v9, v29, v13, v9
	;;#ASMEND
	;;#ASMSTART
	v_dot2_f32_f16 v60, v26, v14, v60
	;;#ASMEND
	;;#ASMSTART
	v_dot2_f32_f16 v60, v27, v15, v60
	;;#ASMEND
	;;#ASMSTART
	v_dot2_f32_f16 v60, v28, v16, v60
	;;#ASMEND
	;;#ASMSTART
	v_dot2_f32_f16 v60, v29, v17, v60
	;;#ASMEND
	ds_load_b128 v[0:3], v136 offset:80
	ds_load_b128 v[10:13], v135 offset:80
	;; [unrolled: 1-line block ×6, first 2 shown]
	s_wait_dscnt 0x4
	;;#ASMSTART
	v_dot2_f32_f16 v6, v0, v10, v6
	;;#ASMEND
	;;#ASMSTART
	v_dot2_f32_f16 v6, v1, v11, v6
	;;#ASMEND
	;;#ASMSTART
	v_dot2_f32_f16 v6, v2, v12, v6
	;;#ASMEND
	;;#ASMSTART
	v_dot2_f32_f16 v6, v3, v13, v6
	;;#ASMEND
	s_wait_dscnt 0x3
	;;#ASMSTART
	v_dot2_f32_f16 v57, v0, v14, v57
	;;#ASMEND
	;;#ASMSTART
	v_dot2_f32_f16 v57, v1, v15, v57
	;;#ASMEND
	;;#ASMSTART
	v_dot2_f32_f16 v57, v2, v16, v57
	;;#ASMEND
	;;#ASMSTART
	v_dot2_f32_f16 v57, v3, v17, v57
	;;#ASMEND
	s_wait_dscnt 0x2
	;;#ASMSTART
	v_dot2_f32_f16 v7, v18, v10, v7
	;;#ASMEND
	;;#ASMSTART
	v_dot2_f32_f16 v7, v19, v11, v7
	;;#ASMEND
	;;#ASMSTART
	v_dot2_f32_f16 v7, v20, v12, v7
	;;#ASMEND
	;;#ASMSTART
	v_dot2_f32_f16 v7, v21, v13, v7
	;;#ASMEND
	;;#ASMSTART
	v_dot2_f32_f16 v58, v18, v14, v58
	;;#ASMEND
	;;#ASMSTART
	v_dot2_f32_f16 v58, v19, v15, v58
	;;#ASMEND
	;; [unrolled: 3-line block ×4, first 2 shown]
	s_wait_dscnt 0x1
	;;#ASMSTART
	v_dot2_f32_f16 v8, v22, v10, v8
	;;#ASMEND
	;;#ASMSTART
	v_dot2_f32_f16 v8, v23, v11, v8
	;;#ASMEND
	;; [unrolled: 3-line block ×8, first 2 shown]
	s_wait_dscnt 0x0
	;;#ASMSTART
	v_dot2_f32_f16 v9, v26, v10, v9
	;;#ASMEND
	;;#ASMSTART
	v_dot2_f32_f16 v9, v27, v11, v9
	;;#ASMEND
	;; [unrolled: 3-line block ×8, first 2 shown]
	ds_load_b128 v[0:3], v136 offset:96
	ds_load_b128 v[10:13], v135 offset:96
	;; [unrolled: 1-line block ×6, first 2 shown]
	s_wait_dscnt 0x4
	;;#ASMSTART
	v_dot2_f32_f16 v6, v0, v10, v6
	;;#ASMEND
	;;#ASMSTART
	v_dot2_f32_f16 v6, v1, v11, v6
	;;#ASMEND
	;;#ASMSTART
	v_dot2_f32_f16 v6, v2, v12, v6
	;;#ASMEND
	;;#ASMSTART
	v_dot2_f32_f16 v6, v3, v13, v6
	;;#ASMEND
	s_wait_dscnt 0x3
	;;#ASMSTART
	v_dot2_f32_f16 v57, v0, v14, v57
	;;#ASMEND
	;;#ASMSTART
	v_dot2_f32_f16 v57, v1, v15, v57
	;;#ASMEND
	;;#ASMSTART
	v_dot2_f32_f16 v57, v2, v16, v57
	;;#ASMEND
	;;#ASMSTART
	v_dot2_f32_f16 v57, v3, v17, v57
	;;#ASMEND
	;; [unrolled: 13-line block ×3, first 2 shown]
	;;#ASMSTART
	v_dot2_f32_f16 v58, v18, v14, v58
	;;#ASMEND
	;;#ASMSTART
	v_dot2_f32_f16 v58, v19, v15, v58
	;;#ASMEND
	;; [unrolled: 3-line block ×4, first 2 shown]
	s_wait_dscnt 0x1
	;;#ASMSTART
	v_dot2_f32_f16 v8, v22, v10, v8
	;;#ASMEND
	;;#ASMSTART
	v_dot2_f32_f16 v8, v23, v11, v8
	;;#ASMEND
	;; [unrolled: 3-line block ×8, first 2 shown]
	s_wait_dscnt 0x0
	;;#ASMSTART
	v_dot2_f32_f16 v9, v26, v10, v9
	;;#ASMEND
	;;#ASMSTART
	v_dot2_f32_f16 v9, v27, v11, v9
	;;#ASMEND
	;; [unrolled: 3-line block ×8, first 2 shown]
	ds_load_b128 v[0:3], v136 offset:112
	ds_load_b128 v[10:13], v135 offset:112
	;; [unrolled: 1-line block ×6, first 2 shown]
	s_wait_dscnt 0x4
	;;#ASMSTART
	v_dot2_f32_f16 v6, v0, v10, v6
	;;#ASMEND
	;;#ASMSTART
	v_dot2_f32_f16 v6, v1, v11, v6
	;;#ASMEND
	;;#ASMSTART
	v_dot2_f32_f16 v6, v2, v12, v6
	;;#ASMEND
	;;#ASMSTART
	v_dot2_f32_f16 v6, v3, v13, v6
	;;#ASMEND
	s_wait_dscnt 0x3
	;;#ASMSTART
	v_dot2_f32_f16 v57, v0, v14, v57
	;;#ASMEND
	;;#ASMSTART
	v_dot2_f32_f16 v57, v1, v15, v57
	;;#ASMEND
	;;#ASMSTART
	v_dot2_f32_f16 v57, v2, v16, v57
	;;#ASMEND
	;;#ASMSTART
	v_dot2_f32_f16 v57, v3, v17, v57
	;;#ASMEND
	;; [unrolled: 13-line block ×3, first 2 shown]
	;;#ASMSTART
	v_dot2_f32_f16 v58, v18, v14, v58
	;;#ASMEND
	;;#ASMSTART
	v_dot2_f32_f16 v58, v19, v15, v58
	;;#ASMEND
	;; [unrolled: 3-line block ×4, first 2 shown]
	s_wait_dscnt 0x1
	;;#ASMSTART
	v_dot2_f32_f16 v8, v22, v10, v8
	;;#ASMEND
	;;#ASMSTART
	v_dot2_f32_f16 v8, v23, v11, v8
	;;#ASMEND
	;;#ASMSTART
	v_dot2_f32_f16 v8, v24, v12, v8
	;;#ASMEND
	;;#ASMSTART
	v_dot2_f32_f16 v8, v25, v13, v8
	;;#ASMEND
	;;#ASMSTART
	v_dot2_f32_f16 v59, v22, v14, v59
	;;#ASMEND
	;;#ASMSTART
	v_dot2_f32_f16 v59, v23, v15, v59
	;;#ASMEND
	;;#ASMSTART
	v_dot2_f32_f16 v59, v24, v16, v59
	;;#ASMEND
	;;#ASMSTART
	v_dot2_f32_f16 v59, v25, v17, v59
	;;#ASMEND
	s_wait_dscnt 0x0
	;;#ASMSTART
	v_dot2_f32_f16 v9, v26, v10, v9
	;;#ASMEND
	;;#ASMSTART
	v_dot2_f32_f16 v9, v27, v11, v9
	;;#ASMEND
	;; [unrolled: 3-line block ×8, first 2 shown]
	ds_load_b128 v[0:3], v136 offset:128
	ds_load_b128 v[10:13], v135 offset:128
	;; [unrolled: 1-line block ×6, first 2 shown]
	s_wait_dscnt 0x4
	;;#ASMSTART
	v_dot2_f32_f16 v6, v0, v10, v6
	;;#ASMEND
	;;#ASMSTART
	v_dot2_f32_f16 v6, v1, v11, v6
	;;#ASMEND
	;;#ASMSTART
	v_dot2_f32_f16 v6, v2, v12, v6
	;;#ASMEND
	;;#ASMSTART
	v_dot2_f32_f16 v6, v3, v13, v6
	;;#ASMEND
	s_wait_dscnt 0x3
	;;#ASMSTART
	v_dot2_f32_f16 v57, v0, v14, v57
	;;#ASMEND
	;;#ASMSTART
	v_dot2_f32_f16 v57, v1, v15, v57
	;;#ASMEND
	;;#ASMSTART
	v_dot2_f32_f16 v57, v2, v16, v57
	;;#ASMEND
	;;#ASMSTART
	v_dot2_f32_f16 v57, v3, v17, v57
	;;#ASMEND
	;; [unrolled: 13-line block ×3, first 2 shown]
	;;#ASMSTART
	v_dot2_f32_f16 v58, v18, v14, v58
	;;#ASMEND
	;;#ASMSTART
	v_dot2_f32_f16 v58, v19, v15, v58
	;;#ASMEND
	;; [unrolled: 3-line block ×4, first 2 shown]
	s_wait_dscnt 0x1
	;;#ASMSTART
	v_dot2_f32_f16 v8, v22, v10, v8
	;;#ASMEND
	;;#ASMSTART
	v_dot2_f32_f16 v8, v23, v11, v8
	;;#ASMEND
	;; [unrolled: 3-line block ×8, first 2 shown]
	s_wait_dscnt 0x0
	;;#ASMSTART
	v_dot2_f32_f16 v9, v26, v10, v9
	;;#ASMEND
	;;#ASMSTART
	v_dot2_f32_f16 v9, v27, v11, v9
	;;#ASMEND
	;; [unrolled: 3-line block ×8, first 2 shown]
	ds_load_b128 v[0:3], v136 offset:144
	ds_load_b128 v[10:13], v135 offset:144
	;; [unrolled: 1-line block ×6, first 2 shown]
	s_wait_dscnt 0x4
	;;#ASMSTART
	v_dot2_f32_f16 v6, v0, v10, v6
	;;#ASMEND
	;;#ASMSTART
	v_dot2_f32_f16 v6, v1, v11, v6
	;;#ASMEND
	;;#ASMSTART
	v_dot2_f32_f16 v6, v2, v12, v6
	;;#ASMEND
	;;#ASMSTART
	v_dot2_f32_f16 v6, v3, v13, v6
	;;#ASMEND
	s_wait_dscnt 0x3
	;;#ASMSTART
	v_dot2_f32_f16 v57, v0, v14, v57
	;;#ASMEND
	;;#ASMSTART
	v_dot2_f32_f16 v57, v1, v15, v57
	;;#ASMEND
	;;#ASMSTART
	v_dot2_f32_f16 v57, v2, v16, v57
	;;#ASMEND
	;;#ASMSTART
	v_dot2_f32_f16 v57, v3, v17, v57
	;;#ASMEND
	;; [unrolled: 13-line block ×3, first 2 shown]
	;;#ASMSTART
	v_dot2_f32_f16 v58, v18, v14, v58
	;;#ASMEND
	;;#ASMSTART
	v_dot2_f32_f16 v58, v19, v15, v58
	;;#ASMEND
	;; [unrolled: 3-line block ×4, first 2 shown]
	s_wait_dscnt 0x1
	;;#ASMSTART
	v_dot2_f32_f16 v8, v22, v10, v8
	;;#ASMEND
	;;#ASMSTART
	v_dot2_f32_f16 v8, v23, v11, v8
	;;#ASMEND
	;; [unrolled: 3-line block ×8, first 2 shown]
	s_wait_dscnt 0x0
	;;#ASMSTART
	v_dot2_f32_f16 v9, v26, v10, v9
	;;#ASMEND
	;;#ASMSTART
	v_dot2_f32_f16 v9, v27, v11, v9
	;;#ASMEND
	;; [unrolled: 3-line block ×8, first 2 shown]
	ds_load_b128 v[0:3], v136 offset:160
	ds_load_b128 v[10:13], v135 offset:160
	;; [unrolled: 1-line block ×6, first 2 shown]
	s_wait_dscnt 0x4
	;;#ASMSTART
	v_dot2_f32_f16 v6, v0, v10, v6
	;;#ASMEND
	;;#ASMSTART
	v_dot2_f32_f16 v6, v1, v11, v6
	;;#ASMEND
	;;#ASMSTART
	v_dot2_f32_f16 v6, v2, v12, v6
	;;#ASMEND
	;;#ASMSTART
	v_dot2_f32_f16 v6, v3, v13, v6
	;;#ASMEND
	s_wait_dscnt 0x3
	;;#ASMSTART
	v_dot2_f32_f16 v57, v0, v14, v57
	;;#ASMEND
	;;#ASMSTART
	v_dot2_f32_f16 v57, v1, v15, v57
	;;#ASMEND
	;;#ASMSTART
	v_dot2_f32_f16 v57, v2, v16, v57
	;;#ASMEND
	;;#ASMSTART
	v_dot2_f32_f16 v57, v3, v17, v57
	;;#ASMEND
	;; [unrolled: 13-line block ×3, first 2 shown]
	;;#ASMSTART
	v_dot2_f32_f16 v58, v18, v14, v58
	;;#ASMEND
	;;#ASMSTART
	v_dot2_f32_f16 v58, v19, v15, v58
	;;#ASMEND
	;; [unrolled: 3-line block ×4, first 2 shown]
	s_wait_dscnt 0x1
	;;#ASMSTART
	v_dot2_f32_f16 v8, v22, v10, v8
	;;#ASMEND
	;;#ASMSTART
	v_dot2_f32_f16 v8, v23, v11, v8
	;;#ASMEND
	;; [unrolled: 3-line block ×8, first 2 shown]
	s_wait_dscnt 0x0
	;;#ASMSTART
	v_dot2_f32_f16 v9, v26, v10, v9
	;;#ASMEND
	;;#ASMSTART
	v_dot2_f32_f16 v9, v27, v11, v9
	;;#ASMEND
	;; [unrolled: 3-line block ×8, first 2 shown]
	ds_load_b128 v[0:3], v136 offset:176
	ds_load_b128 v[10:13], v135 offset:176
	ds_load_b128 v[14:17], v135 offset:432
	ds_load_b128 v[18:21], v136 offset:8880
	ds_load_b128 v[22:25], v136 offset:17584
	ds_load_b128 v[26:29], v136 offset:26288
	s_wait_dscnt 0x4
	;;#ASMSTART
	v_dot2_f32_f16 v6, v0, v10, v6
	;;#ASMEND
	;;#ASMSTART
	v_dot2_f32_f16 v6, v1, v11, v6
	;;#ASMEND
	;;#ASMSTART
	v_dot2_f32_f16 v6, v2, v12, v6
	;;#ASMEND
	;;#ASMSTART
	v_dot2_f32_f16 v6, v3, v13, v6
	;;#ASMEND
	s_wait_dscnt 0x3
	;;#ASMSTART
	v_dot2_f32_f16 v57, v0, v14, v57
	;;#ASMEND
	;;#ASMSTART
	v_dot2_f32_f16 v57, v1, v15, v57
	;;#ASMEND
	;;#ASMSTART
	v_dot2_f32_f16 v57, v2, v16, v57
	;;#ASMEND
	;;#ASMSTART
	v_dot2_f32_f16 v57, v3, v17, v57
	;;#ASMEND
	s_wait_dscnt 0x2
	;;#ASMSTART
	v_dot2_f32_f16 v7, v18, v10, v7
	;;#ASMEND
	;;#ASMSTART
	v_dot2_f32_f16 v7, v19, v11, v7
	;;#ASMEND
	;;#ASMSTART
	v_dot2_f32_f16 v7, v20, v12, v7
	;;#ASMEND
	;;#ASMSTART
	v_dot2_f32_f16 v7, v21, v13, v7
	;;#ASMEND
	;;#ASMSTART
	v_dot2_f32_f16 v58, v18, v14, v58
	;;#ASMEND
	;;#ASMSTART
	v_dot2_f32_f16 v58, v19, v15, v58
	;;#ASMEND
	;; [unrolled: 3-line block ×4, first 2 shown]
	s_wait_dscnt 0x1
	;;#ASMSTART
	v_dot2_f32_f16 v8, v22, v10, v8
	;;#ASMEND
	;;#ASMSTART
	v_dot2_f32_f16 v8, v23, v11, v8
	;;#ASMEND
	;; [unrolled: 3-line block ×8, first 2 shown]
	s_wait_dscnt 0x0
	;;#ASMSTART
	v_dot2_f32_f16 v9, v26, v10, v9
	;;#ASMEND
	;;#ASMSTART
	v_dot2_f32_f16 v9, v27, v11, v9
	;;#ASMEND
	;; [unrolled: 3-line block ×8, first 2 shown]
	ds_load_b128 v[0:3], v136 offset:192
	ds_load_b128 v[10:13], v135 offset:192
	;; [unrolled: 1-line block ×6, first 2 shown]
	s_wait_dscnt 0x4
	;;#ASMSTART
	v_dot2_f32_f16 v6, v0, v10, v6
	;;#ASMEND
	;;#ASMSTART
	v_dot2_f32_f16 v6, v1, v11, v6
	;;#ASMEND
	;;#ASMSTART
	v_dot2_f32_f16 v6, v2, v12, v6
	;;#ASMEND
	;;#ASMSTART
	v_dot2_f32_f16 v6, v3, v13, v6
	;;#ASMEND
	s_wait_dscnt 0x3
	;;#ASMSTART
	v_dot2_f32_f16 v57, v0, v14, v57
	;;#ASMEND
	;;#ASMSTART
	v_dot2_f32_f16 v57, v1, v15, v57
	;;#ASMEND
	;;#ASMSTART
	v_dot2_f32_f16 v57, v2, v16, v57
	;;#ASMEND
	;;#ASMSTART
	v_dot2_f32_f16 v57, v3, v17, v57
	;;#ASMEND
	;; [unrolled: 13-line block ×3, first 2 shown]
	;;#ASMSTART
	v_dot2_f32_f16 v58, v18, v14, v58
	;;#ASMEND
	;;#ASMSTART
	v_dot2_f32_f16 v58, v19, v15, v58
	;;#ASMEND
	;; [unrolled: 3-line block ×4, first 2 shown]
	s_wait_dscnt 0x1
	;;#ASMSTART
	v_dot2_f32_f16 v8, v22, v10, v8
	;;#ASMEND
	;;#ASMSTART
	v_dot2_f32_f16 v8, v23, v11, v8
	;;#ASMEND
	;; [unrolled: 3-line block ×8, first 2 shown]
	s_wait_dscnt 0x0
	;;#ASMSTART
	v_dot2_f32_f16 v9, v26, v10, v9
	;;#ASMEND
	;;#ASMSTART
	v_dot2_f32_f16 v9, v27, v11, v9
	;;#ASMEND
	;; [unrolled: 3-line block ×8, first 2 shown]
	ds_load_b128 v[0:3], v136 offset:208
	ds_load_b128 v[10:13], v135 offset:208
	;; [unrolled: 1-line block ×6, first 2 shown]
	s_wait_dscnt 0x4
	;;#ASMSTART
	v_dot2_f32_f16 v6, v0, v10, v6
	;;#ASMEND
	;;#ASMSTART
	v_dot2_f32_f16 v6, v1, v11, v6
	;;#ASMEND
	;;#ASMSTART
	v_dot2_f32_f16 v6, v2, v12, v6
	;;#ASMEND
	;;#ASMSTART
	v_dot2_f32_f16 v6, v3, v13, v6
	;;#ASMEND
	s_wait_dscnt 0x3
	;;#ASMSTART
	v_dot2_f32_f16 v57, v0, v14, v57
	;;#ASMEND
	;;#ASMSTART
	v_dot2_f32_f16 v57, v1, v15, v57
	;;#ASMEND
	;;#ASMSTART
	v_dot2_f32_f16 v57, v2, v16, v57
	;;#ASMEND
	;;#ASMSTART
	v_dot2_f32_f16 v57, v3, v17, v57
	;;#ASMEND
	;; [unrolled: 13-line block ×3, first 2 shown]
	;;#ASMSTART
	v_dot2_f32_f16 v58, v18, v14, v58
	;;#ASMEND
	;;#ASMSTART
	v_dot2_f32_f16 v58, v19, v15, v58
	;;#ASMEND
	;; [unrolled: 3-line block ×4, first 2 shown]
	s_wait_dscnt 0x1
	;;#ASMSTART
	v_dot2_f32_f16 v8, v22, v10, v8
	;;#ASMEND
	;;#ASMSTART
	v_dot2_f32_f16 v8, v23, v11, v8
	;;#ASMEND
	;;#ASMSTART
	v_dot2_f32_f16 v8, v24, v12, v8
	;;#ASMEND
	;;#ASMSTART
	v_dot2_f32_f16 v8, v25, v13, v8
	;;#ASMEND
	;;#ASMSTART
	v_dot2_f32_f16 v59, v22, v14, v59
	;;#ASMEND
	;;#ASMSTART
	v_dot2_f32_f16 v59, v23, v15, v59
	;;#ASMEND
	;;#ASMSTART
	v_dot2_f32_f16 v59, v24, v16, v59
	;;#ASMEND
	;;#ASMSTART
	v_dot2_f32_f16 v59, v25, v17, v59
	;;#ASMEND
	s_wait_dscnt 0x0
	;;#ASMSTART
	v_dot2_f32_f16 v9, v26, v10, v9
	;;#ASMEND
	;;#ASMSTART
	v_dot2_f32_f16 v9, v27, v11, v9
	;;#ASMEND
	;; [unrolled: 3-line block ×8, first 2 shown]
	ds_load_b128 v[0:3], v136 offset:224
	ds_load_b128 v[10:13], v135 offset:224
	ds_load_b128 v[14:17], v135 offset:480
	ds_load_b128 v[18:21], v136 offset:8928
	ds_load_b128 v[22:25], v136 offset:17632
	ds_load_b128 v[26:29], v136 offset:26336
	s_wait_dscnt 0x4
	;;#ASMSTART
	v_dot2_f32_f16 v6, v0, v10, v6
	;;#ASMEND
	;;#ASMSTART
	v_dot2_f32_f16 v6, v1, v11, v6
	;;#ASMEND
	;;#ASMSTART
	v_dot2_f32_f16 v6, v2, v12, v6
	;;#ASMEND
	;;#ASMSTART
	v_dot2_f32_f16 v6, v3, v13, v6
	;;#ASMEND
	s_wait_dscnt 0x3
	;;#ASMSTART
	v_dot2_f32_f16 v57, v0, v14, v57
	;;#ASMEND
	;;#ASMSTART
	v_dot2_f32_f16 v57, v1, v15, v57
	;;#ASMEND
	;;#ASMSTART
	v_dot2_f32_f16 v57, v2, v16, v57
	;;#ASMEND
	;;#ASMSTART
	v_dot2_f32_f16 v57, v3, v17, v57
	;;#ASMEND
	;; [unrolled: 13-line block ×3, first 2 shown]
	;;#ASMSTART
	v_dot2_f32_f16 v58, v18, v14, v58
	;;#ASMEND
	;;#ASMSTART
	v_dot2_f32_f16 v58, v19, v15, v58
	;;#ASMEND
	;; [unrolled: 3-line block ×4, first 2 shown]
	s_wait_dscnt 0x1
	;;#ASMSTART
	v_dot2_f32_f16 v8, v22, v10, v8
	;;#ASMEND
	;;#ASMSTART
	v_dot2_f32_f16 v8, v23, v11, v8
	;;#ASMEND
	;; [unrolled: 3-line block ×8, first 2 shown]
	s_wait_dscnt 0x0
	;;#ASMSTART
	v_dot2_f32_f16 v9, v26, v10, v9
	;;#ASMEND
	;;#ASMSTART
	v_dot2_f32_f16 v9, v27, v11, v9
	;;#ASMEND
	;; [unrolled: 3-line block ×8, first 2 shown]
	ds_load_b128 v[0:3], v136 offset:240
	ds_load_b128 v[10:13], v135 offset:240
	;; [unrolled: 1-line block ×6, first 2 shown]
	s_wait_dscnt 0x4
	;;#ASMSTART
	v_dot2_f32_f16 v6, v0, v10, v6
	;;#ASMEND
	;;#ASMSTART
	v_dot2_f32_f16 v6, v1, v11, v6
	;;#ASMEND
	;;#ASMSTART
	v_dot2_f32_f16 v6, v2, v12, v6
	;;#ASMEND
	;;#ASMSTART
	v_dot2_f32_f16 v6, v3, v13, v6
	;;#ASMEND
	s_wait_dscnt 0x3
	;;#ASMSTART
	v_dot2_f32_f16 v57, v0, v14, v57
	;;#ASMEND
	;;#ASMSTART
	v_dot2_f32_f16 v57, v1, v15, v57
	;;#ASMEND
	;;#ASMSTART
	v_dot2_f32_f16 v57, v2, v16, v57
	;;#ASMEND
	;;#ASMSTART
	v_dot2_f32_f16 v57, v3, v17, v57
	;;#ASMEND
	;; [unrolled: 13-line block ×3, first 2 shown]
	;;#ASMSTART
	v_dot2_f32_f16 v58, v18, v14, v58
	;;#ASMEND
	;;#ASMSTART
	v_dot2_f32_f16 v58, v19, v15, v58
	;;#ASMEND
	;; [unrolled: 3-line block ×4, first 2 shown]
	s_wait_dscnt 0x1
	;;#ASMSTART
	v_dot2_f32_f16 v8, v22, v10, v8
	;;#ASMEND
	;;#ASMSTART
	v_dot2_f32_f16 v8, v23, v11, v8
	;;#ASMEND
	;; [unrolled: 3-line block ×8, first 2 shown]
	s_wait_dscnt 0x0
	;;#ASMSTART
	v_dot2_f32_f16 v9, v26, v10, v9
	;;#ASMEND
	v_cmp_ngt_f32_e64 s24, 0x3f200000, |v6|
	;;#ASMSTART
	v_dot2_f32_f16 v9, v27, v11, v9
	;;#ASMEND
	;;#ASMSTART
	v_dot2_f32_f16 v9, v28, v12, v9
	;;#ASMEND
	;; [unrolled: 3-line block ×7, first 2 shown]
                                        ; implicit-def: $vgpr2
	s_and_saveexec_b32 s25, s24
	s_delay_alu instid0(SALU_CYCLE_1)
	s_xor_b32 s24, exec_lo, s25
	s_cbranch_execz .LBB77_11
; %bb.10:                               ;   in Loop: Header=BB77_9 Depth=1
	v_add_f32_e64 v0, |v6|, |v6|
	s_delay_alu instid0(VALU_DEP_1) | instskip(SKIP_1) | instid1(VALU_DEP_2)
	v_mul_f32_e32 v1, 0x3fb8aa3b, v0
	v_cmp_ngt_f32_e32 vcc_lo, 0xc2ce8ed0, v0
	v_rndne_f32_e32 v2, v1
	v_fma_f32 v3, 0x3fb8aa3b, v0, -v1
	s_delay_alu instid0(VALU_DEP_2) | instskip(NEXT) | instid1(VALU_DEP_2)
	v_sub_f32_e32 v1, v1, v2
	v_fmac_f32_e32 v3, 0x32a5705f, v0
	v_cvt_i32_f32_e32 v2, v2
	s_delay_alu instid0(VALU_DEP_2) | instskip(NEXT) | instid1(VALU_DEP_1)
	v_add_f32_e32 v1, v1, v3
	v_exp_f32_e32 v1, v1
	v_nop
	s_delay_alu instid0(TRANS32_DEP_1) | instskip(NEXT) | instid1(VALU_DEP_1)
	v_ldexp_f32 v1, v1, v2
	v_cndmask_b32_e32 v1, 0, v1, vcc_lo
	v_cmp_nlt_f32_e32 vcc_lo, 0x42b17218, v0
	s_delay_alu instid0(VALU_DEP_2) | instskip(NEXT) | instid1(VALU_DEP_1)
	v_cndmask_b32_e32 v0, 0x7f800000, v1, vcc_lo
	v_add_f32_e32 v0, 1.0, v0
	s_delay_alu instid0(VALU_DEP_1) | instskip(SKIP_1) | instid1(TRANS32_DEP_1)
	v_rcp_f32_e32 v0, v0
	v_nop
	v_fma_f32 v2, v0, -2.0, 1.0
.LBB77_11:                              ;   in Loop: Header=BB77_9 Depth=1
	s_and_not1_saveexec_b32 s24, s24
	s_cbranch_execz .LBB77_13
; %bb.12:                               ;   in Loop: Header=BB77_9 Depth=1
	v_mul_f32_e32 v0, v6, v6
	s_delay_alu instid0(VALU_DEP_1) | instskip(NEXT) | instid1(VALU_DEP_1)
	v_fmaak_f32 v1, s3, v0, 0x3ca908c9
	v_fmaak_f32 v1, v0, v1, 0xbd5c1c4e
	s_delay_alu instid0(VALU_DEP_1) | instskip(NEXT) | instid1(VALU_DEP_1)
	v_fmaak_f32 v1, v0, v1, 0x3e088382
	v_fmaak_f32 v1, v0, v1, 0xbeaaaa99
	s_delay_alu instid0(VALU_DEP_1) | instskip(NEXT) | instid1(VALU_DEP_1)
	v_mul_f32_e64 v1, |v6|, v1
	v_fma_f32 v2, v0, v1, |v6|
.LBB77_13:                              ;   in Loop: Header=BB77_9 Depth=1
	s_or_b32 exec_lo, exec_lo, s24
	v_add_nc_u32_e32 v0, s4, v138
	v_cmp_ngt_f32_e64 s24, 0x3f200000, |v7|
                                        ; implicit-def: $vgpr3
	global_load_u16 v42, v0, s[30:31] scale_offset
	s_wait_xcnt 0x0
	s_and_saveexec_b32 s25, s24
	s_delay_alu instid0(SALU_CYCLE_1)
	s_xor_b32 s24, exec_lo, s25
	s_cbranch_execz .LBB77_15
; %bb.14:                               ;   in Loop: Header=BB77_9 Depth=1
	v_add_f32_e64 v1, |v7|, |v7|
	s_delay_alu instid0(VALU_DEP_1) | instskip(SKIP_1) | instid1(VALU_DEP_2)
	v_mul_f32_e32 v3, 0x3fb8aa3b, v1
	v_cmp_ngt_f32_e32 vcc_lo, 0xc2ce8ed0, v1
	v_rndne_f32_e32 v4, v3
	v_fma_f32 v5, 0x3fb8aa3b, v1, -v3
	s_delay_alu instid0(VALU_DEP_2) | instskip(NEXT) | instid1(VALU_DEP_2)
	v_sub_f32_e32 v3, v3, v4
	v_fmac_f32_e32 v5, 0x32a5705f, v1
	v_cvt_i32_f32_e32 v4, v4
	s_delay_alu instid0(VALU_DEP_2) | instskip(NEXT) | instid1(VALU_DEP_1)
	v_add_f32_e32 v3, v3, v5
	v_exp_f32_e32 v3, v3
	v_nop
	s_delay_alu instid0(TRANS32_DEP_1) | instskip(NEXT) | instid1(VALU_DEP_1)
	v_ldexp_f32 v3, v3, v4
	v_cndmask_b32_e32 v3, 0, v3, vcc_lo
	v_cmp_nlt_f32_e32 vcc_lo, 0x42b17218, v1
	s_delay_alu instid0(VALU_DEP_2) | instskip(NEXT) | instid1(VALU_DEP_1)
	v_cndmask_b32_e32 v1, 0x7f800000, v3, vcc_lo
	v_add_f32_e32 v1, 1.0, v1
	s_delay_alu instid0(VALU_DEP_1) | instskip(SKIP_1) | instid1(TRANS32_DEP_1)
	v_rcp_f32_e32 v1, v1
	v_nop
	v_fma_f32 v3, v1, -2.0, 1.0
.LBB77_15:                              ;   in Loop: Header=BB77_9 Depth=1
	s_and_not1_saveexec_b32 s24, s24
	s_cbranch_execz .LBB77_17
; %bb.16:                               ;   in Loop: Header=BB77_9 Depth=1
	v_mul_f32_e32 v1, v7, v7
	s_delay_alu instid0(VALU_DEP_1) | instskip(NEXT) | instid1(VALU_DEP_1)
	v_fmaak_f32 v3, s3, v1, 0x3ca908c9
	v_fmaak_f32 v3, v1, v3, 0xbd5c1c4e
	s_delay_alu instid0(VALU_DEP_1) | instskip(NEXT) | instid1(VALU_DEP_1)
	v_fmaak_f32 v3, v1, v3, 0x3e088382
	v_fmaak_f32 v3, v1, v3, 0xbeaaaa99
	s_delay_alu instid0(VALU_DEP_1) | instskip(NEXT) | instid1(VALU_DEP_1)
	v_mul_f32_e64 v3, |v7|, v3
	v_fma_f32 v3, v1, v3, |v7|
.LBB77_17:                              ;   in Loop: Header=BB77_9 Depth=1
	s_or_b32 exec_lo, exec_lo, s24
	v_ashrrev_i32_e32 v1, 31, v0
	v_cmp_ngt_f32_e64 s24, 0x3f200000, |v8|
                                        ; implicit-def: $vgpr4
	s_delay_alu instid0(VALU_DEP_2) | instskip(SKIP_3) | instid1(SALU_CYCLE_1)
	v_lshl_add_u64 v[0:1], v[0:1], 1, s[30:31]
	global_load_u16 v43, v[0:1], off offset:64
	s_wait_xcnt 0x0
	s_and_saveexec_b32 s25, s24
	s_xor_b32 s24, exec_lo, s25
	s_cbranch_execz .LBB77_19
; %bb.18:                               ;   in Loop: Header=BB77_9 Depth=1
	v_add_f32_e64 v4, |v8|, |v8|
	s_delay_alu instid0(VALU_DEP_1) | instskip(SKIP_1) | instid1(VALU_DEP_2)
	v_mul_f32_e32 v5, 0x3fb8aa3b, v4
	v_cmp_ngt_f32_e32 vcc_lo, 0xc2ce8ed0, v4
	v_rndne_f32_e32 v10, v5
	v_fma_f32 v11, 0x3fb8aa3b, v4, -v5
	s_delay_alu instid0(VALU_DEP_2) | instskip(NEXT) | instid1(VALU_DEP_2)
	v_sub_f32_e32 v5, v5, v10
	v_fmac_f32_e32 v11, 0x32a5705f, v4
	v_cvt_i32_f32_e32 v10, v10
	s_delay_alu instid0(VALU_DEP_2) | instskip(NEXT) | instid1(VALU_DEP_1)
	v_add_f32_e32 v5, v5, v11
	v_exp_f32_e32 v5, v5
	v_nop
	s_delay_alu instid0(TRANS32_DEP_1) | instskip(NEXT) | instid1(VALU_DEP_1)
	v_ldexp_f32 v5, v5, v10
	v_cndmask_b32_e32 v5, 0, v5, vcc_lo
	v_cmp_nlt_f32_e32 vcc_lo, 0x42b17218, v4
	s_delay_alu instid0(VALU_DEP_2) | instskip(NEXT) | instid1(VALU_DEP_1)
	v_cndmask_b32_e32 v4, 0x7f800000, v5, vcc_lo
	v_add_f32_e32 v4, 1.0, v4
	s_delay_alu instid0(VALU_DEP_1) | instskip(SKIP_1) | instid1(TRANS32_DEP_1)
	v_rcp_f32_e32 v4, v4
	v_nop
	v_fma_f32 v4, v4, -2.0, 1.0
.LBB77_19:                              ;   in Loop: Header=BB77_9 Depth=1
	s_and_not1_saveexec_b32 s24, s24
	s_cbranch_execz .LBB77_21
; %bb.20:                               ;   in Loop: Header=BB77_9 Depth=1
	v_mul_f32_e32 v4, v8, v8
	s_delay_alu instid0(VALU_DEP_1) | instskip(NEXT) | instid1(VALU_DEP_1)
	v_fmaak_f32 v5, s3, v4, 0x3ca908c9
	v_fmaak_f32 v5, v4, v5, 0xbd5c1c4e
	s_delay_alu instid0(VALU_DEP_1) | instskip(NEXT) | instid1(VALU_DEP_1)
	v_fmaak_f32 v5, v4, v5, 0x3e088382
	v_fmaak_f32 v5, v4, v5, 0xbeaaaa99
	s_delay_alu instid0(VALU_DEP_1) | instskip(NEXT) | instid1(VALU_DEP_1)
	v_mul_f32_e64 v5, |v8|, v5
	v_fma_f32 v4, v4, v5, |v8|
.LBB77_21:                              ;   in Loop: Header=BB77_9 Depth=1
	s_or_b32 exec_lo, exec_lo, s24
	global_load_u16 v46, v[0:1], off offset:128
	v_cmp_ngt_f32_e64 s24, 0x3f200000, |v9|
                                        ; implicit-def: $vgpr5
	s_wait_xcnt 0x0
	s_and_saveexec_b32 s25, s24
	s_delay_alu instid0(SALU_CYCLE_1)
	s_xor_b32 s24, exec_lo, s25
	s_cbranch_execz .LBB77_23
; %bb.22:                               ;   in Loop: Header=BB77_9 Depth=1
	v_add_f32_e64 v5, |v9|, |v9|
	s_delay_alu instid0(VALU_DEP_1) | instskip(SKIP_1) | instid1(VALU_DEP_2)
	v_mul_f32_e32 v10, 0x3fb8aa3b, v5
	v_cmp_ngt_f32_e32 vcc_lo, 0xc2ce8ed0, v5
	v_rndne_f32_e32 v11, v10
	v_fma_f32 v12, 0x3fb8aa3b, v5, -v10
	s_delay_alu instid0(VALU_DEP_2) | instskip(NEXT) | instid1(VALU_DEP_2)
	v_sub_f32_e32 v10, v10, v11
	v_fmac_f32_e32 v12, 0x32a5705f, v5
	v_cvt_i32_f32_e32 v11, v11
	s_delay_alu instid0(VALU_DEP_2) | instskip(NEXT) | instid1(VALU_DEP_1)
	v_add_f32_e32 v10, v10, v12
	v_exp_f32_e32 v10, v10
	v_nop
	s_delay_alu instid0(TRANS32_DEP_1) | instskip(NEXT) | instid1(VALU_DEP_1)
	v_ldexp_f32 v10, v10, v11
	v_cndmask_b32_e32 v10, 0, v10, vcc_lo
	v_cmp_nlt_f32_e32 vcc_lo, 0x42b17218, v5
	s_delay_alu instid0(VALU_DEP_2) | instskip(NEXT) | instid1(VALU_DEP_1)
	v_cndmask_b32_e32 v5, 0x7f800000, v10, vcc_lo
	v_add_f32_e32 v5, 1.0, v5
	s_delay_alu instid0(VALU_DEP_1) | instskip(SKIP_1) | instid1(TRANS32_DEP_1)
	v_rcp_f32_e32 v5, v5
	v_nop
	v_fma_f32 v5, v5, -2.0, 1.0
.LBB77_23:                              ;   in Loop: Header=BB77_9 Depth=1
	s_and_not1_saveexec_b32 s24, s24
	s_cbranch_execz .LBB77_25
; %bb.24:                               ;   in Loop: Header=BB77_9 Depth=1
	v_mul_f32_e32 v5, v9, v9
	s_delay_alu instid0(VALU_DEP_1) | instskip(NEXT) | instid1(VALU_DEP_1)
	v_fmaak_f32 v10, s3, v5, 0x3ca908c9
	v_fmaak_f32 v10, v5, v10, 0xbd5c1c4e
	s_delay_alu instid0(VALU_DEP_1) | instskip(NEXT) | instid1(VALU_DEP_1)
	v_fmaak_f32 v10, v5, v10, 0x3e088382
	v_fmaak_f32 v10, v5, v10, 0xbeaaaa99
	s_delay_alu instid0(VALU_DEP_1) | instskip(NEXT) | instid1(VALU_DEP_1)
	v_mul_f32_e64 v10, |v9|, v10
	v_fma_f32 v5, v5, v10, |v9|
.LBB77_25:                              ;   in Loop: Header=BB77_9 Depth=1
	s_or_b32 exec_lo, exec_lo, s24
	global_load_u16 v47, v[0:1], off offset:192
	s_wait_xcnt 0x0
	v_bfi_b32 v0, 0x7fffffff, v2, v6
	v_bfi_b32 v1, 0x7fffffff, v3, v7
	v_xor_b32_e32 v153, 16, v125
	v_bfi_b32 v2, 0x7fffffff, v5, v9
	v_xor_b32_e32 v149, 8, v125
	s_wait_loadcnt 0x3
	v_fma_mix_f32 v37, s36, v0, v42 op_sel_hi:[0,0,1]
	s_wait_loadcnt 0x2
	v_fma_mix_f32 v38, s36, v1, v43 op_sel_hi:[0,0,1]
	v_bfi_b32 v0, 0x7fffffff, v4, v8
	v_cmp_gt_i32_e32 vcc_lo, 32, v153
	v_xor_b32_e32 v152, 1, v125
	v_xor_b32_e32 v151, 2, v125
	v_add_f32_e32 v3, 0x40051340, v38
	s_wait_loadcnt 0x1
	v_fma_mix_f32 v40, s36, v0, v46 op_sel_hi:[0,0,1]
	v_xor_b32_e32 v150, 4, v125
	v_cmp_ngt_f32_e64 s24, 0x3f200000, |v57|
                                        ; implicit-def: $vgpr53
	s_wait_loadcnt 0x0
	v_fma_mix_f32 v41, s36, v2, v47 op_sel_hi:[0,0,1]
	v_cndmask_b32_e32 v2, v125, v153, vcc_lo
	v_add_f32_e32 v1, 0x40051340, v37
	v_cmp_gt_i32_e32 vcc_lo, 32, v149
	s_delay_alu instid0(VALU_DEP_3) | instskip(NEXT) | instid1(VALU_DEP_3)
	v_lshlrev_b32_e32 v48, 2, v2
	v_max3_num_f32 v0, v35, v1, v3
	v_dual_add_f32 v1, 0x40051340, v40 :: v_dual_cndmask_b32 v2, v125, v149
	v_cmp_gt_i32_e32 vcc_lo, 32, v150
	v_add_f32_e32 v3, 0x40051340, v41
	s_delay_alu instid0(VALU_DEP_3) | instskip(SKIP_1) | instid1(VALU_DEP_3)
	v_lshlrev_b32_e32 v49, 2, v2
	v_cndmask_b32_e32 v2, v125, v150, vcc_lo
	v_max3_num_f32 v0, v0, v1, v3
	v_cmp_gt_i32_e32 vcc_lo, 32, v151
	s_delay_alu instid0(VALU_DEP_3) | instskip(SKIP_3) | instid1(VALU_DEP_2)
	v_lshlrev_b32_e32 v50, 2, v2
	ds_bpermute_b32 v1, v48, v0
	v_cndmask_b32_e32 v2, v125, v151, vcc_lo
	v_cmp_gt_i32_e32 vcc_lo, 32, v152
	v_dual_cndmask_b32 v2, v125, v152 :: v_dual_lshlrev_b32 v39, 2, v2
	s_wait_dscnt 0x0
	s_delay_alu instid0(VALU_DEP_1) | instskip(NEXT) | instid1(VALU_DEP_1)
	v_dual_max_num_f32 v1, v1, v1 :: v_dual_lshlrev_b32 v36, 2, v2
	v_max_num_f32_e32 v0, v0, v1
	ds_bpermute_b32 v1, v49, v0
	s_wait_dscnt 0x0
	v_max_num_f32_e32 v1, v1, v1
	s_delay_alu instid0(VALU_DEP_1) | instskip(SKIP_3) | instid1(VALU_DEP_1)
	v_max_num_f32_e32 v0, v0, v1
	ds_bpermute_b32 v1, v50, v0
	s_wait_dscnt 0x0
	v_max_num_f32_e32 v1, v1, v1
	v_max_num_f32_e32 v0, v0, v1
	ds_bpermute_b32 v1, v39, v0
	s_wait_dscnt 0x0
	v_max_num_f32_e32 v1, v1, v1
	s_delay_alu instid0(VALU_DEP_1) | instskip(SKIP_2) | instid1(SALU_CYCLE_1)
	v_max_num_f32_e32 v51, v0, v1
	ds_bpermute_b32 v52, v36, v51
	s_and_saveexec_b32 s25, s24
	s_xor_b32 s24, exec_lo, s25
	s_cbranch_execz .LBB77_27
; %bb.26:                               ;   in Loop: Header=BB77_9 Depth=1
	v_add_f32_e64 v0, |v57|, |v57|
	s_delay_alu instid0(VALU_DEP_1) | instskip(SKIP_1) | instid1(VALU_DEP_2)
	v_mul_f32_e32 v1, 0x3fb8aa3b, v0
	v_cmp_ngt_f32_e32 vcc_lo, 0xc2ce8ed0, v0
	v_rndne_f32_e32 v2, v1
	v_fma_f32 v3, 0x3fb8aa3b, v0, -v1
	s_delay_alu instid0(VALU_DEP_2) | instskip(NEXT) | instid1(VALU_DEP_2)
	v_sub_f32_e32 v1, v1, v2
	v_fmac_f32_e32 v3, 0x32a5705f, v0
	v_cvt_i32_f32_e32 v2, v2
	s_delay_alu instid0(VALU_DEP_2) | instskip(NEXT) | instid1(VALU_DEP_1)
	v_add_f32_e32 v1, v1, v3
	v_exp_f32_e32 v1, v1
	v_nop
	s_delay_alu instid0(TRANS32_DEP_1) | instskip(NEXT) | instid1(VALU_DEP_1)
	v_ldexp_f32 v1, v1, v2
	v_cndmask_b32_e32 v1, 0, v1, vcc_lo
	v_cmp_nlt_f32_e32 vcc_lo, 0x42b17218, v0
	s_delay_alu instid0(VALU_DEP_2) | instskip(NEXT) | instid1(VALU_DEP_1)
	v_cndmask_b32_e32 v0, 0x7f800000, v1, vcc_lo
	v_add_f32_e32 v0, 1.0, v0
	s_delay_alu instid0(VALU_DEP_1) | instskip(SKIP_1) | instid1(TRANS32_DEP_1)
	v_rcp_f32_e32 v0, v0
	v_nop
	v_fma_f32 v53, v0, -2.0, 1.0
.LBB77_27:                              ;   in Loop: Header=BB77_9 Depth=1
	s_and_not1_saveexec_b32 s24, s24
	s_cbranch_execz .LBB77_29
; %bb.28:                               ;   in Loop: Header=BB77_9 Depth=1
	v_mul_f32_e32 v0, v57, v57
	s_delay_alu instid0(VALU_DEP_1) | instskip(NEXT) | instid1(VALU_DEP_1)
	v_fmaak_f32 v1, s3, v0, 0x3ca908c9
	v_fmaak_f32 v1, v0, v1, 0xbd5c1c4e
	s_delay_alu instid0(VALU_DEP_1) | instskip(NEXT) | instid1(VALU_DEP_1)
	v_fmaak_f32 v1, v0, v1, 0x3e088382
	v_fmaak_f32 v1, v0, v1, 0xbeaaaa99
	s_delay_alu instid0(VALU_DEP_1) | instskip(NEXT) | instid1(VALU_DEP_1)
	v_mul_f32_e64 v1, |v57|, v1
	v_fma_f32 v53, v0, v1, |v57|
.LBB77_29:                              ;   in Loop: Header=BB77_9 Depth=1
	s_or_b32 exec_lo, exec_lo, s24
	v_cmp_ngt_f32_e64 s24, 0x3f200000, |v58|
                                        ; implicit-def: $vgpr54
	s_and_saveexec_b32 s25, s24
	s_delay_alu instid0(SALU_CYCLE_1)
	s_xor_b32 s24, exec_lo, s25
	s_cbranch_execz .LBB77_31
; %bb.30:                               ;   in Loop: Header=BB77_9 Depth=1
	v_add_f32_e64 v0, |v58|, |v58|
	s_delay_alu instid0(VALU_DEP_1) | instskip(SKIP_1) | instid1(VALU_DEP_2)
	v_mul_f32_e32 v1, 0x3fb8aa3b, v0
	v_cmp_ngt_f32_e32 vcc_lo, 0xc2ce8ed0, v0
	v_rndne_f32_e32 v2, v1
	v_fma_f32 v3, 0x3fb8aa3b, v0, -v1
	s_delay_alu instid0(VALU_DEP_2) | instskip(NEXT) | instid1(VALU_DEP_2)
	v_sub_f32_e32 v1, v1, v2
	v_fmac_f32_e32 v3, 0x32a5705f, v0
	v_cvt_i32_f32_e32 v2, v2
	s_delay_alu instid0(VALU_DEP_2) | instskip(NEXT) | instid1(VALU_DEP_1)
	v_add_f32_e32 v1, v1, v3
	v_exp_f32_e32 v1, v1
	v_nop
	s_delay_alu instid0(TRANS32_DEP_1) | instskip(NEXT) | instid1(VALU_DEP_1)
	v_ldexp_f32 v1, v1, v2
	v_cndmask_b32_e32 v1, 0, v1, vcc_lo
	v_cmp_nlt_f32_e32 vcc_lo, 0x42b17218, v0
	s_delay_alu instid0(VALU_DEP_2) | instskip(NEXT) | instid1(VALU_DEP_1)
	v_cndmask_b32_e32 v0, 0x7f800000, v1, vcc_lo
	v_add_f32_e32 v0, 1.0, v0
	s_delay_alu instid0(VALU_DEP_1) | instskip(SKIP_1) | instid1(TRANS32_DEP_1)
	v_rcp_f32_e32 v0, v0
	v_nop
	v_fma_f32 v54, v0, -2.0, 1.0
.LBB77_31:                              ;   in Loop: Header=BB77_9 Depth=1
	s_and_not1_saveexec_b32 s24, s24
	s_cbranch_execz .LBB77_33
; %bb.32:                               ;   in Loop: Header=BB77_9 Depth=1
	v_mul_f32_e32 v0, v58, v58
	s_delay_alu instid0(VALU_DEP_1) | instskip(NEXT) | instid1(VALU_DEP_1)
	v_fmaak_f32 v1, s3, v0, 0x3ca908c9
	v_fmaak_f32 v1, v0, v1, 0xbd5c1c4e
	s_delay_alu instid0(VALU_DEP_1) | instskip(NEXT) | instid1(VALU_DEP_1)
	v_fmaak_f32 v1, v0, v1, 0x3e088382
	v_fmaak_f32 v1, v0, v1, 0xbeaaaa99
	s_delay_alu instid0(VALU_DEP_1) | instskip(NEXT) | instid1(VALU_DEP_1)
	v_mul_f32_e64 v1, |v58|, v1
	v_fma_f32 v54, v0, v1, |v58|
.LBB77_33:                              ;   in Loop: Header=BB77_9 Depth=1
	s_or_b32 exec_lo, exec_lo, s24
	v_cmp_ngt_f32_e64 s24, 0x3f200000, |v59|
                                        ; implicit-def: $vgpr55
	s_and_saveexec_b32 s25, s24
	s_delay_alu instid0(SALU_CYCLE_1)
	s_xor_b32 s24, exec_lo, s25
	s_cbranch_execz .LBB77_35
; %bb.34:                               ;   in Loop: Header=BB77_9 Depth=1
	v_add_f32_e64 v0, |v59|, |v59|
	s_delay_alu instid0(VALU_DEP_1) | instskip(SKIP_1) | instid1(VALU_DEP_2)
	v_mul_f32_e32 v1, 0x3fb8aa3b, v0
	v_cmp_ngt_f32_e32 vcc_lo, 0xc2ce8ed0, v0
	v_rndne_f32_e32 v2, v1
	v_fma_f32 v3, 0x3fb8aa3b, v0, -v1
	s_delay_alu instid0(VALU_DEP_2) | instskip(NEXT) | instid1(VALU_DEP_2)
	v_sub_f32_e32 v1, v1, v2
	v_fmac_f32_e32 v3, 0x32a5705f, v0
	v_cvt_i32_f32_e32 v2, v2
	s_delay_alu instid0(VALU_DEP_2) | instskip(NEXT) | instid1(VALU_DEP_1)
	v_add_f32_e32 v1, v1, v3
	v_exp_f32_e32 v1, v1
	v_nop
	s_delay_alu instid0(TRANS32_DEP_1) | instskip(NEXT) | instid1(VALU_DEP_1)
	v_ldexp_f32 v1, v1, v2
	v_cndmask_b32_e32 v1, 0, v1, vcc_lo
	v_cmp_nlt_f32_e32 vcc_lo, 0x42b17218, v0
	s_delay_alu instid0(VALU_DEP_2) | instskip(NEXT) | instid1(VALU_DEP_1)
	v_cndmask_b32_e32 v0, 0x7f800000, v1, vcc_lo
	v_add_f32_e32 v0, 1.0, v0
	s_delay_alu instid0(VALU_DEP_1) | instskip(SKIP_1) | instid1(TRANS32_DEP_1)
	v_rcp_f32_e32 v0, v0
	v_nop
	v_fma_f32 v55, v0, -2.0, 1.0
.LBB77_35:                              ;   in Loop: Header=BB77_9 Depth=1
	s_and_not1_saveexec_b32 s24, s24
	s_cbranch_execz .LBB77_37
; %bb.36:                               ;   in Loop: Header=BB77_9 Depth=1
	v_mul_f32_e32 v0, v59, v59
	s_delay_alu instid0(VALU_DEP_1) | instskip(NEXT) | instid1(VALU_DEP_1)
	v_fmaak_f32 v1, s3, v0, 0x3ca908c9
	v_fmaak_f32 v1, v0, v1, 0xbd5c1c4e
	s_delay_alu instid0(VALU_DEP_1) | instskip(NEXT) | instid1(VALU_DEP_1)
	v_fmaak_f32 v1, v0, v1, 0x3e088382
	v_fmaak_f32 v1, v0, v1, 0xbeaaaa99
	s_delay_alu instid0(VALU_DEP_1) | instskip(NEXT) | instid1(VALU_DEP_1)
	v_mul_f32_e64 v1, |v59|, v1
	v_fma_f32 v55, v0, v1, |v59|
.LBB77_37:                              ;   in Loop: Header=BB77_9 Depth=1
	s_or_b32 exec_lo, exec_lo, s24
	v_cmp_ngt_f32_e64 s24, 0x3f200000, |v60|
                                        ; implicit-def: $vgpr56
	s_and_saveexec_b32 s25, s24
	s_delay_alu instid0(SALU_CYCLE_1)
	s_xor_b32 s24, exec_lo, s25
	s_cbranch_execz .LBB77_39
; %bb.38:                               ;   in Loop: Header=BB77_9 Depth=1
	v_add_f32_e64 v0, |v60|, |v60|
	s_delay_alu instid0(VALU_DEP_1) | instskip(SKIP_1) | instid1(VALU_DEP_2)
	v_mul_f32_e32 v1, 0x3fb8aa3b, v0
	v_cmp_ngt_f32_e32 vcc_lo, 0xc2ce8ed0, v0
	v_rndne_f32_e32 v2, v1
	v_fma_f32 v3, 0x3fb8aa3b, v0, -v1
	s_delay_alu instid0(VALU_DEP_2) | instskip(NEXT) | instid1(VALU_DEP_2)
	v_sub_f32_e32 v1, v1, v2
	v_fmac_f32_e32 v3, 0x32a5705f, v0
	v_cvt_i32_f32_e32 v2, v2
	s_delay_alu instid0(VALU_DEP_2) | instskip(NEXT) | instid1(VALU_DEP_1)
	v_add_f32_e32 v1, v1, v3
	v_exp_f32_e32 v1, v1
	v_nop
	s_delay_alu instid0(TRANS32_DEP_1) | instskip(NEXT) | instid1(VALU_DEP_1)
	v_ldexp_f32 v1, v1, v2
	v_cndmask_b32_e32 v1, 0, v1, vcc_lo
	v_cmp_nlt_f32_e32 vcc_lo, 0x42b17218, v0
	s_delay_alu instid0(VALU_DEP_2) | instskip(NEXT) | instid1(VALU_DEP_1)
	v_cndmask_b32_e32 v0, 0x7f800000, v1, vcc_lo
	v_add_f32_e32 v0, 1.0, v0
	s_delay_alu instid0(VALU_DEP_1) | instskip(SKIP_1) | instid1(TRANS32_DEP_1)
	v_rcp_f32_e32 v0, v0
	v_nop
	v_fma_f32 v56, v0, -2.0, 1.0
.LBB77_39:                              ;   in Loop: Header=BB77_9 Depth=1
	s_and_not1_saveexec_b32 s24, s24
	s_cbranch_execz .LBB77_41
; %bb.40:                               ;   in Loop: Header=BB77_9 Depth=1
	v_mul_f32_e32 v0, v60, v60
	s_delay_alu instid0(VALU_DEP_1) | instskip(NEXT) | instid1(VALU_DEP_1)
	v_fmaak_f32 v1, s3, v0, 0x3ca908c9
	v_fmaak_f32 v1, v0, v1, 0xbd5c1c4e
	s_delay_alu instid0(VALU_DEP_1) | instskip(NEXT) | instid1(VALU_DEP_1)
	v_fmaak_f32 v1, v0, v1, 0x3e088382
	v_fmaak_f32 v1, v0, v1, 0xbeaaaa99
	s_delay_alu instid0(VALU_DEP_1) | instskip(NEXT) | instid1(VALU_DEP_1)
	v_mul_f32_e64 v1, |v60|, v1
	v_fma_f32 v56, v0, v1, |v60|
.LBB77_41:                              ;   in Loop: Header=BB77_9 Depth=1
	s_or_b32 exec_lo, exec_lo, s24
	s_mul_u64 s[24:25], s[4:5], s[10:11]
	s_wait_dscnt 0x0
	s_lshl_b64 s[24:25], s[24:25], 2
	s_barrier_signal -1
	s_add_nc_u64 s[24:25], s[8:9], s[24:25]
	s_barrier_wait -1
	v_lshl_add_u64 v[0:1], v[88:89], 2, s[24:25]
	v_lshl_add_u64 v[2:3], v[96:97], 2, s[24:25]
	;; [unrolled: 1-line block ×5, first 2 shown]
	v_add_nc_u64_e32 v[44:45], v[0:1], v[86:87]
	v_lshl_add_u64 v[0:1], v[104:105], 2, s[24:25]
	v_add_nc_u64_e32 v[62:63], v[2:3], v[86:87]
	v_lshl_add_u64 v[2:3], v[106:107], 2, s[24:25]
	;; [unrolled: 2-line block ×3, first 2 shown]
	v_add_nc_u64_e32 v[66:67], v[0:1], v[86:87]
	v_add_nc_u64_e32 v[72:73], v[6:7], v[86:87]
	;; [unrolled: 1-line block ×3, first 2 shown]
	s_delay_alu instid0(VALU_DEP_4)
	v_add_nc_u64_e32 v[70:71], v[4:5], v[86:87]
	v_add_nc_u64_e32 v[74:75], v[8:9], v[86:87]
	s_clause 0x7
	global_load_b128 v[0:3], v[44:45], off
	global_load_b128 v[4:7], v[62:63], off
	;; [unrolled: 1-line block ×8, first 2 shown]
	s_wait_xcnt 0x7
	v_cvt_f32_f16_e32 v44, v42
	v_cvt_f32_f16_e32 v45, v43
	v_bfi_b32 v42, 0x7fffffff, v53, v57
	v_bfi_b32 v43, 0x7fffffff, v54, v58
	v_cvt_f32_f16_e32 v46, v46
	v_cvt_f32_f16_e32 v47, v47
	v_bfi_b32 v53, 0x7fffffff, v55, v59
	v_bfi_b32 v54, 0x7fffffff, v56, v60
	v_dual_fmac_f32 v44, s36, v42 :: v_dual_fmac_f32 v45, s36, v43
	s_delay_alu instid0(VALU_DEP_3) | instskip(NEXT) | instid1(VALU_DEP_2)
	v_dual_fmac_f32 v46, s36, v53 :: v_dual_add_nc_u32 v155, 0x1800, v124
	v_dual_fmac_f32 v47, s36, v54 :: v_dual_add_f32 v42, 0x40051340, v44
	s_delay_alu instid0(VALU_DEP_3) | instskip(NEXT) | instid1(VALU_DEP_2)
	v_add_f32_e32 v43, 0x40051340, v45
	v_dual_add_f32 v53, 0x40051340, v46 :: v_dual_add_f32 v54, 0x40051340, v47
	s_delay_alu instid0(VALU_DEP_2) | instskip(NEXT) | instid1(VALU_DEP_1)
	v_max3_num_f32 v42, v34, v42, v43
	v_max3_num_f32 v42, v42, v53, v54
	ds_bpermute_b32 v43, v48, v42
	s_wait_dscnt 0x0
	v_max_num_f32_e32 v43, v43, v43
	s_delay_alu instid0(VALU_DEP_1) | instskip(SKIP_3) | instid1(VALU_DEP_1)
	v_max_num_f32_e32 v42, v42, v43
	ds_bpermute_b32 v43, v49, v42
	s_wait_dscnt 0x0
	v_max_num_f32_e32 v43, v43, v43
	v_dual_max_num_f32 v48, v42, v43 :: v_dual_max_num_f32 v43, v52, v52
	ds_bpermute_b32 v49, v50, v48
	v_max_num_f32_e32 v50, v51, v51
	s_delay_alu instid0(VALU_DEP_1) | instskip(SKIP_3) | instid1(VALU_DEP_4)
	v_max_num_f32_e32 v114, v50, v43
	v_add_nc_u32_e32 v42, v139, v123
	v_add_nc_u32_e32 v154, 0x2000, v124
	;; [unrolled: 1-line block ×3, first 2 shown]
	v_dual_sub_f32 v37, v37, v114 :: v_dual_add_nc_u32 v50, 0x1000, v124
	v_dual_sub_f32 v38, v38, v114 :: v_dual_sub_f32 v40, v40, v114
	v_dual_sub_f32 v41, v41, v114 :: v_dual_sub_f32 v35, v35, v114
	s_delay_alu instid0(VALU_DEP_2) | instskip(NEXT) | instid1(VALU_DEP_2)
	v_dual_mul_f32 v51, 0x3fb8aa3b, v37 :: v_dual_mul_f32 v52, 0x3fb8aa3b, v38
	v_mul_f32_e32 v54, 0x3fb8aa3b, v41
	s_delay_alu instid0(VALU_DEP_3) | instskip(NEXT) | instid1(VALU_DEP_3)
	v_cmp_ngt_f32_e32 vcc_lo, 0xc2ce8ed0, v35
	v_fma_f32 v56, 0x3fb8aa3b, v37, -v51
	s_delay_alu instid0(VALU_DEP_4)
	v_fma_f32 v58, 0x3fb8aa3b, v38, -v52
	s_wait_dscnt 0x0
	v_max_num_f32_e32 v49, v49, v49
	v_rndne_f32_e32 v57, v51
	v_fma_f32 v61, 0x3fb8aa3b, v41, -v54
	s_wait_xcnt 0x6
	v_rndne_f32_e32 v62, v54
	v_fmac_f32_e32 v58, 0x32a5705f, v38
	v_dual_mul_f32 v53, 0x3fb8aa3b, v40 :: v_dual_max_num_f32 v48, v48, v49
	v_rndne_f32_e32 v49, v52
	s_delay_alu instid0(VALU_DEP_4) | instskip(NEXT) | instid1(VALU_DEP_3)
	v_dual_mul_f32 v55, 0x3fb8aa3b, v35 :: v_dual_sub_f32 v54, v54, v62
	v_fma_f32 v59, 0x3fb8aa3b, v40, -v53
	ds_bpermute_b32 v39, v39, v48
	v_rndne_f32_e32 v60, v53
	v_fmac_f32_e32 v56, 0x32a5705f, v37
	v_sub_f32_e32 v51, v51, v57
	v_dual_fmac_f32 v59, 0x32a5705f, v40 :: v_dual_sub_f32 v52, v52, v49
	s_delay_alu instid0(VALU_DEP_4) | instskip(SKIP_1) | instid1(VALU_DEP_4)
	v_sub_f32_e32 v53, v53, v60
	v_fma_f32 v63, 0x3fb8aa3b, v35, -v55
	v_add_f32_e32 v51, v51, v56
	s_wait_xcnt 0x5
	v_rndne_f32_e32 v64, v55
	v_cvt_i32_f32_e32 v57, v57
	v_add_f32_e32 v53, v53, v59
	v_dual_fmac_f32 v63, 0x32a5705f, v35 :: v_dual_add_f32 v52, v52, v58
	s_delay_alu instid0(VALU_DEP_4)
	v_sub_f32_e32 v55, v55, v64
	v_cvt_i32_f32_e32 v64, v64
	v_cvt_i32_f32_e32 v49, v49
	;; [unrolled: 1-line block ×3, first 2 shown]
	s_wait_dscnt 0x0
	v_max_num_f32_e32 v39, v39, v39
	s_delay_alu instid0(VALU_DEP_1) | instskip(SKIP_3) | instid1(TRANS32_DEP_3)
	v_max_num_f32_e32 v39, v48, v39
	v_exp_f32_e32 v48, v51
	v_exp_f32_e32 v51, v52
	;; [unrolled: 1-line block ×3, first 2 shown]
	v_ldexp_f32 v48, v48, v57
	v_fmac_f32_e32 v61, 0x32a5705f, v41
	v_add_f32_e32 v55, v55, v63
	s_delay_alu instid0(TRANS32_DEP_2) | instskip(NEXT) | instid1(TRANS32_DEP_1)
	v_ldexp_f32 v49, v51, v49
	v_ldexp_f32 v51, v52, v60
	s_delay_alu instid0(VALU_DEP_4) | instskip(NEXT) | instid1(VALU_DEP_4)
	v_add_f32_e32 v54, v54, v61
	v_exp_f32_e32 v55, v55
	s_delay_alu instid0(VALU_DEP_1) | instskip(SKIP_2) | instid1(TRANS32_DEP_2)
	v_exp_f32_e32 v53, v54
	v_nop
	v_cvt_i32_f32_e32 v54, v62
	v_ldexp_f32 v55, v55, v64
	s_delay_alu instid0(TRANS32_DEP_1) | instid1(VALU_DEP_2)
	v_ldexp_f32 v52, v53, v54
	s_delay_alu instid0(VALU_DEP_2)
	v_cndmask_b32_e32 v53, 0, v55, vcc_lo
	v_cmp_ngt_f32_e32 vcc_lo, 0xc2ce8ed0, v37
	v_cndmask_b32_e32 v48, 0, v48, vcc_lo
	v_cmp_ngt_f32_e32 vcc_lo, 0xc2ce8ed0, v38
	v_cndmask_b32_e32 v49, 0, v49, vcc_lo
	v_cmp_nlt_f32_e32 vcc_lo, 0x42b17218, v35
	v_cndmask_b32_e32 v116, 0x7f800000, v53, vcc_lo
	ds_bpermute_b32 v36, v36, v39
	v_cmp_ngt_f32_e32 vcc_lo, 0xc2ce8ed0, v40
	v_cndmask_b32_e32 v35, 0, v51, vcc_lo
	v_cmp_ngt_f32_e32 vcc_lo, 0xc2ce8ed0, v41
	v_cndmask_b32_e32 v51, 0, v52, vcc_lo
	v_cmp_nlt_f32_e32 vcc_lo, 0x42b17218, v37
	v_cvt_f16_f32_e32 v52, v116
	s_delay_alu instid0(VALU_DEP_1)
	v_and_b32_e32 v37, 0xffff, v52
	s_wait_dscnt 0x0
	v_max_num_f32_e32 v53, v36, v36
	v_cndmask_b32_e32 v36, 0x7f800000, v48, vcc_lo
	v_cmp_nlt_f32_e32 vcc_lo, 0x42b17218, v38
	v_mul_u32_u24_e32 v184, 0x10001, v37
	s_delay_alu instid0(VALU_DEP_4) | instskip(SKIP_2) | instid1(VALU_DEP_4)
	v_max_num_f32_e32 v115, v39, v53
	v_cndmask_b32_e32 v38, 0x7f800000, v49, vcc_lo
	v_cmp_nlt_f32_e32 vcc_lo, 0x42b17218, v40
	v_pk_mul_f16 v186, v33, v184
	s_delay_alu instid0(VALU_DEP_4) | instskip(NEXT) | instid1(VALU_DEP_1)
	v_dual_sub_f32 v39, v45, v115 :: v_dual_sub_f32 v34, v34, v115
	v_dual_mul_f32 v45, 0x3fb8aa3b, v39 :: v_dual_mul_f32 v48, 0x3fb8aa3b, v34
	s_delay_alu instid0(VALU_DEP_1)
	v_rndne_f32_e32 v53, v45
	v_cndmask_b32_e32 v40, 0x7f800000, v35, vcc_lo
	v_cmp_nlt_f32_e32 vcc_lo, 0x42b17218, v41
	v_dual_sub_f32 v35, v44, v115 :: v_dual_sub_f32 v41, v46, v115
	v_sub_f32_e32 v44, v47, v115
	v_fma_f32 v58, 0x3fb8aa3b, v34, -v48
	v_rndne_f32_e32 v59, v48
	s_delay_alu instid0(VALU_DEP_4) | instskip(SKIP_1) | instid1(VALU_DEP_3)
	v_dual_mul_f32 v37, 0x3fb8aa3b, v35 :: v_dual_mul_f32 v46, 0x3fb8aa3b, v41
	v_cndmask_b32_e32 v118, 0x7f800000, v51, vcc_lo
	v_dual_mul_f32 v47, 0x3fb8aa3b, v44 :: v_dual_sub_f32 v48, v48, v59
	s_delay_alu instid0(VALU_DEP_3)
	v_fma_f32 v49, 0x3fb8aa3b, v35, -v37
	v_rndne_f32_e32 v51, v37
	v_fma_f32 v54, 0x3fb8aa3b, v41, -v46
	v_fma_f32 v52, 0x3fb8aa3b, v39, -v45
	v_rndne_f32_e32 v55, v46
	v_fmac_f32_e32 v49, 0x32a5705f, v35
	s_delay_alu instid0(VALU_DEP_4) | instskip(SKIP_3) | instid1(VALU_DEP_4)
	v_dual_sub_f32 v37, v37, v51 :: v_dual_fmac_f32 v54, 0x32a5705f, v41
	v_fmac_f32_e32 v58, 0x32a5705f, v34
	v_rndne_f32_e32 v57, v47
	v_dual_fmac_f32 v52, 0x32a5705f, v39 :: v_dual_sub_f32 v45, v45, v53
	v_dual_add_f32 v37, v37, v49 :: v_dual_sub_f32 v46, v46, v55
	s_delay_alu instid0(VALU_DEP_4) | instskip(SKIP_1) | instid1(VALU_DEP_4)
	v_add_f32_e32 v48, v48, v58
	v_fma_f32 v56, 0x3fb8aa3b, v44, -v47
	v_dual_sub_f32 v47, v47, v57 :: v_dual_add_f32 v45, v45, v52
	s_delay_alu instid0(VALU_DEP_4) | instskip(NEXT) | instid1(VALU_DEP_4)
	v_add_f32_e32 v46, v46, v54
	v_exp_f32_e32 v48, v48
	v_cvt_i32_f32_e32 v59, v59
	v_exp_f32_e32 v37, v37
	v_cvt_i32_f32_e32 v51, v51
	;; [unrolled: 2-line block ×3, first 2 shown]
	v_cmp_ngt_f32_e32 vcc_lo, 0xc2ce8ed0, v34
	v_ldexp_f32 v48, v48, v59
	v_exp_f32_e32 v45, v45
	v_cvt_i32_f32_e32 v53, v53
	v_ldexp_f32 v37, v37, v51
	v_ldexp_f32 v46, v46, v49
	v_cndmask_b32_e32 v48, 0, v48, vcc_lo
	v_cmp_ngt_f32_e32 vcc_lo, 0xc2ce8ed0, v35
	v_fmac_f32_e32 v56, 0x32a5705f, v44
	v_ldexp_f32 v45, v45, v53
	v_cvt_i32_f32_e32 v52, v57
	v_cndmask_b32_e32 v37, 0, v37, vcc_lo
	v_cmp_ngt_f32_e32 vcc_lo, 0xc2ce8ed0, v39
	s_delay_alu instid0(VALU_DEP_4) | instskip(NEXT) | instid1(VALU_DEP_1)
	v_dual_add_f32 v47, v47, v56 :: v_dual_cndmask_b32 v45, 0, v45, vcc_lo
	v_exp_f32_e32 v47, v47
	v_cmp_ngt_f32_e32 vcc_lo, 0xc2ce8ed0, v41
	v_cndmask_b32_e32 v46, 0, v46, vcc_lo
	s_delay_alu instid0(TRANS32_DEP_1) | instskip(SKIP_1) | instid1(VALU_DEP_2)
	v_ldexp_f32 v47, v47, v52
	v_cmp_ngt_f32_e32 vcc_lo, 0xc2ce8ed0, v44
	v_cndmask_b32_e32 v47, 0, v47, vcc_lo
	v_cmp_nlt_f32_e32 vcc_lo, 0x42b17218, v34
	v_cndmask_b32_e32 v117, 0x7f800000, v48, vcc_lo
	v_cmp_nlt_f32_e32 vcc_lo, 0x42b17218, v35
	s_delay_alu instid0(VALU_DEP_2)
	v_cvt_f16_f32_e32 v34, v117
	v_cndmask_b32_e32 v37, 0x7f800000, v37, vcc_lo
	v_cmp_nlt_f32_e32 vcc_lo, 0x42b17218, v39
	v_cndmask_b32_e32 v39, 0x7f800000, v45, vcc_lo
	v_cmp_nlt_f32_e32 vcc_lo, 0x42b17218, v41
	v_and_b32_e32 v45, 0xffff, v34
	s_delay_alu instid0(VALU_DEP_3)
	v_pk_add_f32 v[34:35], v[36:37], v[38:39]
	v_cndmask_b32_e32 v41, 0x7f800000, v46, vcc_lo
	v_cmp_nlt_f32_e32 vcc_lo, 0x42b17218, v44
	v_cvt_pk_f16_f32 v44, v36, v37
	v_cvt_pk_f16_f32 v46, v38, v39
	v_mul_u32_u24_e32 v185, 0x10001, v45
	v_pk_add_f32 v[120:121], v[40:41], v[34:35]
	v_cndmask_b32_e32 v119, 0x7f800000, v47, vcc_lo
	v_cvt_pk_f16_f32 v47, v40, v41
	s_delay_alu instid0(VALU_DEP_4) | instskip(NEXT) | instid1(VALU_DEP_3)
	v_pk_mul_f16 v187, v32, v185
	v_cvt_pk_f16_f32 v48, v118, v119
	ds_store_2addr_b32 v42, v44, v46 offset1:32
	ds_store_2addr_b32 v42, v47, v48 offset0:64 offset1:96
	s_wait_loadcnt 0x7
	ds_store_b128 v137, v[0:3]
	s_wait_loadcnt 0x6
	ds_store_b128 v140, v[4:7]
	;; [unrolled: 2-line block ×8, first 2 shown]
	s_wait_dscnt 0x0
	s_barrier_signal -1
	s_barrier_wait -1
	ds_load_2addr_b64 v[52:55], v124 offset1:32
	ds_load_2addr_b64 v[36:39], v124 offset0:64 offset1:96
	ds_load_2addr_b64 v[32:35], v124 offset0:128 offset1:160
	ds_load_b128 v[156:159], v139
	ds_load_b128 v[72:75], v139 offset:16
	ds_load_2addr_b64 v[28:31], v124 offset0:192 offset1:224
	ds_load_2addr_b64 v[24:27], v43 offset1:32
	ds_load_2addr_b64 v[20:23], v43 offset0:64 offset1:96
	ds_load_2addr_b64 v[16:19], v43 offset0:128 offset1:160
	ds_load_b128 v[68:71], v139 offset:32
	ds_load_b128 v[64:67], v139 offset:48
	ds_load_2addr_b64 v[12:15], v43 offset0:192 offset1:224
	ds_load_2addr_b64 v[4:7], v50 offset1:32
	ds_load_2addr_b64 v[8:11], v50 offset0:64 offset1:96
	ds_load_2addr_b64 v[0:3], v50 offset0:128 offset1:160
	ds_load_b128 v[160:163], v139 offset:64
	ds_load_b128 v[164:167], v139 offset:80
	ds_load_2addr_b64 v[44:47], v50 offset0:192 offset1:224
	ds_load_2addr_b64 v[40:43], v155 offset1:32
	ds_load_2addr_b64 v[48:51], v155 offset0:64 offset1:96
	ds_load_b128 v[168:171], v139 offset:96
	ds_load_b128 v[172:175], v139 offset:112
	ds_load_2addr_b64 v[56:59], v155 offset0:128 offset1:160
	ds_load_b128 v[60:63], v139 offset:128
	ds_load_2addr_b64 v[176:179], v155 offset0:192 offset1:224
	ds_load_2addr_b64 v[180:183], v154 offset1:32
	s_wait_dscnt 0x16
	v_and_b32_e32 v155, 0xffff, v156
	v_dual_lshrrev_b32 v156, 16, v156 :: v_dual_lshrrev_b32 v188, 16, v157
	v_and_b32_e32 v157, 0xffff, v157
	s_wait_dscnt 0x15
	v_and_b32_e32 v192, 0xffff, v73
	v_mul_u32_u24_e32 v155, 0x10001, v155
	v_mul_u32_u24_e32 v156, 0x10001, v156
	s_wait_dscnt 0x10
	v_dual_lshrrev_b32 v73, 16, v73 :: v_dual_lshrrev_b32 v195, 16, v68
	v_and_b32_e32 v196, 0xffff, v68
	v_pk_mul_f16 v68, v52, v155
	v_pk_mul_f16 v52, v52, v156
	v_dual_lshrrev_b32 v189, 16, v158 :: v_dual_lshrrev_b32 v191, 16, v72
	v_and_b32_e32 v158, 0xffff, v158
	s_delay_alu instid0(VALU_DEP_4) | instskip(NEXT) | instid1(VALU_DEP_4)
	v_pk_fma_f16 v148, v148, v184, v68
	v_pk_fma_f16 v52, v147, v185, v52
	v_mul_u32_u24_e32 v147, 0x10001, v157
	v_pk_fma_f16 v155, v53, v155, v186
	v_mul_u32_u24_e32 v184, 0x10001, v188
	v_pk_fma_f16 v53, v53, v156, v187
	v_lshrrev_b32_e32 v190, 16, v159
	v_and_b32_e32 v159, 0xffff, v159
	v_pk_fma_f16 v155, v55, v147, v155
	v_pk_fma_f16 v147, v54, v147, v148
	;; [unrolled: 1-line block ×3, first 2 shown]
	v_mul_u32_u24_e32 v55, 0x10001, v158
	v_and_b32_e32 v72, 0xffff, v72
	s_wait_dscnt 0x2
	v_dual_lshrrev_b32 v157, 16, v60 :: v_dual_lshrrev_b32 v148, 16, v61
	v_pk_fma_f16 v52, v54, v184, v52
	v_and_b32_e32 v54, 0xffff, v61
	v_mul_u32_u24_e32 v61, 0x10001, v189
	v_mul_u32_u24_e32 v156, 0x10001, v159
	v_pk_fma_f16 v147, v36, v55, v147
	v_mul_u32_u24_e32 v158, 0x10001, v190
	v_mul_u32_u24_e32 v72, 0x10001, v72
	v_pk_fma_f16 v55, v37, v55, v155
	v_pk_fma_f16 v36, v36, v61, v52
	v_pk_fma_f16 v37, v37, v61, v53
	v_pk_fma_f16 v52, v38, v156, v147
	v_and_b32_e32 v193, 0xffff, v74
	v_mul_u32_u24_e32 v159, 0x10001, v191
	v_mul_u32_u24_e32 v184, 0x10001, v192
	v_pk_fma_f16 v55, v39, v156, v55
	v_pk_fma_f16 v36, v38, v158, v36
	;; [unrolled: 1-line block ×4, first 2 shown]
	v_dual_lshrrev_b32 v74, 16, v74 :: v_dual_lshrrev_b32 v194, 16, v75
	v_and_b32_e32 v75, 0xffff, v75
	v_mul_u32_u24_e32 v73, 0x10001, v73
	v_mul_u32_u24_e32 v185, 0x10001, v193
	v_pk_fma_f16 v52, v33, v72, v55
	v_pk_fma_f16 v32, v32, v159, v36
	;; [unrolled: 1-line block ×4, first 2 shown]
	v_mul_u32_u24_e32 v74, 0x10001, v74
	v_mul_u32_u24_e32 v75, 0x10001, v75
	v_pk_fma_f16 v38, v35, v184, v52
	v_pk_fma_f16 v32, v34, v73, v32
	v_pk_fma_f16 v33, v35, v73, v33
	v_pk_fma_f16 v34, v28, v185, v36
	v_and_b32_e32 v198, 0xffff, v69
	v_mul_u32_u24_e32 v186, 0x10001, v194
	v_mul_u32_u24_e32 v187, 0x10001, v196
	v_pk_fma_f16 v36, v29, v185, v38
	v_pk_fma_f16 v28, v28, v74, v32
	v_pk_fma_f16 v29, v29, v74, v33
	v_pk_fma_f16 v32, v30, v75, v34
	v_dual_lshrrev_b32 v197, 16, v69 :: v_dual_lshrrev_b32 v199, 16, v70
	v_and_b32_e32 v200, 0xffff, v70
	v_mul_u32_u24_e32 v188, 0x10001, v195
	v_mul_u32_u24_e32 v189, 0x10001, v198
	v_pk_fma_f16 v34, v31, v75, v36
	v_pk_fma_f16 v28, v30, v186, v28
	v_pk_fma_f16 v29, v31, v186, v29
	v_pk_fma_f16 v30, v24, v187, v32
	v_and_b32_e32 v202, 0xffff, v71
	v_mul_u32_u24_e32 v190, 0x10001, v197
	v_mul_u32_u24_e32 v191, 0x10001, v200
	v_pk_fma_f16 v32, v25, v187, v34
	v_pk_fma_f16 v24, v24, v188, v28
	v_pk_fma_f16 v25, v25, v188, v29
	v_pk_fma_f16 v28, v26, v189, v30
	v_dual_lshrrev_b32 v201, 16, v71 :: v_dual_lshrrev_b32 v203, 16, v64
	v_and_b32_e32 v204, 0xffff, v64
	;; [unrolled: 15-line block ×4, first 2 shown]
	v_mul_u32_u24_e32 v200, 0x10001, v207
	v_mul_u32_u24_e32 v201, 0x10001, v210
	v_pk_fma_f16 v22, v19, v197, v24
	v_pk_fma_f16 v16, v18, v198, v16
	;; [unrolled: 1-line block ×4, first 2 shown]
	v_lshrrev_b32_e32 v212, 16, v161
	v_and_b32_e32 v161, 0xffff, v161
	v_mul_u32_u24_e32 v202, 0x10001, v209
	v_mul_u32_u24_e32 v160, 0x10001, v160
	v_pk_fma_f16 v20, v13, v199, v22
	v_pk_fma_f16 v12, v12, v200, v16
	v_pk_fma_f16 v13, v13, v200, v17
	v_pk_fma_f16 v16, v14, v201, v18
	v_dual_lshrrev_b32 v213, 16, v162 :: v_dual_lshrrev_b32 v214, 16, v163
	v_and_b32_e32 v162, 0xffff, v162
	v_mul_u32_u24_e32 v203, 0x10001, v211
	v_mul_u32_u24_e32 v161, 0x10001, v161
	v_pk_fma_f16 v18, v15, v201, v20
	v_pk_fma_f16 v12, v14, v202, v12
	v_pk_fma_f16 v13, v15, v202, v13
	v_pk_fma_f16 v14, v4, v160, v16
	v_and_b32_e32 v163, 0xffff, v163
	v_mul_u32_u24_e32 v204, 0x10001, v212
	v_mul_u32_u24_e32 v162, 0x10001, v162
	v_pk_fma_f16 v16, v5, v160, v18
	v_pk_fma_f16 v4, v4, v203, v12
	v_pk_fma_f16 v5, v5, v203, v13
	v_pk_fma_f16 v12, v6, v161, v14
	v_dual_lshrrev_b32 v215, 16, v164 :: v_dual_lshrrev_b32 v216, 16, v165
	v_and_b32_e32 v164, 0xffff, v164
	v_mul_u32_u24_e32 v205, 0x10001, v213
	v_mul_u32_u24_e32 v53, 0x10001, v163
	v_pk_fma_f16 v14, v7, v161, v16
	v_pk_fma_f16 v4, v6, v204, v4
	v_pk_fma_f16 v5, v7, v204, v5
	v_pk_fma_f16 v6, v8, v162, v12
	;; [unrolled: 15-line block ×7, first 2 shown]
	v_and_b32_e32 v175, 0xffff, v175
	v_mul_u32_u24_e32 v9, 0x10001, v224
	v_mul_u32_u24_e32 v11, 0x10001, v174
	v_pk_fma_f16 v4, v57, v5, v4
	v_pk_fma_f16 v0, v56, v3, v0
	;; [unrolled: 1-line block ×4, first 2 shown]
	v_and_b32_e32 v60, 0xffff, v60
	v_mul_u32_u24_e32 v12, 0x10001, v225
	v_mul_u32_u24_e32 v7, 0x10001, v175
	v_pk_fma_f16 v4, v59, v6, v4
	v_pk_fma_f16 v0, v58, v9, v0
	;; [unrolled: 1-line block ×3, first 2 shown]
	s_wait_dscnt 0x1
	v_pk_fma_f16 v2, v176, v11, v2
	v_mul_u32_u24_e32 v8, 0x10001, v226
	v_mul_u32_u24_e32 v3, 0x10001, v60
	v_pk_fma_f16 v4, v177, v11, v4
	v_pk_fma_f16 v0, v176, v12, v0
	;; [unrolled: 1-line block ×4, first 2 shown]
	ds_load_2addr_b64 v[64:67], v154 offset0:64 offset1:96
	ds_load_b128 v[68:71], v139 offset:144
	v_mul_u32_u24_e32 v5, 0x10001, v157
	v_mul_u32_u24_e32 v6, 0x10001, v54
	v_pk_fma_f16 v4, v179, v7, v4
	v_pk_fma_f16 v0, v178, v8, v0
	;; [unrolled: 1-line block ×3, first 2 shown]
	s_wait_dscnt 0x2
	v_pk_fma_f16 v2, v180, v3, v2
	v_mul_u32_u24_e32 v7, 0x10001, v148
	v_pk_fma_f16 v3, v181, v3, v4
	v_pk_fma_f16 v0, v180, v5, v0
	;; [unrolled: 1-line block ×4, first 2 shown]
	v_and_b32_e32 v2, 0xffff, v62
	v_dual_lshrrev_b32 v5, 16, v62 :: v_dual_lshrrev_b32 v11, 16, v63
	v_pk_fma_f16 v8, v182, v7, v0
	v_pk_fma_f16 v6, v183, v6, v3
	;; [unrolled: 1-line block ×3, first 2 shown]
	v_mul_u32_u24_e32 v9, 0x10001, v2
	ds_load_2addr_b64 v[0:3], v154 offset0:128 offset1:160
	v_mul_u32_u24_e32 v5, 0x10001, v5
	v_and_b32_e32 v10, 0xffff, v63
	s_wait_dscnt 0x1
	v_and_b32_e32 v18, 0xffff, v70
	v_pk_fma_f16 v4, v64, v9, v4
	v_pk_fma_f16 v6, v65, v9, v6
	;; [unrolled: 1-line block ×3, first 2 shown]
	v_mul_u32_u24_e32 v9, 0x10001, v10
	v_mul_u32_u24_e32 v10, 0x10001, v11
	v_pk_fma_f16 v11, v65, v5, v7
	v_and_b32_e32 v5, 0xffff, v68
	v_lshrrev_b32_e32 v7, 16, v68
	v_pk_fma_f16 v12, v66, v9, v4
	v_pk_fma_f16 v8, v66, v10, v8
	v_pk_fma_f16 v9, v67, v9, v6
	v_mul_u32_u24_e32 v13, 0x10001, v5
	v_pk_fma_f16 v15, v67, v10, v11
	v_and_b32_e32 v10, 0xffff, v69
	v_lshrrev_b32_e32 v11, 16, v69
	v_mul_u32_u24_e32 v14, 0x10001, v7
	ds_load_2addr_b64 v[4:7], v154 offset0:192 offset1:224
	s_wait_dscnt 0x1
	v_pk_fma_f16 v12, v0, v13, v12
	v_pk_fma_f16 v13, v1, v13, v9
	v_mul_u32_u24_e32 v16, 0x10001, v10
	v_pk_fma_f16 v0, v0, v14, v8
	v_mul_u32_u24_e32 v17, 0x10001, v11
	ds_load_b128 v[8:11], v139 offset:160
	v_pk_fma_f16 v1, v1, v14, v15
	v_add_nc_u32_e32 v20, 0x2800, v124
	v_pk_fma_f16 v12, v2, v16, v12
	v_pk_fma_f16 v14, v2, v17, v0
	v_dual_lshrrev_b32 v0, 16, v70 :: v_dual_lshrrev_b32 v19, 16, v71
	v_mul_u32_u24_e32 v15, 0x10001, v18
	v_pk_fma_f16 v13, v3, v16, v13
	v_pk_fma_f16 v16, v3, v17, v1
	s_delay_alu instid0(VALU_DEP_4)
	v_mul_u32_u24_e32 v17, 0x10001, v0
	ds_load_2addr_b64 v[0:3], v20 offset1:32
	v_mul_u32_u24_e32 v22, 0x10001, v19
	s_wait_dscnt 0x2
	v_pk_fma_f16 v18, v4, v15, v12
	v_and_b32_e32 v12, 0xffff, v71
	v_pk_fma_f16 v4, v4, v17, v14
	v_pk_fma_f16 v21, v5, v15, v13
	;; [unrolled: 1-line block ×3, first 2 shown]
	s_delay_alu instid0(VALU_DEP_4)
	v_mul_u32_u24_e32 v16, 0x10001, v12
	ds_load_b128 v[12:15], v139 offset:176
	s_wait_dscnt 0x2
	v_and_b32_e32 v17, 0xffff, v8
	v_lshrrev_b32_e32 v8, 16, v8
	v_pk_fma_f16 v4, v6, v22, v4
	v_pk_fma_f16 v23, v6, v16, v18
	;; [unrolled: 1-line block ×3, first 2 shown]
	v_mul_u32_u24_e32 v21, 0x10001, v17
	v_and_b32_e32 v24, 0xffff, v9
	ds_load_2addr_b64 v[16:19], v20 offset0:64 offset1:96
	v_pk_fma_f16 v5, v7, v22, v5
	v_lshrrev_b32_e32 v7, 16, v9
	v_mul_u32_u24_e32 v8, 0x10001, v8
	s_wait_dscnt 0x2
	v_pk_fma_f16 v9, v0, v21, v23
	v_mul_u32_u24_e32 v22, 0x10001, v24
	s_delay_alu instid0(VALU_DEP_3)
	v_pk_fma_f16 v0, v0, v8, v4
	v_pk_fma_f16 v4, v1, v21, v6
	v_mul_u32_u24_e32 v6, 0x10001, v7
	v_pk_fma_f16 v1, v1, v8, v5
	v_pk_fma_f16 v5, v2, v22, v9
	v_and_b32_e32 v7, 0xffff, v10
	v_lshrrev_b32_e32 v8, 16, v10
	v_pk_fma_f16 v9, v2, v6, v0
	v_pk_fma_f16 v4, v3, v22, v4
	;; [unrolled: 1-line block ×3, first 2 shown]
	ds_load_2addr_b64 v[0:3], v20 offset0:128 offset1:160
	v_mul_u32_u24_e32 v7, 0x10001, v7
	v_and_b32_e32 v10, 0xffff, v11
	v_lshrrev_b32_e32 v11, 16, v11
	v_mul_u32_u24_e32 v8, 0x10001, v8
	s_wait_dscnt 0x1
	v_pk_fma_f16 v5, v16, v7, v5
	v_pk_fma_f16 v4, v17, v7, v4
	v_mul_u32_u24_e32 v7, 0x10001, v10
	v_pk_fma_f16 v9, v16, v8, v9
	v_mul_u32_u24_e32 v10, 0x10001, v11
	v_pk_fma_f16 v8, v17, v8, v6
	v_and_b32_e32 v6, 0xffff, v12
	v_lshrrev_b32_e32 v11, 16, v12
	v_pk_fma_f16 v12, v18, v7, v5
	v_pk_fma_f16 v9, v18, v10, v9
	;; [unrolled: 1-line block ×3, first 2 shown]
	v_mul_u32_u24_e32 v17, 0x10001, v6
	ds_load_2addr_b64 v[4:7], v20 offset0:192 offset1:224
	v_pk_fma_f16 v19, v19, v10, v8
	v_and_b32_e32 v8, 0xffff, v13
	v_lshrrev_b32_e32 v10, 16, v13
	v_mul_u32_u24_e32 v18, 0x10001, v11
	s_wait_dscnt 0x1
	v_pk_fma_f16 v12, v0, v17, v12
	v_pk_fma_f16 v13, v1, v17, v16
	v_mul_u32_u24_e32 v16, 0x10001, v8
	v_mul_u32_u24_e32 v17, 0x10001, v10
	v_pk_fma_f16 v0, v0, v18, v9
	ds_load_b128 v[8:11], v139 offset:192
	v_and_b32_e32 v20, 0xffff, v14
	v_pk_fma_f16 v1, v1, v18, v19
	v_pk_fma_f16 v12, v2, v16, v12
	v_pk_fma_f16 v18, v2, v17, v0
	v_lshrrev_b32_e32 v0, 16, v14
	v_mul_u32_u24_e32 v14, 0x10001, v20
	v_add_nc_u32_e32 v20, 0x3000, v124
	v_pk_fma_f16 v13, v3, v16, v13
	v_pk_fma_f16 v16, v3, v17, v1
	s_wait_dscnt 0x1
	v_pk_fma_f16 v19, v4, v14, v12
	v_and_b32_e32 v12, 0xffff, v15
	v_lshrrev_b32_e32 v15, 16, v15
	v_mul_u32_u24_e32 v17, 0x10001, v0
	ds_load_2addr_b64 v[0:3], v20 offset1:32
	v_mul_u32_u24_e32 v21, 0x10001, v15
	v_pk_fma_f16 v4, v4, v17, v18
	v_pk_fma_f16 v18, v5, v14, v13
	;; [unrolled: 1-line block ×3, first 2 shown]
	v_mul_u32_u24_e32 v16, 0x10001, v12
	ds_load_b128 v[12:15], v139 offset:208
	s_wait_dscnt 0x2
	v_and_b32_e32 v17, 0xffff, v8
	v_lshrrev_b32_e32 v8, 16, v8
	v_pk_fma_f16 v4, v6, v21, v4
	v_pk_fma_f16 v22, v6, v16, v19
	;; [unrolled: 1-line block ×3, first 2 shown]
	v_mul_u32_u24_e32 v23, 0x10001, v17
	ds_load_2addr_b64 v[16:19], v20 offset0:64 offset1:96
	v_and_b32_e32 v24, 0xffff, v9
	v_pk_fma_f16 v5, v7, v21, v5
	v_lshrrev_b32_e32 v7, 16, v9
	v_mul_u32_u24_e32 v8, 0x10001, v8
	s_wait_dscnt 0x2
	v_pk_fma_f16 v9, v0, v23, v22
	v_mul_u32_u24_e32 v21, 0x10001, v24
	s_delay_alu instid0(VALU_DEP_3)
	v_pk_fma_f16 v0, v0, v8, v4
	v_pk_fma_f16 v4, v1, v23, v6
	v_mul_u32_u24_e32 v6, 0x10001, v7
	v_pk_fma_f16 v1, v1, v8, v5
	v_and_b32_e32 v7, 0xffff, v10
	v_lshrrev_b32_e32 v8, 16, v10
	v_pk_fma_f16 v5, v2, v21, v9
	v_pk_fma_f16 v9, v2, v6, v0
	;; [unrolled: 1-line block ×4, first 2 shown]
	v_mul_u32_u24_e32 v7, 0x10001, v7
	ds_load_2addr_b64 v[0:3], v20 offset0:128 offset1:160
	v_and_b32_e32 v10, 0xffff, v11
	v_lshrrev_b32_e32 v11, 16, v11
	v_mul_u32_u24_e32 v8, 0x10001, v8
	s_wait_dscnt 0x1
	v_pk_fma_f16 v5, v16, v7, v5
	v_pk_fma_f16 v4, v17, v7, v4
	v_mul_u32_u24_e32 v7, 0x10001, v10
	v_mul_u32_u24_e32 v10, 0x10001, v11
	v_pk_fma_f16 v9, v16, v8, v9
	v_pk_fma_f16 v8, v17, v8, v6
	v_and_b32_e32 v6, 0xffff, v12
	v_lshrrev_b32_e32 v11, 16, v12
	v_pk_fma_f16 v12, v18, v7, v5
	v_pk_fma_f16 v16, v19, v7, v4
	;; [unrolled: 1-line block ×3, first 2 shown]
	v_mul_u32_u24_e32 v17, 0x10001, v6
	ds_load_2addr_b64 v[4:7], v20 offset0:192 offset1:224
	v_pk_fma_f16 v19, v19, v10, v8
	v_and_b32_e32 v8, 0xffff, v13
	v_lshrrev_b32_e32 v10, 16, v13
	v_mul_u32_u24_e32 v18, 0x10001, v11
	s_wait_dscnt 0x1
	v_pk_fma_f16 v12, v0, v17, v12
	v_pk_fma_f16 v13, v1, v17, v16
	v_mul_u32_u24_e32 v16, 0x10001, v8
	v_mul_u32_u24_e32 v17, 0x10001, v10
	v_pk_fma_f16 v0, v0, v18, v9
	v_and_b32_e32 v20, 0xffff, v14
	ds_load_b128 v[8:11], v139 offset:224
	v_pk_fma_f16 v1, v1, v18, v19
	v_pk_fma_f16 v12, v2, v16, v12
	;; [unrolled: 1-line block ×3, first 2 shown]
	v_lshrrev_b32_e32 v0, 16, v14
	v_mul_u32_u24_e32 v14, 0x10001, v20
	v_add_nc_u32_e32 v20, 0x3800, v124
	v_pk_fma_f16 v13, v3, v16, v13
	v_pk_fma_f16 v16, v3, v17, v1
	s_wait_dscnt 0x1
	v_pk_fma_f16 v19, v4, v14, v12
	v_and_b32_e32 v12, 0xffff, v15
	v_lshrrev_b32_e32 v15, 16, v15
	v_mul_u32_u24_e32 v17, 0x10001, v0
	ds_load_2addr_b64 v[0:3], v20 offset1:32
	v_mul_u32_u24_e32 v21, 0x10001, v15
	v_pk_fma_f16 v4, v4, v17, v18
	v_pk_fma_f16 v18, v5, v14, v13
	;; [unrolled: 1-line block ×3, first 2 shown]
	v_mul_u32_u24_e32 v16, 0x10001, v12
	ds_load_b128 v[12:15], v139 offset:240
	s_wait_dscnt 0x2
	v_and_b32_e32 v17, 0xffff, v8
	v_lshrrev_b32_e32 v8, 16, v8
	v_pk_fma_f16 v4, v6, v21, v4
	v_pk_fma_f16 v22, v6, v16, v19
	;; [unrolled: 1-line block ×3, first 2 shown]
	v_mul_u32_u24_e32 v23, 0x10001, v17
	v_and_b32_e32 v24, 0xffff, v9
	ds_load_2addr_b64 v[16:19], v20 offset0:64 offset1:96
	v_pk_fma_f16 v5, v7, v21, v5
	v_lshrrev_b32_e32 v7, 16, v9
	v_mul_u32_u24_e32 v8, 0x10001, v8
	s_wait_dscnt 0x2
	v_pk_fma_f16 v9, v0, v23, v22
	v_mul_u32_u24_e32 v21, 0x10001, v24
	s_delay_alu instid0(VALU_DEP_3)
	v_pk_fma_f16 v0, v0, v8, v4
	v_pk_fma_f16 v4, v1, v23, v6
	v_mul_u32_u24_e32 v6, 0x10001, v7
	v_pk_fma_f16 v1, v1, v8, v5
	v_pk_fma_f16 v5, v2, v21, v9
	v_and_b32_e32 v7, 0xffff, v10
	v_lshrrev_b32_e32 v8, 16, v10
	v_pk_fma_f16 v9, v2, v6, v0
	v_pk_fma_f16 v4, v3, v21, v4
	;; [unrolled: 1-line block ×3, first 2 shown]
	ds_load_2addr_b64 v[0:3], v20 offset0:128 offset1:160
	v_mul_u32_u24_e32 v7, 0x10001, v7
	v_and_b32_e32 v10, 0xffff, v11
	v_lshrrev_b32_e32 v11, 16, v11
	v_mul_u32_u24_e32 v8, 0x10001, v8
	s_wait_dscnt 0x1
	v_pk_fma_f16 v5, v16, v7, v5
	v_pk_fma_f16 v4, v17, v7, v4
	v_mul_u32_u24_e32 v7, 0x10001, v10
	v_pk_fma_f16 v9, v16, v8, v9
	v_mul_u32_u24_e32 v10, 0x10001, v11
	v_pk_fma_f16 v8, v17, v8, v6
	v_and_b32_e32 v6, 0xffff, v12
	v_lshrrev_b32_e32 v11, 16, v12
	v_pk_fma_f16 v12, v18, v7, v5
	v_pk_fma_f16 v9, v18, v10, v9
	;; [unrolled: 1-line block ×3, first 2 shown]
	v_mul_u32_u24_e32 v17, 0x10001, v6
	ds_load_2addr_b64 v[4:7], v20 offset0:192 offset1:224
	v_pk_fma_f16 v19, v19, v10, v8
	v_and_b32_e32 v8, 0xffff, v13
	v_lshrrev_b32_e32 v10, 16, v13
	v_mul_u32_u24_e32 v18, 0x10001, v11
	s_wait_dscnt 0x1
	v_pk_fma_f16 v12, v0, v17, v12
	v_pk_fma_f16 v13, v1, v17, v16
	v_mul_u32_u24_e32 v16, 0x10001, v8
	v_mul_u32_u24_e32 v17, 0x10001, v10
	v_pk_fma_f16 v0, v0, v18, v9
	ds_load_b128 v[8:11], v139 offset:256
	v_and_b32_e32 v20, 0xffff, v14
	v_pk_fma_f16 v1, v1, v18, v19
	v_pk_fma_f16 v12, v2, v16, v12
	;; [unrolled: 1-line block ×3, first 2 shown]
	v_lshrrev_b32_e32 v0, 16, v14
	v_mul_u32_u24_e32 v14, 0x10001, v20
	v_add_nc_u32_e32 v20, 0x4000, v124
	v_pk_fma_f16 v13, v3, v16, v13
	v_pk_fma_f16 v16, v3, v17, v1
	s_wait_dscnt 0x1
	v_pk_fma_f16 v19, v4, v14, v12
	v_and_b32_e32 v12, 0xffff, v15
	v_lshrrev_b32_e32 v15, 16, v15
	v_mul_u32_u24_e32 v17, 0x10001, v0
	ds_load_2addr_b64 v[0:3], v20 offset1:32
	v_mul_u32_u24_e32 v21, 0x10001, v15
	v_pk_fma_f16 v4, v4, v17, v18
	v_pk_fma_f16 v18, v5, v14, v13
	;; [unrolled: 1-line block ×3, first 2 shown]
	v_mul_u32_u24_e32 v16, 0x10001, v12
	ds_load_b128 v[12:15], v139 offset:272
	s_wait_dscnt 0x2
	v_and_b32_e32 v17, 0xffff, v8
	v_lshrrev_b32_e32 v8, 16, v8
	v_pk_fma_f16 v4, v6, v21, v4
	v_pk_fma_f16 v22, v6, v16, v19
	;; [unrolled: 1-line block ×3, first 2 shown]
	v_mul_u32_u24_e32 v23, 0x10001, v17
	ds_load_2addr_b64 v[16:19], v20 offset0:64 offset1:96
	v_and_b32_e32 v24, 0xffff, v9
	v_pk_fma_f16 v5, v7, v21, v5
	v_lshrrev_b32_e32 v7, 16, v9
	v_mul_u32_u24_e32 v8, 0x10001, v8
	s_wait_dscnt 0x2
	v_pk_fma_f16 v9, v0, v23, v22
	v_mul_u32_u24_e32 v21, 0x10001, v24
	s_delay_alu instid0(VALU_DEP_3)
	v_pk_fma_f16 v0, v0, v8, v4
	v_pk_fma_f16 v4, v1, v23, v6
	v_mul_u32_u24_e32 v6, 0x10001, v7
	v_pk_fma_f16 v1, v1, v8, v5
	v_and_b32_e32 v7, 0xffff, v10
	v_lshrrev_b32_e32 v8, 16, v10
	v_pk_fma_f16 v5, v2, v21, v9
	v_pk_fma_f16 v9, v2, v6, v0
	;; [unrolled: 1-line block ×4, first 2 shown]
	v_mul_u32_u24_e32 v7, 0x10001, v7
	ds_load_2addr_b64 v[0:3], v20 offset0:128 offset1:160
	v_and_b32_e32 v10, 0xffff, v11
	v_lshrrev_b32_e32 v11, 16, v11
	v_mul_u32_u24_e32 v8, 0x10001, v8
	s_wait_dscnt 0x1
	v_pk_fma_f16 v5, v16, v7, v5
	v_pk_fma_f16 v4, v17, v7, v4
	v_mul_u32_u24_e32 v7, 0x10001, v10
	v_mul_u32_u24_e32 v10, 0x10001, v11
	v_pk_fma_f16 v9, v16, v8, v9
	v_pk_fma_f16 v8, v17, v8, v6
	v_and_b32_e32 v6, 0xffff, v12
	v_lshrrev_b32_e32 v11, 16, v12
	v_pk_fma_f16 v12, v18, v7, v5
	v_pk_fma_f16 v16, v19, v7, v4
	;; [unrolled: 1-line block ×3, first 2 shown]
	v_mul_u32_u24_e32 v17, 0x10001, v6
	ds_load_2addr_b64 v[4:7], v20 offset0:192 offset1:224
	v_pk_fma_f16 v19, v19, v10, v8
	v_and_b32_e32 v8, 0xffff, v13
	v_lshrrev_b32_e32 v10, 16, v13
	v_mul_u32_u24_e32 v18, 0x10001, v11
	s_wait_dscnt 0x1
	v_pk_fma_f16 v12, v0, v17, v12
	v_pk_fma_f16 v13, v1, v17, v16
	v_mul_u32_u24_e32 v16, 0x10001, v8
	v_mul_u32_u24_e32 v17, 0x10001, v10
	v_pk_fma_f16 v0, v0, v18, v9
	v_and_b32_e32 v20, 0xffff, v14
	ds_load_b128 v[8:11], v139 offset:288
	v_pk_fma_f16 v1, v1, v18, v19
	v_pk_fma_f16 v12, v2, v16, v12
	;; [unrolled: 1-line block ×3, first 2 shown]
	v_lshrrev_b32_e32 v0, 16, v14
	v_mul_u32_u24_e32 v14, 0x10001, v20
	v_add_nc_u32_e32 v20, 0x4800, v124
	v_pk_fma_f16 v13, v3, v16, v13
	v_pk_fma_f16 v16, v3, v17, v1
	s_wait_dscnt 0x1
	v_pk_fma_f16 v19, v4, v14, v12
	v_and_b32_e32 v12, 0xffff, v15
	v_lshrrev_b32_e32 v15, 16, v15
	v_mul_u32_u24_e32 v17, 0x10001, v0
	ds_load_2addr_b64 v[0:3], v20 offset1:32
	v_mul_u32_u24_e32 v21, 0x10001, v15
	v_pk_fma_f16 v4, v4, v17, v18
	v_pk_fma_f16 v18, v5, v14, v13
	;; [unrolled: 1-line block ×3, first 2 shown]
	v_mul_u32_u24_e32 v16, 0x10001, v12
	ds_load_b128 v[12:15], v139 offset:304
	s_wait_dscnt 0x2
	v_and_b32_e32 v17, 0xffff, v8
	v_lshrrev_b32_e32 v8, 16, v8
	v_pk_fma_f16 v4, v6, v21, v4
	v_pk_fma_f16 v22, v6, v16, v19
	;; [unrolled: 1-line block ×3, first 2 shown]
	v_mul_u32_u24_e32 v23, 0x10001, v17
	v_and_b32_e32 v24, 0xffff, v9
	ds_load_2addr_b64 v[16:19], v20 offset0:64 offset1:96
	v_pk_fma_f16 v5, v7, v21, v5
	v_lshrrev_b32_e32 v7, 16, v9
	v_mul_u32_u24_e32 v8, 0x10001, v8
	s_wait_dscnt 0x2
	v_pk_fma_f16 v9, v0, v23, v22
	v_mul_u32_u24_e32 v21, 0x10001, v24
	s_delay_alu instid0(VALU_DEP_3)
	v_pk_fma_f16 v0, v0, v8, v4
	v_pk_fma_f16 v4, v1, v23, v6
	v_mul_u32_u24_e32 v6, 0x10001, v7
	v_pk_fma_f16 v1, v1, v8, v5
	v_pk_fma_f16 v5, v2, v21, v9
	v_and_b32_e32 v7, 0xffff, v10
	v_lshrrev_b32_e32 v8, 16, v10
	v_pk_fma_f16 v9, v2, v6, v0
	v_pk_fma_f16 v4, v3, v21, v4
	;; [unrolled: 1-line block ×3, first 2 shown]
	ds_load_2addr_b64 v[0:3], v20 offset0:128 offset1:160
	v_mul_u32_u24_e32 v7, 0x10001, v7
	v_and_b32_e32 v10, 0xffff, v11
	v_lshrrev_b32_e32 v11, 16, v11
	v_mul_u32_u24_e32 v8, 0x10001, v8
	s_wait_dscnt 0x1
	v_pk_fma_f16 v5, v16, v7, v5
	v_pk_fma_f16 v4, v17, v7, v4
	v_mul_u32_u24_e32 v7, 0x10001, v10
	v_pk_fma_f16 v9, v16, v8, v9
	v_mul_u32_u24_e32 v10, 0x10001, v11
	v_pk_fma_f16 v8, v17, v8, v6
	v_and_b32_e32 v6, 0xffff, v12
	v_lshrrev_b32_e32 v11, 16, v12
	v_pk_fma_f16 v12, v18, v7, v5
	v_pk_fma_f16 v9, v18, v10, v9
	;; [unrolled: 1-line block ×3, first 2 shown]
	v_mul_u32_u24_e32 v17, 0x10001, v6
	ds_load_2addr_b64 v[4:7], v20 offset0:192 offset1:224
	v_pk_fma_f16 v19, v19, v10, v8
	v_and_b32_e32 v8, 0xffff, v13
	v_lshrrev_b32_e32 v10, 16, v13
	v_mul_u32_u24_e32 v18, 0x10001, v11
	s_wait_dscnt 0x1
	v_pk_fma_f16 v12, v0, v17, v12
	v_pk_fma_f16 v13, v1, v17, v16
	v_mul_u32_u24_e32 v16, 0x10001, v8
	v_mul_u32_u24_e32 v17, 0x10001, v10
	v_pk_fma_f16 v0, v0, v18, v9
	ds_load_b128 v[8:11], v139 offset:320
	v_and_b32_e32 v20, 0xffff, v14
	v_pk_fma_f16 v1, v1, v18, v19
	v_pk_fma_f16 v12, v2, v16, v12
	;; [unrolled: 1-line block ×3, first 2 shown]
	v_lshrrev_b32_e32 v0, 16, v14
	v_mul_u32_u24_e32 v14, 0x10001, v20
	v_add_nc_u32_e32 v20, 0x5000, v124
	v_pk_fma_f16 v13, v3, v16, v13
	v_pk_fma_f16 v16, v3, v17, v1
	s_wait_dscnt 0x1
	v_pk_fma_f16 v19, v4, v14, v12
	v_and_b32_e32 v12, 0xffff, v15
	v_lshrrev_b32_e32 v15, 16, v15
	v_mul_u32_u24_e32 v17, 0x10001, v0
	ds_load_2addr_b64 v[0:3], v20 offset1:32
	v_mul_u32_u24_e32 v21, 0x10001, v15
	v_pk_fma_f16 v4, v4, v17, v18
	v_pk_fma_f16 v18, v5, v14, v13
	;; [unrolled: 1-line block ×3, first 2 shown]
	v_mul_u32_u24_e32 v16, 0x10001, v12
	ds_load_b128 v[12:15], v139 offset:336
	s_wait_dscnt 0x2
	v_and_b32_e32 v17, 0xffff, v8
	v_lshrrev_b32_e32 v8, 16, v8
	v_pk_fma_f16 v4, v6, v21, v4
	v_pk_fma_f16 v22, v6, v16, v19
	;; [unrolled: 1-line block ×3, first 2 shown]
	v_mul_u32_u24_e32 v23, 0x10001, v17
	ds_load_2addr_b64 v[16:19], v20 offset0:64 offset1:96
	v_and_b32_e32 v24, 0xffff, v9
	v_pk_fma_f16 v5, v7, v21, v5
	v_lshrrev_b32_e32 v7, 16, v9
	v_mul_u32_u24_e32 v8, 0x10001, v8
	s_wait_dscnt 0x2
	v_pk_fma_f16 v9, v0, v23, v22
	v_mul_u32_u24_e32 v21, 0x10001, v24
	s_delay_alu instid0(VALU_DEP_3)
	v_pk_fma_f16 v0, v0, v8, v4
	v_pk_fma_f16 v4, v1, v23, v6
	v_mul_u32_u24_e32 v6, 0x10001, v7
	v_pk_fma_f16 v1, v1, v8, v5
	v_and_b32_e32 v7, 0xffff, v10
	v_lshrrev_b32_e32 v8, 16, v10
	v_pk_fma_f16 v5, v2, v21, v9
	v_pk_fma_f16 v9, v2, v6, v0
	;; [unrolled: 1-line block ×4, first 2 shown]
	v_mul_u32_u24_e32 v7, 0x10001, v7
	ds_load_2addr_b64 v[0:3], v20 offset0:128 offset1:160
	v_and_b32_e32 v10, 0xffff, v11
	v_lshrrev_b32_e32 v11, 16, v11
	v_mul_u32_u24_e32 v8, 0x10001, v8
	s_wait_dscnt 0x1
	v_pk_fma_f16 v5, v16, v7, v5
	v_pk_fma_f16 v4, v17, v7, v4
	v_mul_u32_u24_e32 v7, 0x10001, v10
	v_mul_u32_u24_e32 v10, 0x10001, v11
	v_pk_fma_f16 v9, v16, v8, v9
	v_pk_fma_f16 v8, v17, v8, v6
	v_and_b32_e32 v6, 0xffff, v12
	v_lshrrev_b32_e32 v11, 16, v12
	v_pk_fma_f16 v12, v18, v7, v5
	v_pk_fma_f16 v16, v19, v7, v4
	;; [unrolled: 1-line block ×3, first 2 shown]
	v_mul_u32_u24_e32 v17, 0x10001, v6
	ds_load_2addr_b64 v[4:7], v20 offset0:192 offset1:224
	v_pk_fma_f16 v19, v19, v10, v8
	v_and_b32_e32 v8, 0xffff, v13
	v_lshrrev_b32_e32 v10, 16, v13
	v_mul_u32_u24_e32 v18, 0x10001, v11
	s_wait_dscnt 0x1
	v_pk_fma_f16 v12, v0, v17, v12
	v_pk_fma_f16 v13, v1, v17, v16
	v_mul_u32_u24_e32 v16, 0x10001, v8
	v_mul_u32_u24_e32 v17, 0x10001, v10
	v_pk_fma_f16 v0, v0, v18, v9
	v_and_b32_e32 v20, 0xffff, v14
	ds_load_b128 v[8:11], v139 offset:352
	v_pk_fma_f16 v1, v1, v18, v19
	v_pk_fma_f16 v12, v2, v16, v12
	;; [unrolled: 1-line block ×3, first 2 shown]
	v_lshrrev_b32_e32 v0, 16, v14
	v_mul_u32_u24_e32 v14, 0x10001, v20
	v_add_nc_u32_e32 v20, 0x5800, v124
	v_pk_fma_f16 v13, v3, v16, v13
	v_pk_fma_f16 v16, v3, v17, v1
	s_wait_dscnt 0x1
	v_pk_fma_f16 v19, v4, v14, v12
	v_and_b32_e32 v12, 0xffff, v15
	v_lshrrev_b32_e32 v15, 16, v15
	v_mul_u32_u24_e32 v17, 0x10001, v0
	ds_load_2addr_b64 v[0:3], v20 offset1:32
	v_mul_u32_u24_e32 v21, 0x10001, v15
	v_pk_fma_f16 v4, v4, v17, v18
	v_pk_fma_f16 v18, v5, v14, v13
	;; [unrolled: 1-line block ×3, first 2 shown]
	v_mul_u32_u24_e32 v16, 0x10001, v12
	ds_load_b128 v[12:15], v139 offset:368
	s_wait_dscnt 0x2
	v_and_b32_e32 v17, 0xffff, v8
	v_lshrrev_b32_e32 v8, 16, v8
	v_pk_fma_f16 v4, v6, v21, v4
	v_pk_fma_f16 v22, v6, v16, v19
	;; [unrolled: 1-line block ×3, first 2 shown]
	v_mul_u32_u24_e32 v23, 0x10001, v17
	v_and_b32_e32 v24, 0xffff, v9
	ds_load_2addr_b64 v[16:19], v20 offset0:64 offset1:96
	v_pk_fma_f16 v5, v7, v21, v5
	v_lshrrev_b32_e32 v7, 16, v9
	v_mul_u32_u24_e32 v8, 0x10001, v8
	s_wait_dscnt 0x2
	v_pk_fma_f16 v9, v0, v23, v22
	v_mul_u32_u24_e32 v21, 0x10001, v24
	s_delay_alu instid0(VALU_DEP_3)
	v_pk_fma_f16 v0, v0, v8, v4
	v_pk_fma_f16 v4, v1, v23, v6
	v_mul_u32_u24_e32 v6, 0x10001, v7
	v_pk_fma_f16 v1, v1, v8, v5
	v_pk_fma_f16 v5, v2, v21, v9
	v_and_b32_e32 v7, 0xffff, v10
	v_lshrrev_b32_e32 v8, 16, v10
	v_pk_fma_f16 v9, v2, v6, v0
	v_pk_fma_f16 v4, v3, v21, v4
	v_pk_fma_f16 v6, v3, v6, v1
	ds_load_2addr_b64 v[0:3], v20 offset0:128 offset1:160
	v_mul_u32_u24_e32 v7, 0x10001, v7
	v_and_b32_e32 v10, 0xffff, v11
	v_lshrrev_b32_e32 v11, 16, v11
	v_mul_u32_u24_e32 v8, 0x10001, v8
	s_wait_dscnt 0x1
	v_pk_fma_f16 v5, v16, v7, v5
	v_pk_fma_f16 v4, v17, v7, v4
	v_mul_u32_u24_e32 v7, 0x10001, v10
	v_pk_fma_f16 v9, v16, v8, v9
	v_mul_u32_u24_e32 v10, 0x10001, v11
	v_pk_fma_f16 v8, v17, v8, v6
	v_and_b32_e32 v6, 0xffff, v12
	v_lshrrev_b32_e32 v11, 16, v12
	v_pk_fma_f16 v12, v18, v7, v5
	v_pk_fma_f16 v9, v18, v10, v9
	;; [unrolled: 1-line block ×3, first 2 shown]
	v_mul_u32_u24_e32 v17, 0x10001, v6
	ds_load_2addr_b64 v[4:7], v20 offset0:192 offset1:224
	v_pk_fma_f16 v19, v19, v10, v8
	v_and_b32_e32 v8, 0xffff, v13
	v_lshrrev_b32_e32 v10, 16, v13
	v_mul_u32_u24_e32 v18, 0x10001, v11
	s_wait_dscnt 0x1
	v_pk_fma_f16 v12, v0, v17, v12
	v_pk_fma_f16 v13, v1, v17, v16
	v_mul_u32_u24_e32 v16, 0x10001, v8
	v_mul_u32_u24_e32 v17, 0x10001, v10
	v_pk_fma_f16 v0, v0, v18, v9
	ds_load_b128 v[8:11], v139 offset:384
	v_and_b32_e32 v20, 0xffff, v14
	v_pk_fma_f16 v1, v1, v18, v19
	v_pk_fma_f16 v12, v2, v16, v12
	;; [unrolled: 1-line block ×3, first 2 shown]
	v_lshrrev_b32_e32 v0, 16, v14
	v_mul_u32_u24_e32 v14, 0x10001, v20
	v_add_nc_u32_e32 v20, 0x6000, v124
	v_pk_fma_f16 v13, v3, v16, v13
	v_pk_fma_f16 v16, v3, v17, v1
	s_wait_dscnt 0x1
	v_pk_fma_f16 v19, v4, v14, v12
	v_and_b32_e32 v12, 0xffff, v15
	v_lshrrev_b32_e32 v15, 16, v15
	v_mul_u32_u24_e32 v17, 0x10001, v0
	ds_load_2addr_b64 v[0:3], v20 offset1:32
	v_mul_u32_u24_e32 v21, 0x10001, v15
	v_pk_fma_f16 v4, v4, v17, v18
	v_pk_fma_f16 v18, v5, v14, v13
	;; [unrolled: 1-line block ×3, first 2 shown]
	v_mul_u32_u24_e32 v16, 0x10001, v12
	ds_load_b128 v[12:15], v139 offset:400
	s_wait_dscnt 0x2
	v_and_b32_e32 v17, 0xffff, v8
	v_lshrrev_b32_e32 v8, 16, v8
	v_pk_fma_f16 v4, v6, v21, v4
	v_pk_fma_f16 v22, v6, v16, v19
	;; [unrolled: 1-line block ×3, first 2 shown]
	v_mul_u32_u24_e32 v23, 0x10001, v17
	ds_load_2addr_b64 v[16:19], v20 offset0:64 offset1:96
	v_and_b32_e32 v24, 0xffff, v9
	v_pk_fma_f16 v5, v7, v21, v5
	v_lshrrev_b32_e32 v7, 16, v9
	v_mul_u32_u24_e32 v8, 0x10001, v8
	s_wait_dscnt 0x2
	v_pk_fma_f16 v9, v0, v23, v22
	v_mul_u32_u24_e32 v21, 0x10001, v24
	s_delay_alu instid0(VALU_DEP_3)
	v_pk_fma_f16 v0, v0, v8, v4
	v_pk_fma_f16 v4, v1, v23, v6
	v_mul_u32_u24_e32 v6, 0x10001, v7
	v_pk_fma_f16 v1, v1, v8, v5
	v_and_b32_e32 v7, 0xffff, v10
	v_lshrrev_b32_e32 v8, 16, v10
	v_pk_fma_f16 v5, v2, v21, v9
	v_pk_fma_f16 v9, v2, v6, v0
	;; [unrolled: 1-line block ×4, first 2 shown]
	v_mul_u32_u24_e32 v7, 0x10001, v7
	ds_load_2addr_b64 v[0:3], v20 offset0:128 offset1:160
	v_and_b32_e32 v10, 0xffff, v11
	v_lshrrev_b32_e32 v11, 16, v11
	v_mul_u32_u24_e32 v8, 0x10001, v8
	s_wait_dscnt 0x1
	v_pk_fma_f16 v5, v16, v7, v5
	v_pk_fma_f16 v4, v17, v7, v4
	v_mul_u32_u24_e32 v7, 0x10001, v10
	v_mul_u32_u24_e32 v10, 0x10001, v11
	v_pk_fma_f16 v9, v16, v8, v9
	v_pk_fma_f16 v8, v17, v8, v6
	v_and_b32_e32 v6, 0xffff, v12
	v_lshrrev_b32_e32 v11, 16, v12
	v_pk_fma_f16 v12, v18, v7, v5
	v_pk_fma_f16 v16, v19, v7, v4
	;; [unrolled: 1-line block ×3, first 2 shown]
	v_mul_u32_u24_e32 v17, 0x10001, v6
	ds_load_2addr_b64 v[4:7], v20 offset0:192 offset1:224
	v_pk_fma_f16 v19, v19, v10, v8
	v_and_b32_e32 v8, 0xffff, v13
	v_lshrrev_b32_e32 v10, 16, v13
	v_mul_u32_u24_e32 v18, 0x10001, v11
	s_wait_dscnt 0x1
	v_pk_fma_f16 v12, v0, v17, v12
	v_pk_fma_f16 v13, v1, v17, v16
	v_mul_u32_u24_e32 v16, 0x10001, v8
	v_mul_u32_u24_e32 v17, 0x10001, v10
	v_pk_fma_f16 v0, v0, v18, v9
	v_and_b32_e32 v20, 0xffff, v14
	ds_load_b128 v[8:11], v139 offset:416
	v_pk_fma_f16 v1, v1, v18, v19
	v_pk_fma_f16 v12, v2, v16, v12
	;; [unrolled: 1-line block ×3, first 2 shown]
	v_lshrrev_b32_e32 v0, 16, v14
	v_mul_u32_u24_e32 v14, 0x10001, v20
	v_add_nc_u32_e32 v20, 0x6800, v124
	v_pk_fma_f16 v13, v3, v16, v13
	v_pk_fma_f16 v16, v3, v17, v1
	s_wait_dscnt 0x1
	v_pk_fma_f16 v19, v4, v14, v12
	v_and_b32_e32 v12, 0xffff, v15
	v_lshrrev_b32_e32 v15, 16, v15
	v_mul_u32_u24_e32 v17, 0x10001, v0
	ds_load_2addr_b64 v[0:3], v20 offset1:32
	v_mul_u32_u24_e32 v21, 0x10001, v15
	v_pk_fma_f16 v4, v4, v17, v18
	v_pk_fma_f16 v18, v5, v14, v13
	;; [unrolled: 1-line block ×3, first 2 shown]
	v_mul_u32_u24_e32 v16, 0x10001, v12
	ds_load_b128 v[12:15], v139 offset:432
	s_wait_dscnt 0x2
	v_and_b32_e32 v17, 0xffff, v8
	v_lshrrev_b32_e32 v8, 16, v8
	v_pk_fma_f16 v4, v6, v21, v4
	v_pk_fma_f16 v22, v6, v16, v19
	;; [unrolled: 1-line block ×3, first 2 shown]
	v_mul_u32_u24_e32 v23, 0x10001, v17
	v_and_b32_e32 v24, 0xffff, v9
	ds_load_2addr_b64 v[16:19], v20 offset0:64 offset1:96
	v_pk_fma_f16 v5, v7, v21, v5
	v_lshrrev_b32_e32 v7, 16, v9
	v_mul_u32_u24_e32 v8, 0x10001, v8
	s_wait_dscnt 0x2
	v_pk_fma_f16 v9, v0, v23, v22
	v_mul_u32_u24_e32 v21, 0x10001, v24
	s_delay_alu instid0(VALU_DEP_3)
	v_pk_fma_f16 v0, v0, v8, v4
	v_pk_fma_f16 v4, v1, v23, v6
	v_mul_u32_u24_e32 v6, 0x10001, v7
	v_pk_fma_f16 v1, v1, v8, v5
	v_pk_fma_f16 v5, v2, v21, v9
	v_and_b32_e32 v7, 0xffff, v10
	v_lshrrev_b32_e32 v8, 16, v10
	v_pk_fma_f16 v9, v2, v6, v0
	v_pk_fma_f16 v4, v3, v21, v4
	;; [unrolled: 1-line block ×3, first 2 shown]
	ds_load_2addr_b64 v[0:3], v20 offset0:128 offset1:160
	v_mul_u32_u24_e32 v7, 0x10001, v7
	v_and_b32_e32 v10, 0xffff, v11
	v_lshrrev_b32_e32 v11, 16, v11
	v_mul_u32_u24_e32 v8, 0x10001, v8
	s_wait_dscnt 0x1
	v_pk_fma_f16 v5, v16, v7, v5
	v_pk_fma_f16 v4, v17, v7, v4
	v_mul_u32_u24_e32 v7, 0x10001, v10
	v_pk_fma_f16 v9, v16, v8, v9
	v_mul_u32_u24_e32 v10, 0x10001, v11
	v_pk_fma_f16 v8, v17, v8, v6
	v_and_b32_e32 v6, 0xffff, v12
	v_lshrrev_b32_e32 v11, 16, v12
	v_pk_fma_f16 v12, v18, v7, v5
	v_pk_fma_f16 v9, v18, v10, v9
	;; [unrolled: 1-line block ×3, first 2 shown]
	v_mul_u32_u24_e32 v17, 0x10001, v6
	ds_load_2addr_b64 v[4:7], v20 offset0:192 offset1:224
	v_pk_fma_f16 v19, v19, v10, v8
	v_and_b32_e32 v8, 0xffff, v13
	v_lshrrev_b32_e32 v10, 16, v13
	v_mul_u32_u24_e32 v18, 0x10001, v11
	s_wait_dscnt 0x1
	v_pk_fma_f16 v12, v0, v17, v12
	v_pk_fma_f16 v13, v1, v17, v16
	v_mul_u32_u24_e32 v16, 0x10001, v8
	v_mul_u32_u24_e32 v17, 0x10001, v10
	v_pk_fma_f16 v0, v0, v18, v9
	ds_load_b128 v[8:11], v139 offset:448
	v_and_b32_e32 v20, 0xffff, v14
	v_pk_fma_f16 v1, v1, v18, v19
	v_pk_fma_f16 v12, v2, v16, v12
	;; [unrolled: 1-line block ×3, first 2 shown]
	v_lshrrev_b32_e32 v0, 16, v14
	v_mul_u32_u24_e32 v14, 0x10001, v20
	v_add_nc_u32_e32 v20, 0x7000, v124
	v_pk_fma_f16 v13, v3, v16, v13
	v_pk_fma_f16 v16, v3, v17, v1
	s_wait_dscnt 0x1
	v_pk_fma_f16 v19, v4, v14, v12
	v_and_b32_e32 v12, 0xffff, v15
	v_lshrrev_b32_e32 v15, 16, v15
	v_mul_u32_u24_e32 v17, 0x10001, v0
	ds_load_2addr_b64 v[0:3], v20 offset1:32
	v_mul_u32_u24_e32 v21, 0x10001, v15
	v_pk_fma_f16 v4, v4, v17, v18
	v_pk_fma_f16 v18, v5, v14, v13
	;; [unrolled: 1-line block ×3, first 2 shown]
	v_mul_u32_u24_e32 v16, 0x10001, v12
	ds_load_b128 v[12:15], v139 offset:464
	s_wait_dscnt 0x2
	v_and_b32_e32 v17, 0xffff, v8
	v_lshrrev_b32_e32 v8, 16, v8
	v_pk_fma_f16 v4, v6, v21, v4
	v_pk_fma_f16 v22, v6, v16, v19
	v_pk_fma_f16 v6, v7, v16, v18
	v_mul_u32_u24_e32 v23, 0x10001, v17
	ds_load_2addr_b64 v[16:19], v20 offset0:64 offset1:96
	v_and_b32_e32 v24, 0xffff, v9
	v_pk_fma_f16 v5, v7, v21, v5
	v_lshrrev_b32_e32 v7, 16, v9
	v_mul_u32_u24_e32 v8, 0x10001, v8
	s_wait_dscnt 0x2
	v_pk_fma_f16 v9, v0, v23, v22
	v_mul_u32_u24_e32 v21, 0x10001, v24
	s_delay_alu instid0(VALU_DEP_3)
	v_pk_fma_f16 v0, v0, v8, v4
	v_pk_fma_f16 v4, v1, v23, v6
	v_mul_u32_u24_e32 v6, 0x10001, v7
	v_pk_fma_f16 v1, v1, v8, v5
	v_and_b32_e32 v7, 0xffff, v10
	v_lshrrev_b32_e32 v8, 16, v10
	v_pk_fma_f16 v5, v2, v21, v9
	v_pk_fma_f16 v9, v2, v6, v0
	;; [unrolled: 1-line block ×4, first 2 shown]
	v_mul_u32_u24_e32 v7, 0x10001, v7
	ds_load_2addr_b64 v[0:3], v20 offset0:128 offset1:160
	v_and_b32_e32 v10, 0xffff, v11
	v_lshrrev_b32_e32 v11, 16, v11
	v_mul_u32_u24_e32 v8, 0x10001, v8
	s_wait_dscnt 0x1
	v_pk_fma_f16 v5, v16, v7, v5
	v_pk_fma_f16 v4, v17, v7, v4
	v_mul_u32_u24_e32 v7, 0x10001, v10
	v_mul_u32_u24_e32 v10, 0x10001, v11
	v_pk_fma_f16 v9, v16, v8, v9
	v_pk_fma_f16 v8, v17, v8, v6
	v_and_b32_e32 v6, 0xffff, v12
	v_lshrrev_b32_e32 v11, 16, v12
	v_pk_fma_f16 v12, v18, v7, v5
	v_pk_fma_f16 v16, v19, v7, v4
	;; [unrolled: 1-line block ×3, first 2 shown]
	v_mul_u32_u24_e32 v17, 0x10001, v6
	ds_load_2addr_b64 v[4:7], v20 offset0:192 offset1:224
	v_pk_fma_f16 v19, v19, v10, v8
	v_and_b32_e32 v8, 0xffff, v13
	v_lshrrev_b32_e32 v10, 16, v13
	v_mul_u32_u24_e32 v18, 0x10001, v11
	s_wait_dscnt 0x1
	v_pk_fma_f16 v12, v0, v17, v12
	v_pk_fma_f16 v13, v1, v17, v16
	v_mul_u32_u24_e32 v16, 0x10001, v8
	v_mul_u32_u24_e32 v17, 0x10001, v10
	v_pk_fma_f16 v0, v0, v18, v9
	v_and_b32_e32 v20, 0xffff, v14
	ds_load_b128 v[8:11], v139 offset:480
	v_pk_fma_f16 v1, v1, v18, v19
	v_pk_fma_f16 v12, v2, v16, v12
	;; [unrolled: 1-line block ×3, first 2 shown]
	v_lshrrev_b32_e32 v0, 16, v14
	v_mul_u32_u24_e32 v14, 0x10001, v20
	v_add_nc_u32_e32 v20, 0x7800, v124
	v_pk_fma_f16 v13, v3, v16, v13
	v_pk_fma_f16 v16, v3, v17, v1
	s_wait_dscnt 0x1
	v_pk_fma_f16 v19, v4, v14, v12
	v_and_b32_e32 v12, 0xffff, v15
	v_lshrrev_b32_e32 v15, 16, v15
	v_mul_u32_u24_e32 v17, 0x10001, v0
	ds_load_2addr_b64 v[0:3], v20 offset1:32
	v_mul_u32_u24_e32 v21, 0x10001, v15
	v_pk_fma_f16 v4, v4, v17, v18
	v_pk_fma_f16 v18, v5, v14, v13
	;; [unrolled: 1-line block ×3, first 2 shown]
	v_mul_u32_u24_e32 v16, 0x10001, v12
	ds_load_b128 v[12:15], v139 offset:496
	s_wait_dscnt 0x2
	v_and_b32_e32 v17, 0xffff, v8
	v_lshrrev_b32_e32 v8, 16, v8
	v_pk_fma_f16 v4, v6, v21, v4
	v_pk_fma_f16 v22, v6, v16, v19
	;; [unrolled: 1-line block ×3, first 2 shown]
	v_mul_u32_u24_e32 v23, 0x10001, v17
	v_and_b32_e32 v24, 0xffff, v9
	ds_load_2addr_b64 v[16:19], v20 offset0:64 offset1:96
	v_pk_fma_f16 v5, v7, v21, v5
	v_lshrrev_b32_e32 v7, 16, v9
	v_mul_u32_u24_e32 v8, 0x10001, v8
	s_wait_dscnt 0x2
	v_pk_fma_f16 v9, v0, v23, v22
	v_pk_fma_f16 v6, v1, v23, v6
	v_mul_u32_u24_e32 v21, 0x10001, v7
	v_pk_fma_f16 v0, v0, v8, v4
	v_mul_u32_u24_e32 v4, 0x10001, v24
	v_pk_fma_f16 v1, v1, v8, v5
	v_and_b32_e32 v5, 0xffff, v10
	s_delay_alu instid0(VALU_DEP_4) | instskip(NEXT) | instid1(VALU_DEP_4)
	v_pk_fma_f16 v0, v2, v21, v0
	v_pk_fma_f16 v8, v2, v4, v9
	v_lshrrev_b32_e32 v9, 16, v10
	v_pk_fma_f16 v2, v3, v4, v6
	v_mul_u32_u24_e32 v10, 0x10001, v5
	ds_load_2addr_b64 v[4:7], v20 offset0:128 offset1:160
	v_pk_fma_f16 v1, v3, v21, v1
	v_and_b32_e32 v3, 0xffff, v11
	v_lshrrev_b32_e32 v11, 16, v11
	v_mul_u32_u24_e32 v9, 0x10001, v9
	s_wait_dscnt 0x1
	v_pk_fma_f16 v8, v16, v10, v8
	v_pk_fma_f16 v2, v17, v10, v2
	v_mul_u32_u24_e32 v3, 0x10001, v3
	v_mul_u32_u24_e32 v10, 0x10001, v11
	v_pk_fma_f16 v0, v16, v9, v0
	v_and_b32_e32 v11, 0xffff, v12
	v_lshrrev_b32_e32 v12, 16, v12
	v_pk_fma_f16 v1, v17, v9, v1
	v_pk_fma_f16 v16, v18, v3, v8
	v_pk_fma_f16 v0, v18, v10, v0
	v_mul_u32_u24_e32 v11, 0x10001, v11
	v_and_b32_e32 v18, 0xffff, v13
	v_lshrrev_b32_e32 v13, 16, v13
	v_mul_u32_u24_e32 v12, 0x10001, v12
	v_pk_fma_f16 v17, v19, v3, v2
	v_pk_fma_f16 v10, v19, v10, v1
	s_wait_dscnt 0x0
	v_pk_fma_f16 v16, v4, v11, v16
	v_pk_add_f32 v[8:9], v[118:119], v[120:121]
	v_pk_fma_f16 v4, v4, v12, v0
	ds_load_2addr_b64 v[0:3], v20 offset0:192 offset1:224
	s_wait_dscnt 0x0
	s_barrier_signal -1
	s_barrier_wait -1
	s_load_b32 s5, s[20:21], 0x4
	v_pk_fma_f16 v11, v5, v11, v17
	v_pk_fma_f16 v5, v5, v12, v10
	v_mul_u32_u24_e32 v10, 0x10001, v18
	v_mul_u32_u24_e32 v12, 0x10001, v13
	v_and_b32_e32 v13, 0xffff, v14
	v_lshrrev_b32_e32 v14, 16, v14
	v_pk_fma_f32 v[94:95], v[94:95], v[116:117], v[8:9]
	v_pk_fma_f16 v16, v6, v10, v16
	v_pk_fma_f16 v4, v6, v12, v4
	;; [unrolled: 1-line block ×3, first 2 shown]
	v_mul_u32_u24_e32 v10, 0x10001, v13
	v_mul_u32_u24_e32 v11, 0x10001, v14
	v_and_b32_e32 v13, 0xffff, v15
	v_lshrrev_b32_e32 v14, 16, v15
	v_pk_fma_f16 v5, v7, v12, v5
	v_pk_fma_f16 v7, v0, v10, v16
	;; [unrolled: 1-line block ×3, first 2 shown]
	v_mul_u32_u24_e32 v4, 0x10001, v13
	v_mul_u32_u24_e32 v12, 0x10001, v14
	v_pk_fma_f16 v6, v1, v10, v6
	v_pk_fma_f16 v1, v1, v11, v5
	s_wait_kmcnt 0x0
	s_lshl_b32 s5, s5, 7
	v_pk_fma_f16 v148, v2, v4, v7
	v_pk_fma_f16 v147, v2, v12, v0
	;; [unrolled: 1-line block ×4, first 2 shown]
	s_add_co_i32 s4, s5, s4
	s_delay_alu instid0(SALU_CYCLE_1)
	s_cmp_ge_i32 s4, s28
	s_cbranch_scc1 .LBB77_43
; %bb.42:                               ;   in Loop: Header=BB77_9 Depth=1
	v_dual_mov_b32 v35, v114 :: v_dual_mov_b32 v34, v115
	s_branch .LBB77_9
.LBB77_43:
	v_mov_b32_e32 v3, v125
.LBB77_44:
	v_cmp_lt_i32_e32 vcc_lo, v153, v126
	s_cmp_lg_u64 s[12:13], 0
	s_cselect_b32 s3, -1, 0
	s_cmp_eq_u32 s29, 0
	v_cndmask_b32_e32 v0, v3, v153, vcc_lo
	v_cmp_lt_i32_e32 vcc_lo, v149, v126
	s_cselect_b32 s4, -1, 0
	s_delay_alu instid0(SALU_CYCLE_1) | instskip(SKIP_2) | instid1(VALU_DEP_2)
	s_and_b32 s3, s4, s3
	v_cndmask_b32_e32 v2, v3, v149, vcc_lo
	v_cmp_lt_i32_e32 vcc_lo, v150, v126
	v_dual_lshlrev_b32 v2, 2, v2 :: v_dual_lshlrev_b32 v1, 2, v0
	ds_bpermute_b32 v0, v1, v94
	ds_bpermute_b32 v1, v1, v95
	s_wait_dscnt 0x0
	v_pk_add_f32 v[0:1], v[94:95], v[0:1]
	ds_bpermute_b32 v4, v2, v0
	ds_bpermute_b32 v5, v2, v1
	v_cndmask_b32_e32 v2, v3, v150, vcc_lo
	v_cmp_lt_i32_e32 vcc_lo, v151, v126
	s_delay_alu instid0(VALU_DEP_2)
	v_lshlrev_b32_e32 v2, 2, v2
	s_wait_dscnt 0x0
	v_pk_add_f32 v[0:1], v[0:1], v[4:5]
	ds_bpermute_b32 v4, v2, v0
	ds_bpermute_b32 v5, v2, v1
	v_cndmask_b32_e32 v2, v3, v151, vcc_lo
	v_cmp_lt_i32_e32 vcc_lo, v152, v126
	s_delay_alu instid0(VALU_DEP_2)
	v_lshlrev_b32_e32 v2, 2, v2
	s_wait_dscnt 0x0
	v_pk_add_f32 v[0:1], v[0:1], v[4:5]
	ds_bpermute_b32 v4, v2, v0
	ds_bpermute_b32 v5, v2, v1
	v_cndmask_b32_e32 v2, v3, v152, vcc_lo
	s_and_b32 vcc_lo, exec_lo, s3
	s_delay_alu instid0(VALU_DEP_1)
	v_lshlrev_b32_e32 v3, 2, v2
	s_wait_dscnt 0x0
	v_pk_add_f32 v[0:1], v[0:1], v[4:5]
	ds_bpermute_b32 v2, v3, v0
	ds_bpermute_b32 v3, v3, v1
	s_wait_dscnt 0x0
	v_pk_add_f32 v[0:1], v[0:1], v[2:3]
	v_add_nc_u32_e32 v2, s33, v76
	s_cbranch_vccz .LBB77_46
; %bb.45:
	s_delay_alu instid0(VALU_DEP_1) | instskip(NEXT) | instid1(VALU_DEP_1)
	v_dual_ashrrev_i32 v3, 31, v2 :: v_dual_max_num_f32 v7, v115, v115
	v_lshl_add_u64 v[4:5], v[2:3], 2, s[12:13]
	v_max_num_f32_e32 v3, v114, v114
	global_load_b64 v[4:5], v[4:5], off
	s_wait_loadcnt 0x0
	v_dual_max_num_f32 v6, v4, v4 :: v_dual_max_num_f32 v8, v5, v5
	s_delay_alu instid0(VALU_DEP_1) | instskip(NEXT) | instid1(VALU_DEP_1)
	v_max_num_f32_e32 v6, v3, v6
	v_dual_max_num_f32 v7, v7, v8 :: v_dual_sub_f32 v3, v114, v6
	s_delay_alu instid0(VALU_DEP_1) | instskip(SKIP_2) | instid1(VALU_DEP_3)
	v_dual_sub_f32 v8, v4, v6 :: v_dual_sub_f32 v9, v115, v7
	v_sub_f32_e32 v10, v5, v7
	v_mov_b64_e32 v[114:115], v[6:7]
	v_dual_mul_f32 v4, 0x3fb8aa3b, v3 :: v_dual_mul_f32 v5, 0x3fb8aa3b, v8
	s_delay_alu instid0(VALU_DEP_4) | instskip(SKIP_1) | instid1(VALU_DEP_3)
	v_mul_f32_e32 v11, 0x3fb8aa3b, v9
	v_cmp_ngt_f32_e32 vcc_lo, 0xc2ce8ed0, v3
	v_fma_f32 v13, 0x3fb8aa3b, v3, -v4
	v_rndne_f32_e32 v14, v4
	s_delay_alu instid0(VALU_DEP_4) | instskip(SKIP_2) | instid1(VALU_DEP_4)
	v_rndne_f32_e32 v18, v11
	v_fma_f32 v17, 0x3fb8aa3b, v9, -v11
	v_rndne_f32_e32 v16, v5
	v_dual_fmac_f32 v13, 0x32a5705f, v3 :: v_dual_sub_f32 v4, v4, v14
	s_delay_alu instid0(VALU_DEP_4) | instskip(SKIP_4) | instid1(VALU_DEP_4)
	v_sub_f32_e32 v11, v11, v18
	v_mul_f32_e32 v12, 0x3fb8aa3b, v10
	v_fma_f32 v15, 0x3fb8aa3b, v8, -v5
	v_cvt_i32_f32_e32 v14, v14
	v_dual_add_f32 v4, v4, v13 :: v_dual_sub_f32 v5, v5, v16
	v_fma_f32 v19, 0x3fb8aa3b, v10, -v12
	v_rndne_f32_e32 v20, v12
	v_fmac_f32_e32 v17, 0x32a5705f, v9
	s_delay_alu instid0(VALU_DEP_4) | instskip(SKIP_1) | instid1(VALU_DEP_3)
	v_exp_f32_e32 v4, v4
	v_cvt_i32_f32_e32 v13, v16
	v_sub_f32_e32 v12, v12, v20
	v_cvt_i32_f32_e32 v16, v20
	s_delay_alu instid0(TRANS32_DEP_1) | instskip(NEXT) | instid1(VALU_DEP_1)
	v_ldexp_f32 v4, v4, v14
	v_dual_fmac_f32 v19, 0x32a5705f, v10 :: v_dual_cndmask_b32 v4, 0, v4
	s_delay_alu instid0(VALU_DEP_1) | instskip(SKIP_2) | instid1(VALU_DEP_3)
	v_dual_fmac_f32 v15, 0x32a5705f, v8 :: v_dual_add_f32 v12, v12, v19
	v_add_f32_e32 v11, v11, v17
	v_cmp_ngt_f32_e32 vcc_lo, 0xc2ce8ed0, v9
	v_add_f32_e32 v5, v5, v15
	v_cvt_i32_f32_e32 v15, v18
	s_delay_alu instid0(VALU_DEP_4) | instskip(SKIP_1) | instid1(VALU_DEP_2)
	v_exp_f32_e32 v11, v11
	v_exp_f32_e32 v12, v12
	;; [unrolled: 1-line block ×3, first 2 shown]
	s_delay_alu instid0(TRANS32_DEP_3) | instskip(NEXT) | instid1(VALU_DEP_1)
	v_ldexp_f32 v11, v11, v15
	v_cndmask_b32_e32 v11, 0, v11, vcc_lo
	v_cmp_nlt_f32_e32 vcc_lo, 0x42b17218, v3
	s_delay_alu instid0(TRANS32_DEP_1)
	v_ldexp_f32 v3, v5, v13
	v_cndmask_b32_e32 v4, 0x7f800000, v4, vcc_lo
	v_cmp_nlt_f32_e32 vcc_lo, 0x42b17218, v9
	v_ldexp_f32 v9, v12, v16
	v_cndmask_b32_e32 v5, 0x7f800000, v11, vcc_lo
	v_cmp_ngt_f32_e32 vcc_lo, 0xc2ce8ed0, v8
	v_cvt_f16_f32_e32 v11, v4
	s_delay_alu instid0(VALU_DEP_3) | instskip(SKIP_2) | instid1(VALU_DEP_4)
	v_cvt_f16_f32_e32 v12, v5
	v_cndmask_b32_e32 v3, 0, v3, vcc_lo
	v_cmp_ngt_f32_e32 vcc_lo, 0xc2ce8ed0, v10
	v_and_b32_e32 v11, 0xffff, v11
	v_cndmask_b32_e32 v9, 0, v9, vcc_lo
	v_cmp_nlt_f32_e32 vcc_lo, 0x42b17218, v8
	v_cndmask_b32_e32 v8, 0x7f800000, v3, vcc_lo
	v_and_b32_e32 v3, 0xffff, v12
	v_cmp_nlt_f32_e32 vcc_lo, 0x42b17218, v10
	v_mul_u32_u24_e32 v10, 0x10001, v11
	s_delay_alu instid0(VALU_DEP_3) | instskip(SKIP_1) | instid1(VALU_DEP_3)
	v_mul_u32_u24_e32 v3, 0x10001, v3
	v_cndmask_b32_e32 v9, 0x7f800000, v9, vcc_lo
	v_pk_mul_f16 v148, v148, v10
	v_pk_mul_f16 v33, v33, v10
	s_delay_alu instid0(VALU_DEP_4) | instskip(NEXT) | instid1(VALU_DEP_4)
	v_pk_mul_f16 v147, v147, v3
	v_pk_fma_f32 v[0:1], v[0:1], v[4:5], v[8:9]
	v_pk_mul_f16 v32, v32, v3
.LBB77_46:
	s_mov_b32 s3, exec_lo
	v_cmpx_gt_i32_e64 s22, v122
	s_cbranch_execz .LBB77_55
; %bb.47:
	s_load_b32 s0, s[0:1], 0xd4
	v_mov_b32_e32 v4, 1.0
	s_wait_kmcnt 0x0
	s_cmp_lg_u32 s0, 1
	s_cselect_b32 s3, -1, 0
	s_cmp_eq_u32 s0, 1
	s_cselect_b32 s1, -1, 0
	s_and_b32 vcc_lo, exec_lo, s3
	s_cbranch_vccnz .LBB77_49
; %bb.48:
	v_div_scale_f32 v3, null, v0, v0, 1.0
	s_delay_alu instid0(VALU_DEP_1) | instskip(SKIP_1) | instid1(TRANS32_DEP_1)
	v_rcp_f32_e32 v4, v3
	v_nop
	v_fma_f32 v5, -v3, v4, 1.0
	s_delay_alu instid0(VALU_DEP_1) | instskip(SKIP_1) | instid1(VALU_DEP_1)
	v_fmac_f32_e32 v4, v5, v4
	v_div_scale_f32 v5, vcc_lo, 1.0, v0, 1.0
	v_mul_f32_e32 v6, v5, v4
	s_delay_alu instid0(VALU_DEP_1) | instskip(NEXT) | instid1(VALU_DEP_1)
	v_fma_f32 v7, -v3, v6, v5
	v_fmac_f32_e32 v6, v7, v4
	s_delay_alu instid0(VALU_DEP_1) | instskip(NEXT) | instid1(VALU_DEP_1)
	v_fma_f32 v3, -v3, v6, v5
	v_div_fmas_f32 v3, v3, v4, v6
	s_delay_alu instid0(VALU_DEP_1)
	v_div_fixup_f32 v4, v3, v0, 1.0
.LBB77_49:
	v_mad_u32 v3, s2, s22, v122
	v_lshrrev_b32_e32 v5, 16, v33
	v_cvt_f32_f16_e64 v6, v148
	v_cvt_f32_f16_e32 v10, v33
	v_cmp_eq_u32_e32 vcc_lo, 0, v77
	v_mov_b32_e32 v9, 0
	v_cvt_f32_f16_e32 v11, v5
	s_and_b32 s2, vcc_lo, s3
	v_mad_u32 v2, v3, s23, v2
	v_lshrrev_b32_e32 v3, 16, v148
	s_delay_alu instid0(VALU_DEP_1) | instskip(NEXT) | instid1(VALU_DEP_1)
	v_cvt_f32_f16_e32 v7, v3
	v_pk_mul_f32 v[6:7], v[4:5], v[6:7] op_sel_hi:[0,1]
	s_delay_alu instid0(VALU_DEP_4) | instskip(NEXT) | instid1(VALU_DEP_1)
	v_mad_u32 v2, s0, v2, s29
	v_lshl_add_u32 v8, v2, 7, v123
	s_delay_alu instid0(VALU_DEP_1)
	v_lshl_add_u64 v[12:13], v[8:9], 2, s[16:17]
	v_pk_mul_f32 v[8:9], v[4:5], v[10:11] op_sel_hi:[0,1]
	global_store_b128 v[12:13], v[6:9], off
	s_wait_xcnt 0x0
	s_and_saveexec_b32 s3, s2
	s_cbranch_execz .LBB77_51
; %bb.50:
	v_dual_mov_b32 v4, v114 :: v_dual_mov_b32 v5, v0
	global_store_b64 v2, v[4:5], s[18:19] scale_offset
.LBB77_51:
	s_wait_xcnt 0x0
	s_or_b32 exec_lo, exec_lo, s3
	v_mov_b32_e32 v0, 1.0
	s_and_not1_b32 vcc_lo, exec_lo, s1
	s_cbranch_vccnz .LBB77_53
; %bb.52:
	v_div_scale_f32 v0, null, v1, v1, 1.0
	s_delay_alu instid0(VALU_DEP_1) | instskip(SKIP_1) | instid1(TRANS32_DEP_1)
	v_rcp_f32_e32 v3, v0
	v_nop
	v_fma_f32 v4, -v0, v3, 1.0
	s_delay_alu instid0(VALU_DEP_1) | instskip(SKIP_1) | instid1(VALU_DEP_1)
	v_fmac_f32_e32 v3, v4, v3
	v_div_scale_f32 v4, vcc_lo, 1.0, v1, 1.0
	v_mul_f32_e32 v5, v4, v3
	s_delay_alu instid0(VALU_DEP_1) | instskip(NEXT) | instid1(VALU_DEP_1)
	v_fma_f32 v6, -v0, v5, v4
	v_fmac_f32_e32 v5, v6, v3
	s_delay_alu instid0(VALU_DEP_1) | instskip(NEXT) | instid1(VALU_DEP_1)
	v_fma_f32 v0, -v0, v5, v4
	v_div_fmas_f32 v0, v0, v3, v5
	s_delay_alu instid0(VALU_DEP_1)
	v_div_fixup_f32 v0, v0, v1, 1.0
.LBB77_53:
	v_dual_add_nc_u32 v2, s0, v2 :: v_dual_lshrrev_b32 v3, 16, v147
	v_dual_mov_b32 v5, 0 :: v_dual_lshrrev_b32 v9, 16, v32
	v_cvt_f32_f16_e64 v6, v147
	s_delay_alu instid0(VALU_DEP_3) | instskip(NEXT) | instid1(VALU_DEP_4)
	v_lshl_add_u32 v4, v2, 7, v123
	v_cvt_f32_f16_e32 v7, v3
	v_cvt_f32_f16_e32 v8, v32
	;; [unrolled: 1-line block ×3, first 2 shown]
	s_delay_alu instid0(VALU_DEP_4) | instskip(NEXT) | instid1(VALU_DEP_4)
	v_lshl_add_u64 v[10:11], v[4:5], 2, s[16:17]
	v_pk_mul_f32 v[4:5], v[0:1], v[6:7] op_sel_hi:[0,1]
	s_delay_alu instid0(VALU_DEP_3)
	v_pk_mul_f32 v[6:7], v[0:1], v[8:9] op_sel_hi:[0,1]
	global_store_b128 v[10:11], v[4:7], off
	s_wait_xcnt 0x0
	s_and_b32 exec_lo, exec_lo, s2
	s_cbranch_execz .LBB77_55
; %bb.54:
	v_mov_b32_e32 v0, v115
	global_store_b64 v2, v[0:1], s[18:19] scale_offset
.LBB77_55:
	s_sendmsg sendmsg(MSG_DEALLOC_VGPRS)
	s_endpgm
	.section	.rodata,"a",@progbits
	.p2align	6, 0x0
	.amdhsa_kernel _ZL15flash_attn_tileILi128ELi128ELi4ELi4ELb1EEvPKcS1_S1_S1_S1_PKiPfP15HIP_vector_typeIfLj2EEffffjfiS5_IjLj3EEiiiiiiiiiiiliiliiiiil
		.amdhsa_group_segment_fixed_size 43008
		.amdhsa_private_segment_fixed_size 0
		.amdhsa_kernarg_size 464
		.amdhsa_user_sgpr_count 2
		.amdhsa_user_sgpr_dispatch_ptr 0
		.amdhsa_user_sgpr_queue_ptr 0
		.amdhsa_user_sgpr_kernarg_segment_ptr 1
		.amdhsa_user_sgpr_dispatch_id 0
		.amdhsa_user_sgpr_kernarg_preload_length 0
		.amdhsa_user_sgpr_kernarg_preload_offset 0
		.amdhsa_user_sgpr_private_segment_size 0
		.amdhsa_wavefront_size32 1
		.amdhsa_uses_dynamic_stack 0
		.amdhsa_enable_private_segment 0
		.amdhsa_system_sgpr_workgroup_id_x 1
		.amdhsa_system_sgpr_workgroup_id_y 1
		.amdhsa_system_sgpr_workgroup_id_z 1
		.amdhsa_system_sgpr_workgroup_info 0
		.amdhsa_system_vgpr_workitem_id 1
		.amdhsa_next_free_vgpr 227
		.amdhsa_next_free_sgpr 42
		.amdhsa_named_barrier_count 0
		.amdhsa_reserve_vcc 1
		.amdhsa_float_round_mode_32 0
		.amdhsa_float_round_mode_16_64 0
		.amdhsa_float_denorm_mode_32 3
		.amdhsa_float_denorm_mode_16_64 3
		.amdhsa_fp16_overflow 0
		.amdhsa_memory_ordered 1
		.amdhsa_forward_progress 1
		.amdhsa_inst_pref_size 141
		.amdhsa_round_robin_scheduling 0
		.amdhsa_exception_fp_ieee_invalid_op 0
		.amdhsa_exception_fp_denorm_src 0
		.amdhsa_exception_fp_ieee_div_zero 0
		.amdhsa_exception_fp_ieee_overflow 0
		.amdhsa_exception_fp_ieee_underflow 0
		.amdhsa_exception_fp_ieee_inexact 0
		.amdhsa_exception_int_div_zero 0
	.end_amdhsa_kernel
	.section	.text._ZL15flash_attn_tileILi128ELi128ELi4ELi4ELb1EEvPKcS1_S1_S1_S1_PKiPfP15HIP_vector_typeIfLj2EEffffjfiS5_IjLj3EEiiiiiiiiiiiliiliiiiil,"axG",@progbits,_ZL15flash_attn_tileILi128ELi128ELi4ELi4ELb1EEvPKcS1_S1_S1_S1_PKiPfP15HIP_vector_typeIfLj2EEffffjfiS5_IjLj3EEiiiiiiiiiiiliiliiiiil,comdat
.Lfunc_end77:
	.size	_ZL15flash_attn_tileILi128ELi128ELi4ELi4ELb1EEvPKcS1_S1_S1_S1_PKiPfP15HIP_vector_typeIfLj2EEffffjfiS5_IjLj3EEiiiiiiiiiiiliiliiiiil, .Lfunc_end77-_ZL15flash_attn_tileILi128ELi128ELi4ELi4ELb1EEvPKcS1_S1_S1_S1_PKiPfP15HIP_vector_typeIfLj2EEffffjfiS5_IjLj3EEiiiiiiiiiiiliiliiiiil
                                        ; -- End function
	.set _ZL15flash_attn_tileILi128ELi128ELi4ELi4ELb1EEvPKcS1_S1_S1_S1_PKiPfP15HIP_vector_typeIfLj2EEffffjfiS5_IjLj3EEiiiiiiiiiiiliiliiiiil.num_vgpr, 227
	.set _ZL15flash_attn_tileILi128ELi128ELi4ELi4ELb1EEvPKcS1_S1_S1_S1_PKiPfP15HIP_vector_typeIfLj2EEffffjfiS5_IjLj3EEiiiiiiiiiiiliiliiiiil.num_agpr, 0
	.set _ZL15flash_attn_tileILi128ELi128ELi4ELi4ELb1EEvPKcS1_S1_S1_S1_PKiPfP15HIP_vector_typeIfLj2EEffffjfiS5_IjLj3EEiiiiiiiiiiiliiliiiiil.numbered_sgpr, 42
	.set _ZL15flash_attn_tileILi128ELi128ELi4ELi4ELb1EEvPKcS1_S1_S1_S1_PKiPfP15HIP_vector_typeIfLj2EEffffjfiS5_IjLj3EEiiiiiiiiiiiliiliiiiil.num_named_barrier, 0
	.set _ZL15flash_attn_tileILi128ELi128ELi4ELi4ELb1EEvPKcS1_S1_S1_S1_PKiPfP15HIP_vector_typeIfLj2EEffffjfiS5_IjLj3EEiiiiiiiiiiiliiliiiiil.private_seg_size, 0
	.set _ZL15flash_attn_tileILi128ELi128ELi4ELi4ELb1EEvPKcS1_S1_S1_S1_PKiPfP15HIP_vector_typeIfLj2EEffffjfiS5_IjLj3EEiiiiiiiiiiiliiliiiiil.uses_vcc, 1
	.set _ZL15flash_attn_tileILi128ELi128ELi4ELi4ELb1EEvPKcS1_S1_S1_S1_PKiPfP15HIP_vector_typeIfLj2EEffffjfiS5_IjLj3EEiiiiiiiiiiiliiliiiiil.uses_flat_scratch, 0
	.set _ZL15flash_attn_tileILi128ELi128ELi4ELi4ELb1EEvPKcS1_S1_S1_S1_PKiPfP15HIP_vector_typeIfLj2EEffffjfiS5_IjLj3EEiiiiiiiiiiiliiliiiiil.has_dyn_sized_stack, 0
	.set _ZL15flash_attn_tileILi128ELi128ELi4ELi4ELb1EEvPKcS1_S1_S1_S1_PKiPfP15HIP_vector_typeIfLj2EEffffjfiS5_IjLj3EEiiiiiiiiiiiliiliiiiil.has_recursion, 0
	.set _ZL15flash_attn_tileILi128ELi128ELi4ELi4ELb1EEvPKcS1_S1_S1_S1_PKiPfP15HIP_vector_typeIfLj2EEffffjfiS5_IjLj3EEiiiiiiiiiiiliiliiiiil.has_indirect_call, 0
	.section	.AMDGPU.csdata,"",@progbits
; Kernel info:
; codeLenInByte = 17940
; TotalNumSgprs: 44
; NumVgprs: 227
; ScratchSize: 0
; MemoryBound: 0
; FloatMode: 240
; IeeeMode: 1
; LDSByteSize: 43008 bytes/workgroup (compile time only)
; SGPRBlocks: 0
; VGPRBlocks: 14
; NumSGPRsForWavesPerEU: 44
; NumVGPRsForWavesPerEU: 227
; NamedBarCnt: 0
; Occupancy: 4
; WaveLimiterHint : 1
; COMPUTE_PGM_RSRC2:SCRATCH_EN: 0
; COMPUTE_PGM_RSRC2:USER_SGPR: 2
; COMPUTE_PGM_RSRC2:TRAP_HANDLER: 0
; COMPUTE_PGM_RSRC2:TGID_X_EN: 1
; COMPUTE_PGM_RSRC2:TGID_Y_EN: 1
; COMPUTE_PGM_RSRC2:TGID_Z_EN: 1
; COMPUTE_PGM_RSRC2:TIDIG_COMP_CNT: 1
	.section	.text._ZL15flash_attn_tileILi128ELi128ELi2ELi4ELb1EEvPKcS1_S1_S1_S1_PKiPfP15HIP_vector_typeIfLj2EEffffjfiS5_IjLj3EEiiiiiiiiiiiliiliiiiil,"axG",@progbits,_ZL15flash_attn_tileILi128ELi128ELi2ELi4ELb1EEvPKcS1_S1_S1_S1_PKiPfP15HIP_vector_typeIfLj2EEffffjfiS5_IjLj3EEiiiiiiiiiiiliiliiiiil,comdat
	.globl	_ZL15flash_attn_tileILi128ELi128ELi2ELi4ELb1EEvPKcS1_S1_S1_S1_PKiPfP15HIP_vector_typeIfLj2EEffffjfiS5_IjLj3EEiiiiiiiiiiiliiliiiiil ; -- Begin function _ZL15flash_attn_tileILi128ELi128ELi2ELi4ELb1EEvPKcS1_S1_S1_S1_PKiPfP15HIP_vector_typeIfLj2EEffffjfiS5_IjLj3EEiiiiiiiiiiiliiliiiiil
	.p2align	8
	.type	_ZL15flash_attn_tileILi128ELi128ELi2ELi4ELb1EEvPKcS1_S1_S1_S1_PKiPfP15HIP_vector_typeIfLj2EEffffjfiS5_IjLj3EEiiiiiiiiiiiliiliiiiil,@function
_ZL15flash_attn_tileILi128ELi128ELi2ELi4ELb1EEvPKcS1_S1_S1_S1_PKiPfP15HIP_vector_typeIfLj2EEffffjfiS5_IjLj3EEiiiiiiiiiiiliiliiiiil: ; @_ZL15flash_attn_tileILi128ELi128ELi2ELi4ELb1EEvPKcS1_S1_S1_S1_PKiPfP15HIP_vector_typeIfLj2EEffffjfiS5_IjLj3EEiiiiiiiiiiiliiliiiiil
; %bb.0:
	s_clause 0x1
	s_load_b128 s[20:23], s[0:1], 0x5c
	s_load_b64 s[30:31], s[0:1], 0x80
	s_bfe_u32 s5, ttmp6, 0x40014
	s_lshr_b32 s4, ttmp7, 16
	s_add_co_i32 s5, s5, 1
	s_bfe_u32 s6, ttmp6, 0x40008
	s_mul_i32 s5, s4, s5
	s_load_b64 s[36:37], s[0:1], 0xb8
	s_add_co_i32 s6, s6, s5
	s_mov_b64 s[34:35], 0
	s_wait_kmcnt 0x0
	s_ashr_i32 s2, s23, 31
	s_delay_alu instid0(SALU_CYCLE_1) | instskip(NEXT) | instid1(SALU_CYCLE_1)
	s_lshr_b32 s2, s2, 30
	s_add_co_i32 s2, s23, s2
	s_delay_alu instid0(SALU_CYCLE_1) | instskip(NEXT) | instid1(SALU_CYCLE_1)
	s_ashr_i32 s3, s2, 2
	s_cvt_f32_u32 s2, s3
	s_sub_co_i32 s8, 0, s3
	s_delay_alu instid0(SALU_CYCLE_2) | instskip(SKIP_1) | instid1(TRANS32_DEP_1)
	v_rcp_iflag_f32_e32 v1, s2
	v_nop
	v_readfirstlane_b32 s2, v1
	s_mul_f32 s2, s2, 0x4f7ffffe
	s_delay_alu instid0(SALU_CYCLE_3) | instskip(SKIP_1) | instid1(SALU_CYCLE_2)
	s_cvt_u32_f32 s7, s2
	s_getreg_b32 s2, hwreg(HW_REG_IB_STS2, 6, 4)
	s_mul_i32 s8, s8, s7
	s_delay_alu instid0(SALU_CYCLE_1) | instskip(NEXT) | instid1(SALU_CYCLE_1)
	s_mul_hi_u32 s8, s7, s8
	s_add_co_i32 s7, s7, s8
	s_cmp_eq_u32 s2, 0
	s_cselect_b32 s4, s4, s6
	s_delay_alu instid0(SALU_CYCLE_1) | instskip(NEXT) | instid1(SALU_CYCLE_1)
	s_mul_hi_u32 s5, s4, s7
	s_mul_i32 s6, s5, s3
	s_add_co_i32 s7, s5, 1
	s_sub_co_i32 s6, s4, s6
	s_delay_alu instid0(SALU_CYCLE_1)
	s_sub_co_i32 s8, s6, s3
	s_cmp_ge_u32 s6, s3
	s_cselect_b32 s5, s7, s5
	s_cselect_b32 s6, s8, s6
	s_add_co_i32 s7, s5, 1
	s_cmp_ge_u32 s6, s3
	s_cselect_b32 s28, s7, s5
	s_abs_i32 s3, s31
	s_lshl_b32 s4, s4, 2
	s_cvt_f32_u32 s5, s3
	s_sub_co_i32 s6, 0, s3
	s_mul_i32 s7, s28, s23
	s_abs_i32 s8, s23
	v_rcp_iflag_f32_e32 v1, s5
	s_sub_co_i32 s33, s4, s7
	v_nop
	s_delay_alu instid0(TRANS32_DEP_1) | instskip(SKIP_1) | instid1(SALU_CYCLE_3)
	v_readfirstlane_b32 s5, v1
	s_mul_f32 s5, s5, 0x4f7ffffe
	s_cvt_u32_f32 s5, s5
	s_delay_alu instid0(SALU_CYCLE_3) | instskip(NEXT) | instid1(SALU_CYCLE_1)
	s_mul_i32 s6, s6, s5
	s_mul_hi_u32 s6, s5, s6
	s_delay_alu instid0(SALU_CYCLE_1) | instskip(NEXT) | instid1(SALU_CYCLE_1)
	s_add_co_i32 s5, s5, s6
	s_mul_hi_u32 s4, s8, s5
	s_xor_b32 s5, s23, s31
	s_mul_i32 s6, s4, s3
	s_ashr_i32 s24, s5, 31
	s_sub_co_i32 s5, s8, s6
	s_add_co_i32 s6, s4, 1
	s_sub_co_i32 s7, s5, s3
	s_cmp_ge_u32 s5, s3
	s_cselect_b32 s4, s6, s4
	s_cselect_b32 s5, s7, s5
	s_add_co_i32 s6, s4, 1
	s_cmp_ge_u32 s5, s3
	s_cselect_b32 s3, s6, s4
	s_load_b512 s[4:19], s[0:1], 0x0
	s_xor_b32 s3, s3, s24
	s_delay_alu instid0(SALU_CYCLE_1) | instskip(NEXT) | instid1(SALU_CYCLE_1)
	s_sub_co_i32 s29, s3, s24
	s_abs_i32 s38, s29
	s_delay_alu instid0(SALU_CYCLE_1) | instskip(NEXT) | instid1(SALU_CYCLE_3)
	s_cvt_f32_u32 s3, s38
	v_rcp_iflag_f32_e32 v1, s3
	s_mov_b32 s3, 0
	v_nop
	s_delay_alu instid0(TRANS32_DEP_1)
	v_readfirstlane_b32 s27, v1
	s_wait_kmcnt 0x0
	s_cmp_eq_u64 s[10:11], 0
	s_cbranch_scc1 .LBB78_2
; %bb.1:
	s_abs_i32 s26, s36
	s_abs_i32 s31, s28
	s_cvt_f32_u32 s24, s26
	s_sub_co_i32 s25, 0, s26
	s_delay_alu instid0(SALU_CYCLE_2) | instskip(SKIP_1) | instid1(TRANS32_DEP_1)
	v_rcp_iflag_f32_e32 v1, s24
	v_nop
	v_readfirstlane_b32 s24, v1
	s_mul_f32 s24, s24, 0x4f7ffffe
	s_delay_alu instid0(SALU_CYCLE_3) | instskip(NEXT) | instid1(SALU_CYCLE_3)
	s_cvt_u32_f32 s24, s24
	s_mul_i32 s25, s25, s24
	s_delay_alu instid0(SALU_CYCLE_1) | instskip(NEXT) | instid1(SALU_CYCLE_1)
	s_mul_hi_u32 s25, s24, s25
	s_add_co_i32 s24, s24, s25
	s_delay_alu instid0(SALU_CYCLE_1) | instskip(SKIP_2) | instid1(SALU_CYCLE_1)
	s_mul_hi_u32 s34, s31, s24
	s_load_b64 s[24:25], s[0:1], 0xc8
	s_mul_i32 s34, s34, s26
	s_sub_co_i32 s31, s31, s34
	s_ashr_i32 s34, s28, 31
	s_sub_co_i32 s35, s31, s26
	s_cmp_ge_u32 s31, s26
	s_cselect_b32 s31, s35, s31
	s_delay_alu instid0(SALU_CYCLE_1) | instskip(SKIP_2) | instid1(SALU_CYCLE_1)
	s_sub_co_i32 s35, s31, s26
	s_cmp_ge_u32 s31, s26
	s_cselect_b32 s26, s35, s31
	s_xor_b32 s26, s26, s34
	s_delay_alu instid0(SALU_CYCLE_1) | instskip(NEXT) | instid1(SALU_CYCLE_1)
	s_sub_co_i32 s34, s26, s34
	s_ashr_i32 s35, s34, 31
	s_wait_kmcnt 0x0
	s_mul_u64 s[24:25], s[24:25], s[34:35]
	s_delay_alu instid0(SALU_CYCLE_1)
	s_add_nc_u64 s[34:35], s[10:11], s[24:25]
.LBB78_2:
	s_bfe_u32 s10, ttmp6, 0x4000c
	v_dual_lshrrev_b32 v1, 10, v0 :: v_dual_mov_b32 v3, 0
	s_add_co_i32 s10, s10, 1
	s_and_b32 s11, ttmp6, 15
	s_mul_i32 s10, ttmp9, s10
	s_delay_alu instid0(VALU_DEP_1)
	v_bfe_u32 v1, v1, 1, 9
	s_add_co_i32 s11, s11, s10
	s_cmp_eq_u32 s2, 0
	s_load_b96 s[24:26], s[0:1], 0x70
	s_cselect_b32 s10, ttmp9, s11
	v_mov_b32_e32 v53, v3
	v_lshl_add_u32 v78, s10, 1, v1
	s_delay_alu instid0(VALU_DEP_1) | instskip(NEXT) | instid1(VALU_DEP_1)
	v_mul_hi_u32 v1, s20, v78
	v_add_nc_u32_e32 v1, v78, v1
	s_wait_kmcnt 0x0
	s_mul_i32 s20, s33, s25
	s_ashr_i32 s41, s25, 31
	s_mov_b32 s40, s25
	s_ashr_i32 s25, s24, 31
	v_lshrrev_b32_e32 v1, s21, v1
	s_lshr_b64 s[24:25], s[24:25], 2
	s_ashr_i32 s21, s20, 31
	s_delay_alu instid0(VALU_DEP_1) | instskip(NEXT) | instid1(VALU_DEP_1)
	v_mul_lo_u32 v1, v1, s22
	v_sub_nc_u32_e32 v2, v78, v1
	v_bfe_u32 v1, v0, 10, 10
	s_delay_alu instid0(VALU_DEP_1) | instskip(NEXT) | instid1(VALU_DEP_3)
	v_lshlrev_b32_e32 v4, 1, v1
	v_mul_u64_e32 v[6:7], s[24:25], v[2:3]
	s_lshr_b64 s[24:25], s[40:41], 2
	s_delay_alu instid0(VALU_DEP_2) | instskip(SKIP_2) | instid1(VALU_DEP_3)
	v_and_b32_e32 v52, 2, v4
	v_bitop3_b32 v8, v4, 3, 1 bitop3:0xc8
	v_or_b32_e32 v5, 1, v4
	v_mul_u64_e32 v[10:11], s[24:25], v[52:53]
	v_and_b32_e32 v53, 0x3ff, v0
	v_dual_mov_b32 v9, v3 :: v_dual_mov_b32 v13, v3
	v_lshlrev_b32_e32 v0, 9, v1
	s_delay_alu instid0(VALU_DEP_3) | instskip(NEXT) | instid1(VALU_DEP_3)
	v_lshlrev_b32_e32 v12, 4, v53
	v_mul_u64_e32 v[8:9], s[24:25], v[8:9]
	s_mul_i32 s24, s28, s26
	v_lshlrev_b32_e32 v80, 3, v53
	s_ashr_i32 s25, s24, 31
	s_cmp_eq_u64 s[14:15], 0
	s_add_nc_u64 s[4:5], s[4:5], s[24:25]
	s_delay_alu instid0(SALU_CYCLE_1) | instskip(SKIP_3) | instid1(VALU_DEP_1)
	s_add_nc_u64 s[4:5], s[4:5], s[20:21]
	v_add_nc_u32_e32 v3, 0x2400, v80
	v_lshl_add_u64 v[6:7], v[6:7], 2, s[4:5]
	s_load_b32 s4, s[0:1], 0x40
	v_add_nc_u64_e32 v[6:7], v[6:7], v[12:13]
	s_delay_alu instid0(VALU_DEP_1)
	v_lshl_add_u64 v[14:15], v[10:11], 2, v[6:7]
	v_lshl_add_u64 v[16:17], v[8:9], 2, v[6:7]
	s_clause 0x1
	global_load_b128 v[6:9], v[14:15], off
	global_load_b128 v[10:13], v[16:17], off
	s_wait_loadcnt 0x1
	s_wait_kmcnt 0x0
	v_fma_mixlo_f16 v6, s4, v6, 0
	v_fma_mixlo_f16 v7, s4, v7, 0
	v_fma_mixlo_f16 v9, s4, v9, 0
	s_wait_loadcnt 0x0
	v_fma_mixlo_f16 v10, s4, v10, 0
	v_fma_mixlo_f16 v11, s4, v11, 0
	v_dual_add_nc_u32 v14, v3, v0 :: v_dual_lshlrev_b32 v7, 16, v7
	v_fma_mixlo_f16 v8, s4, v8, 0
	v_fma_mixlo_f16 v13, s4, v13, 0
	v_and_b32_e32 v6, 0xffff, v6
	v_fma_mixlo_f16 v12, s4, v12, 0
	v_dual_lshlrev_b32 v9, 16, v9 :: v_dual_lshlrev_b32 v11, 16, v11
	v_and_b32_e32 v10, 0xffff, v10
	v_and_b32_e32 v8, 0xffff, v8
	v_dual_lshlrev_b32 v13, 16, v13 :: v_dual_bitop2_b32 v6, v7, v6 bitop3:0x54
	v_and_b32_e32 v12, 0xffff, v12
	s_delay_alu instid0(VALU_DEP_4) | instskip(NEXT) | instid1(VALU_DEP_4)
	v_or_b32_e32 v10, v11, v10
	v_or3_b32 v7, v9, v8, 0
	v_lshl_add_u32 v3, v5, 8, v3
	v_or3_b32 v6, 0, 0, v6
	v_or3_b32 v9, v13, v12, 0
	;; [unrolled: 1-line block ×3, first 2 shown]
	ds_store_b64 v14, v[6:7]
	ds_store_b64 v3, v[8:9]
	s_wait_dscnt 0x0
	s_barrier_signal -1
	s_barrier_wait -1
	s_cbranch_scc1 .LBB78_4
; %bb.3:
	s_load_b32 s4, s[0:1], 0xd0
	s_wait_kmcnt 0x0
	s_mul_i32 s4, s4, s28
	s_delay_alu instid0(SALU_CYCLE_1)
	s_add_co_i32 s4, s4, s10
	s_load_b32 s30, s[14:15], s4 offset:0x0 scale_offset
.LBB78_4:
	s_wait_xcnt 0x0
	s_bfe_u32 s4, ttmp6, 0x40010
	s_and_b32 s5, ttmp7, 0xffff
	s_add_co_i32 s4, s4, 1
	s_bfe_u32 s10, ttmp6, 0x40004
	s_mul_i32 s4, s5, s4
	v_mbcnt_lo_u32_b32 v81, -1, 0
	s_add_co_i32 s10, s10, s4
	s_cmp_eq_u32 s2, 0
	s_mov_b32 s2, 0
	s_cselect_b32 s31, s5, s10
	s_delay_alu instid0(SALU_CYCLE_1)
	s_lshl_b32 s10, s31, 6
	s_wait_kmcnt 0x0
	s_cmp_lt_i32 s10, s30
	s_cbranch_scc1 .LBB78_7
; %bb.5:
	v_mbcnt_lo_u32_b32 v3, -1, 0
	s_delay_alu instid0(VALU_DEP_1)
	v_dual_mov_b32 v82, 32 :: v_dual_bitop2_b32 v99, 16, v3 bitop3:0x14
	v_xor_b32_e32 v95, 8, v3
	v_xor_b32_e32 v96, 4, v3
	;; [unrolled: 1-line block ×3, first 2 shown]
	v_dual_lshlrev_b32 v79, 2, v53 :: v_dual_bitop2_b32 v98, 1, v3 bitop3:0x14
	s_and_not1_b32 vcc_lo, exec_lo, s2
	s_cbranch_vccz .LBB78_8
; %bb.6:
	v_dual_mov_b32 v77, 0xfeffffff :: v_dual_mov_b32 v24, 0
	v_dual_mov_b32 v57, 0 :: v_dual_mov_b32 v25, 0
	;; [unrolled: 1-line block ×3, first 2 shown]
	s_delay_alu instid0(VALU_DEP_2)
	v_dual_mov_b32 v76, v77 :: v_dual_mov_b32 v56, v57
	s_branch .LBB78_28
.LBB78_7:
                                        ; implicit-def: $vgpr3
                                        ; implicit-def: $vgpr82
                                        ; implicit-def: $vgpr99
                                        ; implicit-def: $vgpr95
                                        ; implicit-def: $vgpr96
                                        ; implicit-def: $vgpr97
                                        ; implicit-def: $vgpr98
	v_lshlrev_b32_e32 v79, 2, v53
.LBB78_8:
	s_mul_f32 s2, s27, 0x4f7ffffe
	s_clause 0x1
	s_load_b128 s[24:27], s[0:1], 0x98
	s_load_b64 s[4:5], s[0:1], 0x8c
	s_sub_co_i32 s11, 0, s38
	s_mov_b32 s15, s3
	s_cvt_u32_f32 s14, s2
	s_abs_i32 s2, s33
	s_ashr_i32 s20, s33, 31
	s_ashr_i32 s21, s29, 31
	s_mul_i32 s11, s11, s14
	s_ashr_i32 s39, s37, 1
	s_mul_hi_u32 s11, s14, s11
	s_load_b64 s[36:37], s[0:1], 0xa8
	s_add_co_i32 s14, s14, s11
	s_ashr_i32 s29, s28, 31
	s_mul_u64 s[14:15], s[2:3], s[14:15]
	s_xor_b32 s11, s20, s21
	s_mul_i32 s3, s15, s38
	v_dual_lshrrev_b32 v3, 3, v53 :: v_dual_bitop2_b32 v6, 28, v79 bitop3:0x40
	s_sub_co_i32 s2, s2, s3
	s_wait_kmcnt 0x0
	s_ashr_i32 s14, s26, 2
	s_ashr_i32 s20, s4, 2
	s_add_co_i32 s3, s15, 1
	s_sub_co_i32 s4, s2, s38
	s_cmp_ge_u32 s2, s38
	v_lshl_add_u32 v3, v1, 2, v3
	s_cselect_b32 s3, s3, s15
	s_cselect_b32 s2, s4, s2
	s_add_co_i32 s4, s3, 1
	s_cmp_ge_u32 s2, s38
	v_mul_lo_u32 v54, s20, v3
	s_cselect_b32 s2, s4, s3
	v_dual_lshrrev_b32 v5, 4, v53 :: v_dual_lshlrev_b32 v7, 2, v6
	s_xor_b32 s2, s2, s11
	v_mov_b32_e32 v61, 0
	s_sub_co_i32 s11, s2, s11
	s_mul_u64 s[2:3], s[24:25], s[28:29]
	s_mul_i32 s4, s11, s5
	s_add_nc_u64 s[2:3], s[6:7], s[2:3]
	s_ashr_i32 s5, s4, 31
	s_load_b32 s7, s[0:1], 0x54
	s_add_nc_u64 s[24:25], s[2:3], s[4:5]
	s_mul_u64 s[2:3], s[36:37], s[28:29]
	s_mul_i32 s4, s11, s27
	s_add_nc_u64 s[2:3], s[8:9], s[2:3]
	s_ashr_i32 s5, s4, 31
	v_mad_u32_u24 v83, 0x90, v3, v7
	s_add_nc_u64 s[8:9], s[2:3], s[4:5]
	s_lshl_b32 s2, s20, 4
	s_delay_alu instid0(SALU_CYCLE_1) | instskip(SKIP_2) | instid1(VALU_DEP_3)
	v_dual_add_nc_u32 v5, v5, v4 :: v_dual_add_nc_u32 v58, s2, v54
	v_ashrrev_i32_e32 v55, 31, v54
	v_dual_mov_b32 v22, v61 :: v_dual_add_nc_u32 v87, 0x2400, v0
	v_mul_lo_u32 v4, s14, v5
	s_delay_alu instid0(VALU_DEP_4) | instskip(SKIP_3) | instid1(VALU_DEP_4)
	v_dual_add_nc_u32 v62, s2, v58 :: v_dual_ashrrev_i32 v59, 31, v58
	v_and_b32_e32 v8, 60, v79
	v_mad_u32 v90, v2, s39, v53
	v_lshl_add_u32 v91, v1, 8, 0x2c00
	v_dual_ashrrev_i32 v63, 31, v62 :: v_dual_add_nc_u32 v64, s2, v62
	s_delay_alu instid0(VALU_DEP_4) | instskip(SKIP_3) | instid1(VALU_DEP_3)
	v_lshlrev_b32_e32 v3, 2, v8
	s_lshl_b32 s2, s14, 3
	v_dual_mov_b32 v67, v61 :: v_dual_add_nc_u32 v84, 0x900, v83
	v_add_nc_u32_e32 v10, s2, v4
	v_lshl_or_b32 v89, v5, 8, v3
	v_ashrrev_i32_e32 v5, 31, v4
	v_ashrrev_i32_e32 v65, 31, v64
	v_dual_mov_b32 v82, 32 :: v_dual_add_nc_u32 v85, 0x1200, v83
	v_dual_add_nc_u32 v0, s2, v10 :: v_dual_ashrrev_i32 v11, 31, v10
	s_delay_alu instid0(VALU_DEP_4) | instskip(SKIP_1) | instid1(VALU_DEP_3)
	v_lshlrev_b64_e32 v[68:69], 2, v[4:5]
	v_dual_mov_b32 v23, v61 :: v_dual_add_nc_u32 v86, 0x1b00, v83
	v_dual_add_nc_u32 v2, s2, v0 :: v_dual_ashrrev_i32 v1, 31, v0
	s_delay_alu instid0(VALU_DEP_4) | instskip(SKIP_2) | instid1(VALU_DEP_4)
	v_lshlrev_b64_e32 v[70:71], 2, v[10:11]
	v_mul_u32_u24_e32 v88, 0x90, v53
	v_dual_mov_b32 v25, v61 :: v_dual_add_nc_u32 v92, 0x800, v89
	v_ashrrev_i32_e32 v3, 31, v2
	v_lshlrev_b64_e32 v[72:73], 2, v[0:1]
	v_dual_mov_b32 v24, v61 :: v_dual_add_nc_u32 v93, 0x1000, v89
	v_dual_mov_b32 v57, v61 :: v_dual_add_nc_u32 v94, 0x1800, v89
	s_delay_alu instid0(VALU_DEP_4)
	v_lshlrev_b64_e32 v[74:75], 2, v[2:3]
	v_dual_mov_b32 v17, 0xfeffffff :: v_dual_lshlrev_b32 v66, 2, v6
	v_dual_lshlrev_b32 v60, 2, v8 :: v_dual_mov_b32 v56, v61
	v_mov_b32_e32 v16, 0xfeffffff
	s_ashr_i32 s21, s20, 31
	s_ashr_i32 s15, s14, 31
	s_add_nc_u64 s[26:27], s[0:1], 0xd0
	s_mov_b32 s29, 0xbbbac73d
.LBB78_9:                               ; =>This Inner Loop Header: Depth=1
	s_ashr_i32 s11, s10, 31
	v_mov_b32_e32 v36, 0
	s_mul_u64 s[2:3], s[10:11], s[20:21]
	v_mov_b32_e32 v37, 0
	s_lshl_b64 s[2:3], s[2:3], 2
	s_delay_alu instid0(SALU_CYCLE_1) | instskip(NEXT) | instid1(SALU_CYCLE_1)
	s_add_nc_u64 s[2:3], s[24:25], s[2:3]
	v_lshl_add_u64 v[0:1], v[54:55], 2, s[2:3]
	v_lshl_add_u64 v[2:3], v[58:59], 2, s[2:3]
	;; [unrolled: 1-line block ×4, first 2 shown]
	s_delay_alu instid0(VALU_DEP_4) | instskip(NEXT) | instid1(VALU_DEP_4)
	v_add_nc_u64_e32 v[6:7], v[0:1], v[66:67]
	v_add_nc_u64_e32 v[4:5], v[2:3], v[66:67]
	s_delay_alu instid0(VALU_DEP_4) | instskip(NEXT) | instid1(VALU_DEP_4)
	v_add_nc_u64_e32 v[2:3], v[8:9], v[66:67]
	v_add_nc_u64_e32 v[0:1], v[10:11], v[66:67]
	s_clause 0x3
	global_load_b128 v[8:11], v[6:7], off
	global_load_b128 v[12:15], v[4:5], off
	;; [unrolled: 1-line block ×4, first 2 shown]
	s_wait_loadcnt 0x3
	ds_store_b128 v83, v[8:11]
	s_wait_loadcnt 0x2
	ds_store_b128 v84, v[12:15]
	;; [unrolled: 2-line block ×4, first 2 shown]
	s_wait_dscnt 0x0
	s_barrier_signal -1
	s_barrier_wait -1
	ds_load_b128 v[10:13], v88
	ds_load_b128 v[18:21], v87
	ds_load_b128 v[26:29], v87 offset:256
	ds_load_b128 v[30:33], v88 offset:4608
	v_dual_mov_b32 v8, 0 :: v_dual_mov_b32 v9, 0
	s_wait_dscnt 0x2
	;;#ASMSTART
	v_dot2_f32_f16 v8, v10, v18, v8
	;;#ASMEND
	;;#ASMSTART
	v_dot2_f32_f16 v8, v11, v19, v8
	;;#ASMEND
	;;#ASMSTART
	v_dot2_f32_f16 v8, v12, v20, v8
	;;#ASMEND
	;;#ASMSTART
	v_dot2_f32_f16 v8, v13, v21, v8
	;;#ASMEND
	s_wait_dscnt 0x1
	;;#ASMSTART
	v_dot2_f32_f16 v36, v10, v26, v36
	;;#ASMEND
	;;#ASMSTART
	v_dot2_f32_f16 v36, v11, v27, v36
	;;#ASMEND
	;;#ASMSTART
	v_dot2_f32_f16 v36, v12, v28, v36
	;;#ASMEND
	;;#ASMSTART
	v_dot2_f32_f16 v36, v13, v29, v36
	;;#ASMEND
	s_wait_dscnt 0x0
	;;#ASMSTART
	v_dot2_f32_f16 v9, v30, v18, v9
	;;#ASMEND
	;;#ASMSTART
	v_dot2_f32_f16 v9, v31, v19, v9
	;;#ASMEND
	;;#ASMSTART
	v_dot2_f32_f16 v9, v32, v20, v9
	;;#ASMEND
	;;#ASMSTART
	v_dot2_f32_f16 v9, v33, v21, v9
	;;#ASMEND
	;;#ASMSTART
	v_dot2_f32_f16 v37, v30, v26, v37
	;;#ASMEND
	;;#ASMSTART
	v_dot2_f32_f16 v37, v31, v27, v37
	;;#ASMEND
	;;#ASMSTART
	v_dot2_f32_f16 v37, v32, v28, v37
	;;#ASMEND
	;;#ASMSTART
	v_dot2_f32_f16 v37, v33, v29, v37
	;;#ASMEND
	ds_load_b128 v[10:13], v88 offset:16
	ds_load_b128 v[18:21], v87 offset:16
	ds_load_b128 v[26:29], v87 offset:272
	ds_load_b128 v[30:33], v88 offset:4624
	s_wait_dscnt 0x2
	;;#ASMSTART
	v_dot2_f32_f16 v8, v10, v18, v8
	;;#ASMEND
	;;#ASMSTART
	v_dot2_f32_f16 v8, v11, v19, v8
	;;#ASMEND
	;;#ASMSTART
	v_dot2_f32_f16 v8, v12, v20, v8
	;;#ASMEND
	;;#ASMSTART
	v_dot2_f32_f16 v8, v13, v21, v8
	;;#ASMEND
	s_wait_dscnt 0x1
	;;#ASMSTART
	v_dot2_f32_f16 v36, v10, v26, v36
	;;#ASMEND
	;;#ASMSTART
	v_dot2_f32_f16 v36, v11, v27, v36
	;;#ASMEND
	;;#ASMSTART
	v_dot2_f32_f16 v36, v12, v28, v36
	;;#ASMEND
	;;#ASMSTART
	v_dot2_f32_f16 v36, v13, v29, v36
	;;#ASMEND
	s_wait_dscnt 0x0
	;;#ASMSTART
	v_dot2_f32_f16 v9, v30, v18, v9
	;;#ASMEND
	;;#ASMSTART
	v_dot2_f32_f16 v9, v31, v19, v9
	;;#ASMEND
	;;#ASMSTART
	v_dot2_f32_f16 v9, v32, v20, v9
	;;#ASMEND
	;;#ASMSTART
	v_dot2_f32_f16 v9, v33, v21, v9
	;;#ASMEND
	;;#ASMSTART
	v_dot2_f32_f16 v37, v30, v26, v37
	;;#ASMEND
	;;#ASMSTART
	v_dot2_f32_f16 v37, v31, v27, v37
	;;#ASMEND
	;;#ASMSTART
	v_dot2_f32_f16 v37, v32, v28, v37
	;;#ASMEND
	;;#ASMSTART
	v_dot2_f32_f16 v37, v33, v29, v37
	;;#ASMEND
	ds_load_b128 v[10:13], v88 offset:32
	ds_load_b128 v[18:21], v87 offset:32
	ds_load_b128 v[26:29], v87 offset:288
	ds_load_b128 v[30:33], v88 offset:4640
	;; [unrolled: 55-line block ×7, first 2 shown]
	s_wait_dscnt 0x2
	;;#ASMSTART
	v_dot2_f32_f16 v8, v10, v18, v8
	;;#ASMEND
	;;#ASMSTART
	v_dot2_f32_f16 v8, v11, v19, v8
	;;#ASMEND
	;;#ASMSTART
	v_dot2_f32_f16 v8, v12, v20, v8
	;;#ASMEND
	;;#ASMSTART
	v_dot2_f32_f16 v8, v13, v21, v8
	;;#ASMEND
	s_wait_dscnt 0x1
	;;#ASMSTART
	v_dot2_f32_f16 v36, v10, v26, v36
	;;#ASMEND
	;;#ASMSTART
	v_dot2_f32_f16 v36, v11, v27, v36
	;;#ASMEND
	;;#ASMSTART
	v_dot2_f32_f16 v36, v12, v28, v36
	;;#ASMEND
	;;#ASMSTART
	v_dot2_f32_f16 v36, v13, v29, v36
	;;#ASMEND
	;; [unrolled: 13-line block ×3, first 2 shown]
	;;#ASMSTART
	v_dot2_f32_f16 v37, v30, v26, v37
	;;#ASMEND
	;;#ASMSTART
	v_dot2_f32_f16 v37, v31, v27, v37
	;;#ASMEND
	;; [unrolled: 3-line block ×4, first 2 shown]
	s_barrier_signal -1
	s_barrier_wait -1
	s_clause 0x3
	global_load_b128 v[10:13], v[6:7], off offset:128
	global_load_b128 v[4:7], v[4:5], off offset:128
	;; [unrolled: 1-line block ×4, first 2 shown]
	s_wait_loadcnt 0x3
	ds_store_b128 v83, v[10:13]
	s_wait_loadcnt 0x2
	ds_store_b128 v84, v[4:7]
	;; [unrolled: 2-line block ×4, first 2 shown]
	s_wait_dscnt 0x0
	s_barrier_signal -1
	s_barrier_wait -1
	ds_load_b128 v[0:3], v88
	ds_load_b128 v[4:7], v87 offset:128
	ds_load_b128 v[10:13], v87 offset:384
	ds_load_b128 v[18:21], v88 offset:4608
	s_wait_dscnt 0x2
	;;#ASMSTART
	v_dot2_f32_f16 v8, v0, v4, v8
	;;#ASMEND
	;;#ASMSTART
	v_dot2_f32_f16 v8, v1, v5, v8
	;;#ASMEND
	;;#ASMSTART
	v_dot2_f32_f16 v8, v2, v6, v8
	;;#ASMEND
	;;#ASMSTART
	v_dot2_f32_f16 v8, v3, v7, v8
	;;#ASMEND
	s_wait_dscnt 0x1
	;;#ASMSTART
	v_dot2_f32_f16 v36, v0, v10, v36
	;;#ASMEND
	;;#ASMSTART
	v_dot2_f32_f16 v36, v1, v11, v36
	;;#ASMEND
	;;#ASMSTART
	v_dot2_f32_f16 v36, v2, v12, v36
	;;#ASMEND
	;;#ASMSTART
	v_dot2_f32_f16 v36, v3, v13, v36
	;;#ASMEND
	s_wait_dscnt 0x0
	;;#ASMSTART
	v_dot2_f32_f16 v9, v18, v4, v9
	;;#ASMEND
	;;#ASMSTART
	v_dot2_f32_f16 v9, v19, v5, v9
	;;#ASMEND
	;;#ASMSTART
	v_dot2_f32_f16 v9, v20, v6, v9
	;;#ASMEND
	;;#ASMSTART
	v_dot2_f32_f16 v9, v21, v7, v9
	;;#ASMEND
	;;#ASMSTART
	v_dot2_f32_f16 v37, v18, v10, v37
	;;#ASMEND
	;;#ASMSTART
	v_dot2_f32_f16 v37, v19, v11, v37
	;;#ASMEND
	;;#ASMSTART
	v_dot2_f32_f16 v37, v20, v12, v37
	;;#ASMEND
	;;#ASMSTART
	v_dot2_f32_f16 v37, v21, v13, v37
	;;#ASMEND
	ds_load_b128 v[0:3], v88 offset:16
	ds_load_b128 v[4:7], v87 offset:144
	ds_load_b128 v[10:13], v87 offset:400
	ds_load_b128 v[18:21], v88 offset:4624
	s_wait_dscnt 0x2
	;;#ASMSTART
	v_dot2_f32_f16 v8, v0, v4, v8
	;;#ASMEND
	;;#ASMSTART
	v_dot2_f32_f16 v8, v1, v5, v8
	;;#ASMEND
	;;#ASMSTART
	v_dot2_f32_f16 v8, v2, v6, v8
	;;#ASMEND
	;;#ASMSTART
	v_dot2_f32_f16 v8, v3, v7, v8
	;;#ASMEND
	s_wait_dscnt 0x1
	;;#ASMSTART
	v_dot2_f32_f16 v36, v0, v10, v36
	;;#ASMEND
	;;#ASMSTART
	v_dot2_f32_f16 v36, v1, v11, v36
	;;#ASMEND
	;;#ASMSTART
	v_dot2_f32_f16 v36, v2, v12, v36
	;;#ASMEND
	;;#ASMSTART
	v_dot2_f32_f16 v36, v3, v13, v36
	;;#ASMEND
	s_wait_dscnt 0x0
	;;#ASMSTART
	v_dot2_f32_f16 v9, v18, v4, v9
	;;#ASMEND
	;;#ASMSTART
	v_dot2_f32_f16 v9, v19, v5, v9
	;;#ASMEND
	;;#ASMSTART
	v_dot2_f32_f16 v9, v20, v6, v9
	;;#ASMEND
	;;#ASMSTART
	v_dot2_f32_f16 v9, v21, v7, v9
	;;#ASMEND
	;;#ASMSTART
	v_dot2_f32_f16 v37, v18, v10, v37
	;;#ASMEND
	;;#ASMSTART
	v_dot2_f32_f16 v37, v19, v11, v37
	;;#ASMEND
	;;#ASMSTART
	v_dot2_f32_f16 v37, v20, v12, v37
	;;#ASMEND
	;;#ASMSTART
	v_dot2_f32_f16 v37, v21, v13, v37
	;;#ASMEND
	ds_load_b128 v[0:3], v88 offset:32
	ds_load_b128 v[4:7], v87 offset:160
	ds_load_b128 v[10:13], v87 offset:416
	ds_load_b128 v[18:21], v88 offset:4640
	s_wait_dscnt 0x2
	;;#ASMSTART
	v_dot2_f32_f16 v8, v0, v4, v8
	;;#ASMEND
	;;#ASMSTART
	v_dot2_f32_f16 v8, v1, v5, v8
	;;#ASMEND
	;;#ASMSTART
	v_dot2_f32_f16 v8, v2, v6, v8
	;;#ASMEND
	;;#ASMSTART
	v_dot2_f32_f16 v8, v3, v7, v8
	;;#ASMEND
	s_wait_dscnt 0x1
	;;#ASMSTART
	v_dot2_f32_f16 v36, v0, v10, v36
	;;#ASMEND
	;;#ASMSTART
	v_dot2_f32_f16 v36, v1, v11, v36
	;;#ASMEND
	;;#ASMSTART
	v_dot2_f32_f16 v36, v2, v12, v36
	;;#ASMEND
	;;#ASMSTART
	v_dot2_f32_f16 v36, v3, v13, v36
	;;#ASMEND
	s_wait_dscnt 0x0
	;;#ASMSTART
	v_dot2_f32_f16 v9, v18, v4, v9
	;;#ASMEND
	;;#ASMSTART
	v_dot2_f32_f16 v9, v19, v5, v9
	;;#ASMEND
	;;#ASMSTART
	v_dot2_f32_f16 v9, v20, v6, v9
	;;#ASMEND
	;;#ASMSTART
	v_dot2_f32_f16 v9, v21, v7, v9
	;;#ASMEND
	;;#ASMSTART
	v_dot2_f32_f16 v37, v18, v10, v37
	;;#ASMEND
	;;#ASMSTART
	v_dot2_f32_f16 v37, v19, v11, v37
	;;#ASMEND
	;;#ASMSTART
	v_dot2_f32_f16 v37, v20, v12, v37
	;;#ASMEND
	;;#ASMSTART
	v_dot2_f32_f16 v37, v21, v13, v37
	;;#ASMEND
	ds_load_b128 v[0:3], v88 offset:48
	ds_load_b128 v[4:7], v87 offset:176
	ds_load_b128 v[10:13], v87 offset:432
	ds_load_b128 v[18:21], v88 offset:4656
	s_wait_dscnt 0x2
	;;#ASMSTART
	v_dot2_f32_f16 v8, v0, v4, v8
	;;#ASMEND
	;;#ASMSTART
	v_dot2_f32_f16 v8, v1, v5, v8
	;;#ASMEND
	;;#ASMSTART
	v_dot2_f32_f16 v8, v2, v6, v8
	;;#ASMEND
	;;#ASMSTART
	v_dot2_f32_f16 v8, v3, v7, v8
	;;#ASMEND
	s_wait_dscnt 0x1
	;;#ASMSTART
	v_dot2_f32_f16 v36, v0, v10, v36
	;;#ASMEND
	;;#ASMSTART
	v_dot2_f32_f16 v36, v1, v11, v36
	;;#ASMEND
	;;#ASMSTART
	v_dot2_f32_f16 v36, v2, v12, v36
	;;#ASMEND
	;;#ASMSTART
	v_dot2_f32_f16 v36, v3, v13, v36
	;;#ASMEND
	s_wait_dscnt 0x0
	;;#ASMSTART
	v_dot2_f32_f16 v9, v18, v4, v9
	;;#ASMEND
	;;#ASMSTART
	v_dot2_f32_f16 v9, v19, v5, v9
	;;#ASMEND
	;;#ASMSTART
	v_dot2_f32_f16 v9, v20, v6, v9
	;;#ASMEND
	;;#ASMSTART
	v_dot2_f32_f16 v9, v21, v7, v9
	;;#ASMEND
	;;#ASMSTART
	v_dot2_f32_f16 v37, v18, v10, v37
	;;#ASMEND
	;;#ASMSTART
	v_dot2_f32_f16 v37, v19, v11, v37
	;;#ASMEND
	;;#ASMSTART
	v_dot2_f32_f16 v37, v20, v12, v37
	;;#ASMEND
	;;#ASMSTART
	v_dot2_f32_f16 v37, v21, v13, v37
	;;#ASMEND
	ds_load_b128 v[0:3], v88 offset:64
	ds_load_b128 v[4:7], v87 offset:192
	ds_load_b128 v[10:13], v87 offset:448
	ds_load_b128 v[18:21], v88 offset:4672
	s_wait_dscnt 0x2
	;;#ASMSTART
	v_dot2_f32_f16 v8, v0, v4, v8
	;;#ASMEND
	;;#ASMSTART
	v_dot2_f32_f16 v8, v1, v5, v8
	;;#ASMEND
	;;#ASMSTART
	v_dot2_f32_f16 v8, v2, v6, v8
	;;#ASMEND
	;;#ASMSTART
	v_dot2_f32_f16 v8, v3, v7, v8
	;;#ASMEND
	s_wait_dscnt 0x1
	;;#ASMSTART
	v_dot2_f32_f16 v36, v0, v10, v36
	;;#ASMEND
	;;#ASMSTART
	v_dot2_f32_f16 v36, v1, v11, v36
	;;#ASMEND
	;;#ASMSTART
	v_dot2_f32_f16 v36, v2, v12, v36
	;;#ASMEND
	;;#ASMSTART
	v_dot2_f32_f16 v36, v3, v13, v36
	;;#ASMEND
	s_wait_dscnt 0x0
	;;#ASMSTART
	v_dot2_f32_f16 v9, v18, v4, v9
	;;#ASMEND
	;;#ASMSTART
	v_dot2_f32_f16 v9, v19, v5, v9
	;;#ASMEND
	;;#ASMSTART
	v_dot2_f32_f16 v9, v20, v6, v9
	;;#ASMEND
	;;#ASMSTART
	v_dot2_f32_f16 v9, v21, v7, v9
	;;#ASMEND
	;;#ASMSTART
	v_dot2_f32_f16 v37, v18, v10, v37
	;;#ASMEND
	;;#ASMSTART
	v_dot2_f32_f16 v37, v19, v11, v37
	;;#ASMEND
	;;#ASMSTART
	v_dot2_f32_f16 v37, v20, v12, v37
	;;#ASMEND
	;;#ASMSTART
	v_dot2_f32_f16 v37, v21, v13, v37
	;;#ASMEND
	ds_load_b128 v[0:3], v88 offset:80
	ds_load_b128 v[4:7], v87 offset:208
	ds_load_b128 v[10:13], v87 offset:464
	ds_load_b128 v[18:21], v88 offset:4688
	s_wait_dscnt 0x2
	;;#ASMSTART
	v_dot2_f32_f16 v8, v0, v4, v8
	;;#ASMEND
	;;#ASMSTART
	v_dot2_f32_f16 v8, v1, v5, v8
	;;#ASMEND
	;;#ASMSTART
	v_dot2_f32_f16 v8, v2, v6, v8
	;;#ASMEND
	;;#ASMSTART
	v_dot2_f32_f16 v8, v3, v7, v8
	;;#ASMEND
	s_wait_dscnt 0x1
	;;#ASMSTART
	v_dot2_f32_f16 v36, v0, v10, v36
	;;#ASMEND
	;;#ASMSTART
	v_dot2_f32_f16 v36, v1, v11, v36
	;;#ASMEND
	;;#ASMSTART
	v_dot2_f32_f16 v36, v2, v12, v36
	;;#ASMEND
	;;#ASMSTART
	v_dot2_f32_f16 v36, v3, v13, v36
	;;#ASMEND
	s_wait_dscnt 0x0
	;;#ASMSTART
	v_dot2_f32_f16 v9, v18, v4, v9
	;;#ASMEND
	;;#ASMSTART
	v_dot2_f32_f16 v9, v19, v5, v9
	;;#ASMEND
	;;#ASMSTART
	v_dot2_f32_f16 v9, v20, v6, v9
	;;#ASMEND
	;;#ASMSTART
	v_dot2_f32_f16 v9, v21, v7, v9
	;;#ASMEND
	;;#ASMSTART
	v_dot2_f32_f16 v37, v18, v10, v37
	;;#ASMEND
	;;#ASMSTART
	v_dot2_f32_f16 v37, v19, v11, v37
	;;#ASMEND
	;;#ASMSTART
	v_dot2_f32_f16 v37, v20, v12, v37
	;;#ASMEND
	;;#ASMSTART
	v_dot2_f32_f16 v37, v21, v13, v37
	;;#ASMEND
	ds_load_b128 v[0:3], v88 offset:96
	ds_load_b128 v[4:7], v87 offset:224
	ds_load_b128 v[10:13], v87 offset:480
	ds_load_b128 v[18:21], v88 offset:4704
	s_wait_dscnt 0x2
	;;#ASMSTART
	v_dot2_f32_f16 v8, v0, v4, v8
	;;#ASMEND
	;;#ASMSTART
	v_dot2_f32_f16 v8, v1, v5, v8
	;;#ASMEND
	;;#ASMSTART
	v_dot2_f32_f16 v8, v2, v6, v8
	;;#ASMEND
	;;#ASMSTART
	v_dot2_f32_f16 v8, v3, v7, v8
	;;#ASMEND
	s_wait_dscnt 0x1
	;;#ASMSTART
	v_dot2_f32_f16 v36, v0, v10, v36
	;;#ASMEND
	;;#ASMSTART
	v_dot2_f32_f16 v36, v1, v11, v36
	;;#ASMEND
	;;#ASMSTART
	v_dot2_f32_f16 v36, v2, v12, v36
	;;#ASMEND
	;;#ASMSTART
	v_dot2_f32_f16 v36, v3, v13, v36
	;;#ASMEND
	s_wait_dscnt 0x0
	;;#ASMSTART
	v_dot2_f32_f16 v9, v18, v4, v9
	;;#ASMEND
	;;#ASMSTART
	v_dot2_f32_f16 v9, v19, v5, v9
	;;#ASMEND
	;;#ASMSTART
	v_dot2_f32_f16 v9, v20, v6, v9
	;;#ASMEND
	;;#ASMSTART
	v_dot2_f32_f16 v9, v21, v7, v9
	;;#ASMEND
	;;#ASMSTART
	v_dot2_f32_f16 v37, v18, v10, v37
	;;#ASMEND
	;;#ASMSTART
	v_dot2_f32_f16 v37, v19, v11, v37
	;;#ASMEND
	;;#ASMSTART
	v_dot2_f32_f16 v37, v20, v12, v37
	;;#ASMEND
	;;#ASMSTART
	v_dot2_f32_f16 v37, v21, v13, v37
	;;#ASMEND
	ds_load_b128 v[0:3], v88 offset:112
	ds_load_b128 v[4:7], v87 offset:240
	ds_load_b128 v[10:13], v87 offset:496
	;; [unrolled: 1-line block ×3, first 2 shown]
	s_wait_dscnt 0x2
	;;#ASMSTART
	v_dot2_f32_f16 v8, v0, v4, v8
	;;#ASMEND
	;;#ASMSTART
	v_dot2_f32_f16 v8, v1, v5, v8
	;;#ASMEND
	;; [unrolled: 3-line block ×4, first 2 shown]
	s_wait_dscnt 0x1
	;;#ASMSTART
	v_dot2_f32_f16 v36, v0, v10, v36
	;;#ASMEND
	;;#ASMSTART
	v_dot2_f32_f16 v36, v1, v11, v36
	;;#ASMEND
	;; [unrolled: 3-line block ×4, first 2 shown]
	s_wait_dscnt 0x0
	;;#ASMSTART
	v_dot2_f32_f16 v9, v18, v4, v9
	;;#ASMEND
	v_cmp_ngt_f32_e64 s2, 0x3f200000, |v8|
	;;#ASMSTART
	v_dot2_f32_f16 v9, v19, v5, v9
	;;#ASMEND
	;;#ASMSTART
	v_dot2_f32_f16 v9, v20, v6, v9
	;;#ASMEND
	;; [unrolled: 3-line block ×7, first 2 shown]
                                        ; implicit-def: $vgpr2
	s_and_saveexec_b32 s3, s2
	s_delay_alu instid0(SALU_CYCLE_1)
	s_xor_b32 s2, exec_lo, s3
	s_cbranch_execz .LBB78_11
; %bb.10:                               ;   in Loop: Header=BB78_9 Depth=1
	v_add_f32_e64 v0, |v8|, |v8|
	s_delay_alu instid0(VALU_DEP_1) | instskip(SKIP_1) | instid1(VALU_DEP_2)
	v_mul_f32_e32 v1, 0x3fb8aa3b, v0
	v_cmp_ngt_f32_e32 vcc_lo, 0xc2ce8ed0, v0
	v_rndne_f32_e32 v2, v1
	v_fma_f32 v3, 0x3fb8aa3b, v0, -v1
	s_delay_alu instid0(VALU_DEP_2) | instskip(NEXT) | instid1(VALU_DEP_2)
	v_sub_f32_e32 v1, v1, v2
	v_fmac_f32_e32 v3, 0x32a5705f, v0
	v_cvt_i32_f32_e32 v2, v2
	s_delay_alu instid0(VALU_DEP_2) | instskip(NEXT) | instid1(VALU_DEP_1)
	v_add_f32_e32 v1, v1, v3
	v_exp_f32_e32 v1, v1
	v_nop
	s_delay_alu instid0(TRANS32_DEP_1) | instskip(NEXT) | instid1(VALU_DEP_1)
	v_ldexp_f32 v1, v1, v2
	v_cndmask_b32_e32 v1, 0, v1, vcc_lo
	v_cmp_nlt_f32_e32 vcc_lo, 0x42b17218, v0
	s_delay_alu instid0(VALU_DEP_2) | instskip(NEXT) | instid1(VALU_DEP_1)
	v_cndmask_b32_e32 v0, 0x7f800000, v1, vcc_lo
	v_add_f32_e32 v0, 1.0, v0
	s_delay_alu instid0(VALU_DEP_1) | instskip(SKIP_1) | instid1(TRANS32_DEP_1)
	v_rcp_f32_e32 v0, v0
	v_nop
	v_fma_f32 v2, v0, -2.0, 1.0
.LBB78_11:                              ;   in Loop: Header=BB78_9 Depth=1
	s_and_not1_saveexec_b32 s2, s2
	s_cbranch_execz .LBB78_13
; %bb.12:                               ;   in Loop: Header=BB78_9 Depth=1
	v_mul_f32_e32 v0, v8, v8
	s_delay_alu instid0(VALU_DEP_1) | instskip(NEXT) | instid1(VALU_DEP_1)
	v_fmaak_f32 v1, s29, v0, 0x3ca908c9
	v_fmaak_f32 v1, v0, v1, 0xbd5c1c4e
	s_delay_alu instid0(VALU_DEP_1) | instskip(NEXT) | instid1(VALU_DEP_1)
	v_fmaak_f32 v1, v0, v1, 0x3e088382
	v_fmaak_f32 v1, v0, v1, 0xbeaaaa99
	s_delay_alu instid0(VALU_DEP_1) | instskip(NEXT) | instid1(VALU_DEP_1)
	v_mul_f32_e64 v1, |v8|, v1
	v_fma_f32 v2, v0, v1, |v8|
.LBB78_13:                              ;   in Loop: Header=BB78_9 Depth=1
	s_or_b32 exec_lo, exec_lo, s2
	v_add_nc_u32_e32 v0, s10, v90
	v_cmp_ngt_f32_e64 s2, 0x3f200000, |v9|
                                        ; implicit-def: $vgpr3
	global_load_u16 v19, v0, s[34:35] scale_offset
	s_wait_xcnt 0x0
	s_and_saveexec_b32 s3, s2
	s_delay_alu instid0(SALU_CYCLE_1)
	s_xor_b32 s2, exec_lo, s3
	s_cbranch_execz .LBB78_15
; %bb.14:                               ;   in Loop: Header=BB78_9 Depth=1
	v_add_f32_e64 v1, |v9|, |v9|
	s_delay_alu instid0(VALU_DEP_1) | instskip(SKIP_1) | instid1(VALU_DEP_2)
	v_mul_f32_e32 v3, 0x3fb8aa3b, v1
	v_cmp_ngt_f32_e32 vcc_lo, 0xc2ce8ed0, v1
	v_rndne_f32_e32 v4, v3
	v_fma_f32 v5, 0x3fb8aa3b, v1, -v3
	s_delay_alu instid0(VALU_DEP_2) | instskip(NEXT) | instid1(VALU_DEP_2)
	v_sub_f32_e32 v3, v3, v4
	v_fmac_f32_e32 v5, 0x32a5705f, v1
	v_cvt_i32_f32_e32 v4, v4
	s_delay_alu instid0(VALU_DEP_2) | instskip(NEXT) | instid1(VALU_DEP_1)
	v_add_f32_e32 v3, v3, v5
	v_exp_f32_e32 v3, v3
	v_nop
	s_delay_alu instid0(TRANS32_DEP_1) | instskip(NEXT) | instid1(VALU_DEP_1)
	v_ldexp_f32 v3, v3, v4
	v_cndmask_b32_e32 v3, 0, v3, vcc_lo
	v_cmp_nlt_f32_e32 vcc_lo, 0x42b17218, v1
	s_delay_alu instid0(VALU_DEP_2) | instskip(NEXT) | instid1(VALU_DEP_1)
	v_cndmask_b32_e32 v1, 0x7f800000, v3, vcc_lo
	v_add_f32_e32 v1, 1.0, v1
	s_delay_alu instid0(VALU_DEP_1) | instskip(SKIP_1) | instid1(TRANS32_DEP_1)
	v_rcp_f32_e32 v1, v1
	v_nop
	v_fma_f32 v3, v1, -2.0, 1.0
.LBB78_15:                              ;   in Loop: Header=BB78_9 Depth=1
	s_and_not1_saveexec_b32 s2, s2
	s_cbranch_execz .LBB78_17
; %bb.16:                               ;   in Loop: Header=BB78_9 Depth=1
	v_mul_f32_e32 v1, v9, v9
	s_delay_alu instid0(VALU_DEP_1) | instskip(NEXT) | instid1(VALU_DEP_1)
	v_fmaak_f32 v3, s29, v1, 0x3ca908c9
	v_fmaak_f32 v3, v1, v3, 0xbd5c1c4e
	s_delay_alu instid0(VALU_DEP_1) | instskip(NEXT) | instid1(VALU_DEP_1)
	v_fmaak_f32 v3, v1, v3, 0x3e088382
	v_fmaak_f32 v3, v1, v3, 0xbeaaaa99
	s_delay_alu instid0(VALU_DEP_1) | instskip(NEXT) | instid1(VALU_DEP_1)
	v_mul_f32_e64 v3, |v9|, v3
	v_fma_f32 v3, v1, v3, |v9|
.LBB78_17:                              ;   in Loop: Header=BB78_9 Depth=1
	s_or_b32 exec_lo, exec_lo, s2
	v_dual_ashrrev_i32 v1, 31, v0 :: v_dual_bitop2_b32 v99, 16, v81 bitop3:0x14
	v_xor_b32_e32 v95, 8, v81
	v_xor_b32_e32 v96, 4, v81
	;; [unrolled: 1-line block ×3, first 2 shown]
	s_delay_alu instid0(VALU_DEP_4)
	v_lshl_add_u64 v[0:1], v[0:1], 1, s[34:35]
	v_cmp_gt_i32_e32 vcc_lo, 32, v99
	v_xor_b32_e32 v97, 2, v81
	v_cmp_ngt_f32_e64 s2, 0x3f200000, |v36|
                                        ; implicit-def: $vgpr34
	global_load_u16 v26, v[0:1], off offset:64
	s_wait_xcnt 0x0
	v_bfi_b32 v0, 0x7fffffff, v2, v8
	v_bfi_b32 v1, 0x7fffffff, v3, v9
	s_wait_loadcnt 0x1
	s_wait_kmcnt 0x0
	s_delay_alu instid0(VALU_DEP_2) | instskip(NEXT) | instid1(VALU_DEP_1)
	v_fma_mix_f32 v21, s7, v0, v19 op_sel_hi:[0,0,1]
	v_add_f32_e32 v0, 0x40051340, v21
	s_wait_loadcnt 0x0
	v_fma_mix_f32 v29, s7, v1, v26 op_sel_hi:[0,0,1]
	v_cndmask_b32_e32 v1, v81, v99, vcc_lo
	v_cmp_gt_i32_e32 vcc_lo, 32, v95
	s_delay_alu instid0(VALU_DEP_3) | instskip(NEXT) | instid1(VALU_DEP_3)
	v_add_f32_e32 v2, 0x40051340, v29
	v_lshlrev_b32_e32 v27, 2, v1
	s_delay_alu instid0(VALU_DEP_2)
	v_max3_num_f32 v0, v17, v0, v2
	v_cndmask_b32_e32 v2, v81, v95, vcc_lo
	v_cmp_gt_i32_e32 vcc_lo, 32, v96
	ds_bpermute_b32 v1, v27, v0
	v_dual_lshlrev_b32 v28, 2, v2 :: v_dual_cndmask_b32 v2, v81, v96, vcc_lo
	v_cmp_gt_i32_e32 vcc_lo, 32, v97
	s_delay_alu instid0(VALU_DEP_2) | instskip(SKIP_1) | instid1(VALU_DEP_2)
	v_dual_lshlrev_b32 v30, 2, v2 :: v_dual_cndmask_b32 v2, v81, v97, vcc_lo
	v_cmp_gt_i32_e32 vcc_lo, 32, v98
	v_lshlrev_b32_e32 v31, 2, v2
	v_cndmask_b32_e32 v2, v81, v98, vcc_lo
	s_wait_dscnt 0x0
	s_delay_alu instid0(VALU_DEP_1) | instskip(NEXT) | instid1(VALU_DEP_1)
	v_dual_max_num_f32 v1, v1, v1 :: v_dual_lshlrev_b32 v18, 2, v2
	v_max_num_f32_e32 v0, v0, v1
	ds_bpermute_b32 v1, v28, v0
	s_wait_dscnt 0x0
	v_max_num_f32_e32 v1, v1, v1
	s_delay_alu instid0(VALU_DEP_1) | instskip(SKIP_3) | instid1(VALU_DEP_1)
	v_max_num_f32_e32 v0, v0, v1
	ds_bpermute_b32 v1, v30, v0
	s_wait_dscnt 0x0
	v_max_num_f32_e32 v1, v1, v1
	v_max_num_f32_e32 v0, v0, v1
	ds_bpermute_b32 v1, v31, v0
	s_wait_dscnt 0x0
	v_max_num_f32_e32 v1, v1, v1
	s_delay_alu instid0(VALU_DEP_1) | instskip(SKIP_2) | instid1(SALU_CYCLE_1)
	v_max_num_f32_e32 v32, v0, v1
	ds_bpermute_b32 v33, v18, v32
	s_and_saveexec_b32 s3, s2
	s_xor_b32 s2, exec_lo, s3
	s_cbranch_execz .LBB78_19
; %bb.18:                               ;   in Loop: Header=BB78_9 Depth=1
	v_add_f32_e64 v0, |v36|, |v36|
	s_delay_alu instid0(VALU_DEP_1) | instskip(SKIP_1) | instid1(VALU_DEP_2)
	v_mul_f32_e32 v1, 0x3fb8aa3b, v0
	v_cmp_ngt_f32_e32 vcc_lo, 0xc2ce8ed0, v0
	v_rndne_f32_e32 v2, v1
	v_fma_f32 v3, 0x3fb8aa3b, v0, -v1
	s_delay_alu instid0(VALU_DEP_2) | instskip(NEXT) | instid1(VALU_DEP_2)
	v_sub_f32_e32 v1, v1, v2
	v_fmac_f32_e32 v3, 0x32a5705f, v0
	v_cvt_i32_f32_e32 v2, v2
	s_delay_alu instid0(VALU_DEP_2) | instskip(NEXT) | instid1(VALU_DEP_1)
	v_add_f32_e32 v1, v1, v3
	v_exp_f32_e32 v1, v1
	v_nop
	s_delay_alu instid0(TRANS32_DEP_1) | instskip(NEXT) | instid1(VALU_DEP_1)
	v_ldexp_f32 v1, v1, v2
	v_cndmask_b32_e32 v1, 0, v1, vcc_lo
	v_cmp_nlt_f32_e32 vcc_lo, 0x42b17218, v0
	s_delay_alu instid0(VALU_DEP_2) | instskip(NEXT) | instid1(VALU_DEP_1)
	v_cndmask_b32_e32 v0, 0x7f800000, v1, vcc_lo
	v_add_f32_e32 v0, 1.0, v0
	s_delay_alu instid0(VALU_DEP_1) | instskip(SKIP_1) | instid1(TRANS32_DEP_1)
	v_rcp_f32_e32 v0, v0
	v_nop
	v_fma_f32 v34, v0, -2.0, 1.0
.LBB78_19:                              ;   in Loop: Header=BB78_9 Depth=1
	s_and_not1_saveexec_b32 s2, s2
	s_cbranch_execz .LBB78_21
; %bb.20:                               ;   in Loop: Header=BB78_9 Depth=1
	v_mul_f32_e32 v0, v36, v36
	s_delay_alu instid0(VALU_DEP_1) | instskip(NEXT) | instid1(VALU_DEP_1)
	v_fmaak_f32 v1, s29, v0, 0x3ca908c9
	v_fmaak_f32 v1, v0, v1, 0xbd5c1c4e
	s_delay_alu instid0(VALU_DEP_1) | instskip(NEXT) | instid1(VALU_DEP_1)
	v_fmaak_f32 v1, v0, v1, 0x3e088382
	v_fmaak_f32 v1, v0, v1, 0xbeaaaa99
	s_delay_alu instid0(VALU_DEP_1) | instskip(NEXT) | instid1(VALU_DEP_1)
	v_mul_f32_e64 v1, |v36|, v1
	v_fma_f32 v34, v0, v1, |v36|
.LBB78_21:                              ;   in Loop: Header=BB78_9 Depth=1
	s_or_b32 exec_lo, exec_lo, s2
	v_cmp_ngt_f32_e64 s2, 0x3f200000, |v37|
                                        ; implicit-def: $vgpr35
	s_and_saveexec_b32 s3, s2
	s_delay_alu instid0(SALU_CYCLE_1)
	s_xor_b32 s2, exec_lo, s3
	s_cbranch_execz .LBB78_23
; %bb.22:                               ;   in Loop: Header=BB78_9 Depth=1
	v_add_f32_e64 v0, |v37|, |v37|
	s_delay_alu instid0(VALU_DEP_1) | instskip(SKIP_1) | instid1(VALU_DEP_2)
	v_mul_f32_e32 v1, 0x3fb8aa3b, v0
	v_cmp_ngt_f32_e32 vcc_lo, 0xc2ce8ed0, v0
	v_rndne_f32_e32 v2, v1
	v_fma_f32 v3, 0x3fb8aa3b, v0, -v1
	s_delay_alu instid0(VALU_DEP_2) | instskip(NEXT) | instid1(VALU_DEP_2)
	v_sub_f32_e32 v1, v1, v2
	v_fmac_f32_e32 v3, 0x32a5705f, v0
	v_cvt_i32_f32_e32 v2, v2
	s_delay_alu instid0(VALU_DEP_2) | instskip(NEXT) | instid1(VALU_DEP_1)
	v_add_f32_e32 v1, v1, v3
	v_exp_f32_e32 v1, v1
	v_nop
	s_delay_alu instid0(TRANS32_DEP_1) | instskip(NEXT) | instid1(VALU_DEP_1)
	v_ldexp_f32 v1, v1, v2
	v_cndmask_b32_e32 v1, 0, v1, vcc_lo
	v_cmp_nlt_f32_e32 vcc_lo, 0x42b17218, v0
	s_delay_alu instid0(VALU_DEP_2) | instskip(NEXT) | instid1(VALU_DEP_1)
	v_cndmask_b32_e32 v0, 0x7f800000, v1, vcc_lo
	v_add_f32_e32 v0, 1.0, v0
	s_delay_alu instid0(VALU_DEP_1) | instskip(SKIP_1) | instid1(TRANS32_DEP_1)
	v_rcp_f32_e32 v0, v0
	v_nop
	v_fma_f32 v35, v0, -2.0, 1.0
.LBB78_23:                              ;   in Loop: Header=BB78_9 Depth=1
	s_and_not1_saveexec_b32 s2, s2
	s_cbranch_execz .LBB78_25
; %bb.24:                               ;   in Loop: Header=BB78_9 Depth=1
	v_mul_f32_e32 v0, v37, v37
	s_delay_alu instid0(VALU_DEP_1) | instskip(NEXT) | instid1(VALU_DEP_1)
	v_fmaak_f32 v1, s29, v0, 0x3ca908c9
	v_fmaak_f32 v1, v0, v1, 0xbd5c1c4e
	s_delay_alu instid0(VALU_DEP_1) | instskip(NEXT) | instid1(VALU_DEP_1)
	v_fmaak_f32 v1, v0, v1, 0x3e088382
	v_fmaak_f32 v1, v0, v1, 0xbeaaaa99
	s_delay_alu instid0(VALU_DEP_1) | instskip(NEXT) | instid1(VALU_DEP_1)
	v_mul_f32_e64 v1, |v37|, v1
	v_fma_f32 v35, v0, v1, |v37|
.LBB78_25:                              ;   in Loop: Header=BB78_9 Depth=1
	s_or_b32 exec_lo, exec_lo, s2
	s_mul_u64 s[2:3], s[10:11], s[14:15]
	s_wait_dscnt 0x0
	s_lshl_b64 s[2:3], s[2:3], 2
	s_barrier_signal -1
	s_add_nc_u64 s[2:3], s[8:9], s[2:3]
	s_barrier_wait -1
	v_add_nc_u64_e32 v[0:1], s[2:3], v[68:69]
	v_add_nc_u64_e32 v[2:3], s[2:3], v[70:71]
	;; [unrolled: 1-line block ×4, first 2 shown]
	v_cvt_f32_f16_e32 v20, v19
	v_cvt_f32_f16_e32 v19, v26
	v_add_nc_u64_e32 v[0:1], v[0:1], v[60:61]
	v_add_nc_u64_e32 v[8:9], v[2:3], v[60:61]
	;; [unrolled: 1-line block ×4, first 2 shown]
	v_bfi_b32 v26, 0x7fffffff, v34, v36
	v_bfi_b32 v34, 0x7fffffff, v35, v37
	v_add_nc_u32_e32 v44, 0x800, v80
	s_clause 0x3
	global_load_b128 v[0:3], v[0:1], off
	global_load_b128 v[4:7], v[8:9], off
	;; [unrolled: 1-line block ×4, first 2 shown]
	v_add_nc_u32_e32 v100, 0x1000, v80
	v_fmac_f32_e32 v20, s7, v26
	s_delay_alu instid0(VALU_DEP_1) | instskip(NEXT) | instid1(VALU_DEP_1)
	v_dual_fmac_f32 v19, s7, v34 :: v_dual_add_f32 v26, 0x40051340, v20
	v_add_f32_e32 v34, 0x40051340, v19
	s_delay_alu instid0(VALU_DEP_1) | instskip(SKIP_3) | instid1(VALU_DEP_1)
	v_max3_num_f32 v26, v16, v26, v34
	ds_bpermute_b32 v27, v27, v26
	s_wait_dscnt 0x0
	v_max_num_f32_e32 v27, v27, v27
	v_max_num_f32_e32 v26, v26, v27
	ds_bpermute_b32 v27, v28, v26
	s_wait_dscnt 0x0
	v_dual_max_num_f32 v28, v33, v33 :: v_dual_max_num_f32 v27, v27, v27
	s_delay_alu instid0(VALU_DEP_1) | instskip(SKIP_3) | instid1(VALU_DEP_1)
	v_max_num_f32_e32 v26, v26, v27
	ds_bpermute_b32 v27, v30, v26
	s_wait_dscnt 0x0
	v_max_num_f32_e32 v27, v27, v27
	v_max_num_f32_e32 v27, v26, v27
	ds_bpermute_b32 v26, v31, v27
	v_max_num_f32_e32 v30, v32, v32
	s_delay_alu instid0(VALU_DEP_1) | instskip(SKIP_1) | instid1(VALU_DEP_1)
	v_max_num_f32_e32 v76, v30, v28
	s_wait_dscnt 0x0
	v_dual_max_num_f32 v28, v26, v26 :: v_dual_sub_f32 v26, v21, v76
	v_dual_sub_f32 v21, v29, v76 :: v_dual_add_nc_u32 v29, v91, v79
	v_sub_f32_e32 v17, v17, v76
	s_delay_alu instid0(VALU_DEP_2) | instskip(SKIP_1) | instid1(VALU_DEP_3)
	v_dual_max_num_f32 v27, v27, v28 :: v_dual_mul_f32 v30, 0x3fb8aa3b, v21
	v_cmp_ngt_f32_e64 s2, 0xc2ce8ed0, v21
	v_mul_f32_e32 v31, 0x3fb8aa3b, v17
	ds_bpermute_b32 v18, v18, v27
	v_mul_f32_e32 v28, 0x3fb8aa3b, v26
	v_fma_f32 v34, 0x3fb8aa3b, v21, -v30
	v_rndne_f32_e32 v35, v30
	v_cmp_nlt_f32_e64 s5, 0x42b17218, v21
	v_cmp_ngt_f32_e32 vcc_lo, 0xc2ce8ed0, v26
	v_fma_f32 v32, 0x3fb8aa3b, v26, -v28
	v_rndne_f32_e32 v33, v28
	v_cmp_nlt_f32_e64 s4, 0x42b17218, v26
	v_rndne_f32_e32 v37, v31
	v_fma_f32 v36, 0x3fb8aa3b, v17, -v31
	v_fmac_f32_e32 v32, 0x32a5705f, v26
	v_cmp_ngt_f32_e64 s3, 0xc2ce8ed0, v17
	v_cmp_nlt_f32_e64 s6, 0x42b17218, v17
	s_wait_dscnt 0x0
	v_max_num_f32_e32 v18, v18, v18
	v_dual_fmac_f32 v34, 0x32a5705f, v21 :: v_dual_sub_f32 v21, v30, v35
	v_cvt_i32_f32_e32 v30, v33
	s_delay_alu instid0(VALU_DEP_3) | instskip(NEXT) | instid1(VALU_DEP_3)
	v_dual_max_num_f32 v77, v27, v18 :: v_dual_sub_f32 v26, v28, v33
	v_dual_add_f32 v21, v21, v34 :: v_dual_sub_f32 v28, v31, v37
	v_cvt_i32_f32_e32 v31, v35
	s_delay_alu instid0(VALU_DEP_3) | instskip(NEXT) | instid1(VALU_DEP_3)
	v_dual_sub_f32 v20, v20, v77 :: v_dual_sub_f32 v19, v19, v77
	v_exp_f32_e32 v21, v21
	s_delay_alu instid0(VALU_DEP_1) | instskip(NEXT) | instid1(VALU_DEP_1)
	v_dual_add_f32 v26, v26, v32 :: v_dual_mul_f32 v27, 0x3fb8aa3b, v19
	v_exp_f32_e32 v26, v26
	s_delay_alu instid0(TRANS32_DEP_2) | instskip(NEXT) | instid1(VALU_DEP_2)
	v_ldexp_f32 v21, v21, v31
	v_fma_f32 v31, 0x3fb8aa3b, v19, -v27
	v_fmac_f32_e32 v36, 0x32a5705f, v17
	v_cvt_i32_f32_e32 v17, v37
	s_delay_alu instid0(VALU_DEP_4) | instskip(NEXT) | instid1(TRANS32_DEP_1)
	v_cndmask_b32_e64 v21, 0, v21, s2
	v_ldexp_f32 v26, v26, v30
	s_delay_alu instid0(VALU_DEP_4) | instskip(SKIP_1) | instid1(VALU_DEP_2)
	v_dual_fmac_f32 v31, 0x32a5705f, v19 :: v_dual_add_f32 v28, v28, v36
	v_cmp_ngt_f32_e64 s2, 0xc2ce8ed0, v19
	v_exp_f32_e32 v18, v28
	v_nop
	v_sub_f32_e32 v28, v16, v77
	v_rndne_f32_e32 v32, v27
	s_delay_alu instid0(VALU_DEP_1) | instskip(NEXT) | instid1(VALU_DEP_3)
	v_sub_f32_e32 v27, v27, v32
	v_mul_f32_e32 v33, 0x3fb8aa3b, v28
	s_delay_alu instid0(TRANS32_DEP_1) | instskip(SKIP_2) | instid1(VALU_DEP_4)
	v_ldexp_f32 v17, v18, v17
	v_cndmask_b32_e32 v18, 0, v26, vcc_lo
	v_cmp_ngt_f32_e32 vcc_lo, 0xc2ce8ed0, v20
	v_rndne_f32_e32 v35, v33
	v_mul_f32_e32 v26, 0x3fb8aa3b, v20
	s_delay_alu instid0(VALU_DEP_4) | instskip(SKIP_1) | instid1(VALU_DEP_4)
	v_cndmask_b32_e64 v18, 0x7f800000, v18, s4
	v_cmp_nlt_f32_e64 s4, 0x42b17218, v19
	v_cvt_i32_f32_e32 v19, v35
	s_delay_alu instid0(VALU_DEP_4) | instskip(SKIP_3) | instid1(VALU_DEP_4)
	v_fma_f32 v16, 0x3fb8aa3b, v20, -v26
	v_rndne_f32_e32 v30, v26
	v_cndmask_b32_e64 v17, 0, v17, s3
	v_cmp_nlt_f32_e64 s3, 0x42b17218, v20
	v_fmac_f32_e32 v16, 0x32a5705f, v20
	s_delay_alu instid0(VALU_DEP_4) | instskip(SKIP_1) | instid1(VALU_DEP_2)
	v_sub_f32_e32 v26, v26, v30
	v_cvt_i32_f32_e32 v30, v30
	v_dual_add_f32 v16, v26, v16 :: v_dual_add_f32 v26, v27, v31
	v_fma_f32 v34, 0x3fb8aa3b, v28, -v33
	v_sub_f32_e32 v27, v33, v35
	v_cvt_i32_f32_e32 v31, v32
	s_delay_alu instid0(VALU_DEP_4) | instskip(SKIP_2) | instid1(VALU_DEP_1)
	v_exp_f32_e32 v16, v16
	v_exp_f32_e32 v26, v26
	v_fmac_f32_e32 v34, 0x32a5705f, v28
	v_add_f32_e32 v27, v27, v34
	s_delay_alu instid0(TRANS32_DEP_1) | instskip(NEXT) | instid1(TRANS32_DEP_2)
	v_ldexp_f32 v20, v26, v31
	v_ldexp_f32 v16, v16, v30
	s_delay_alu instid0(VALU_DEP_3) | instskip(SKIP_1) | instid1(VALU_DEP_3)
	v_exp_f32_e32 v26, v27
	v_nop
	v_cndmask_b32_e64 v27, 0, v20, s2
	s_delay_alu instid0(VALU_DEP_3)
	v_cndmask_b32_e32 v16, 0, v16, vcc_lo
	v_cmp_ngt_f32_e32 vcc_lo, 0xc2ce8ed0, v28
	v_cndmask_b32_e64 v20, 0x7f800000, v21, s5
	v_cmp_nlt_f32_e64 s2, 0x42b17218, v28
	v_cndmask_b32_e64 v21, 0x7f800000, v27, s4
	v_ldexp_f32 v26, v26, v19
	v_cndmask_b32_e64 v19, 0x7f800000, v16, s3
	v_cndmask_b32_e64 v16, 0x7f800000, v17, s6
	s_or_b32 s4, s10, 32
	v_cvt_pk_f16_f32 v27, v20, v21
	v_cndmask_b32_e32 v17, 0, v26, vcc_lo
	v_cvt_pk_f16_f32 v26, v18, v19
	v_cvt_f16_f32_e32 v28, v16
	s_ashr_i32 s5, s4, 31
	ds_store_2addr_b32 v29, v26, v27 offset1:32
	s_wait_loadcnt 0x3
	ds_store_b128 v89, v[0:3]
	s_wait_loadcnt 0x2
	ds_store_b128 v92, v[4:7]
	;; [unrolled: 2-line block ×4, first 2 shown]
	v_cndmask_b32_e64 v17, 0x7f800000, v17, s2
	s_wait_dscnt 0x0
	s_barrier_signal -1
	s_barrier_wait -1
	ds_load_b128 v[4:7], v91
	ds_load_b128 v[8:11], v91 offset:16
	v_and_b32_e32 v0, 0xffff, v28
	v_cvt_f16_f32_e32 v2, v17
	s_mul_u64 s[2:3], s[4:5], s[14:15]
	s_delay_alu instid0(SALU_CYCLE_1) | instskip(NEXT) | instid1(VALU_DEP_2)
	s_lshl_b64 s[2:3], s[2:3], 2
	v_mul_u32_u24_e32 v101, 0x10001, v0
	v_pk_add_f32 v[0:1], v[18:19], v[20:21]
	v_and_b32_e32 v2, 0xffff, v2
	s_add_nc_u64 s[2:3], s[8:9], s[2:3]
	s_delay_alu instid0(VALU_DEP_3) | instskip(NEXT) | instid1(VALU_DEP_3)
	v_pk_mul_f16 v109, v25, v101
	v_pk_fma_f32 v[56:57], v[56:57], v[16:17], v[0:1]
	s_delay_alu instid0(VALU_DEP_3)
	v_mul_u32_u24_e32 v41, 0x10001, v2
	ds_load_2addr_b64 v[0:3], v80 offset1:32
	ds_load_b128 v[12:15], v91 offset:32
	ds_load_b128 v[36:39], v91 offset:48
	;; [unrolled: 1-line block ×4, first 2 shown]
	s_wait_dscnt 0x6
	v_and_b32_e32 v45, 0xffff, v4
	s_wait_dscnt 0x5
	v_dual_lshrrev_b32 v4, 16, v4 :: v_dual_lshrrev_b32 v26, 16, v10
	v_and_b32_e32 v43, 0xffff, v5
	v_lshrrev_b32_e32 v42, 16, v5
	v_mul_u32_u24_e32 v114, 0x10001, v45
	v_and_b32_e32 v35, 0xffff, v6
	v_dual_lshrrev_b32 v33, 16, v6 :: v_dual_lshrrev_b32 v32, 16, v7
	v_and_b32_e32 v34, 0xffff, v7
	v_mul_u32_u24_e32 v43, 0x10001, v43
	s_wait_dscnt 0x4
	v_pk_mul_f16 v5, v0, v114
	v_pk_fma_f16 v109, v1, v114, v109
	v_dual_lshrrev_b32 v31, 16, v8 :: v_dual_lshrrev_b32 v25, 16, v11
	s_wait_dscnt 0x0
	v_lshrrev_b32_e32 v50, 16, v110
	v_and_b32_e32 v102, 0xffff, v110
	v_mul_u32_u24_e32 v110, 0x10001, v4
	v_dual_lshrrev_b32 v105, 16, v48 :: v_dual_lshrrev_b32 v103, 16, v49
	v_and_b32_e32 v104, 0xffff, v49
	v_lshrrev_b32_e32 v49, 16, v111
	v_and_b32_e32 v51, 0xffff, v111
	v_pk_fma_f16 v24, v24, v101, v5
	ds_load_2addr_b64 v[4:7], v80 offset0:64 offset1:96
	v_pk_mul_f16 v0, v0, v110
	v_pk_mul_f16 v111, v23, v41
	v_and_b32_e32 v40, 0xffff, v8
	v_and_b32_e32 v108, 0xffff, v9
	v_lshrrev_b32_e32 v30, 16, v9
	v_pk_fma_f16 v0, v22, v41, v0
	v_mul_u32_u24_e32 v41, 0x10001, v42
	v_pk_fma_f16 v1, v1, v110, v111
	v_and_b32_e32 v29, 0xffff, v10
	v_dual_lshrrev_b32 v17, 16, v12 :: v_dual_lshrrev_b32 v16, 16, v13
	v_and_b32_e32 v19, 0xffff, v12
	v_and_b32_e32 v18, 0xffff, v13
	v_dual_lshrrev_b32 v21, 16, v14 :: v_dual_lshrrev_b32 v20, 16, v15
	v_and_b32_e32 v28, 0xffff, v14
	v_dual_lshrrev_b32 v13, 16, v36 :: v_dual_lshrrev_b32 v12, 16, v37
	;; [unrolled: 2-line block ×3, first 2 shown]
	v_and_b32_e32 v10, 0xffff, v39
	v_lshrrev_b32_e32 v37, 16, v46
	v_and_b32_e32 v39, 0xffff, v46
	v_and_b32_e32 v106, 0xffff, v48
	v_dual_lshrrev_b32 v46, 16, v112 :: v_dual_lshrrev_b32 v45, 16, v113
	v_and_b32_e32 v48, 0xffff, v112
	v_pk_fma_f16 v109, v3, v43, v109
	v_pk_fma_f16 v24, v2, v43, v24
	;; [unrolled: 1-line block ×4, first 2 shown]
	ds_load_2addr_b64 v[0:3], v80 offset0:128 offset1:160
	v_mul_u32_u24_e32 v35, 0x10001, v35
	v_mul_u32_u24_e32 v33, 0x10001, v33
	v_add_nc_u64_e32 v[22:23], s[2:3], v[68:69]
	v_mul_u32_u24_e32 v34, 0x10001, v34
	v_mul_u32_u24_e32 v114, 0x10001, v32
	s_wait_dscnt 0x1
	v_pk_fma_f16 v109, v5, v35, v109
	v_pk_fma_f16 v24, v4, v35, v24
	;; [unrolled: 1-line block ×4, first 2 shown]
	v_add_nc_u64_e32 v[42:43], s[2:3], v[70:71]
	v_pk_fma_f16 v109, v7, v34, v109
	v_pk_fma_f16 v24, v6, v34, v24
	v_add_nc_u64_e32 v[34:35], v[22:23], v[60:61]
	v_pk_fma_f16 v22, v7, v114, v5
	v_pk_fma_f16 v23, v6, v114, v4
	ds_load_2addr_b64 v[4:7], v80 offset0:192 offset1:224
	v_mul_u32_u24_e32 v114, 0x10001, v40
	v_add_nc_u64_e32 v[110:111], s[2:3], v[72:73]
	v_mul_u32_u24_e32 v31, 0x10001, v31
	v_mul_u32_u24_e32 v108, 0x10001, v108
	v_add_nc_u64_e32 v[32:33], v[42:43], v[60:61]
	s_wait_dscnt 0x1
	v_pk_fma_f16 v109, v1, v114, v109
	v_pk_fma_f16 v24, v0, v114, v24
	v_mul_u32_u24_e32 v30, 0x10001, v30
	v_add_nc_u64_e32 v[42:43], v[110:111], v[60:61]
	v_pk_fma_f16 v1, v1, v31, v22
	v_pk_fma_f16 v0, v0, v31, v23
	;; [unrolled: 1-line block ×4, first 2 shown]
	ds_load_2addr_b64 v[108:111], v44 offset1:32
	v_and_b32_e32 v27, 0xffff, v11
	v_mul_u32_u24_e32 v24, 0x10001, v29
	v_pk_fma_f16 v29, v3, v30, v1
	v_pk_fma_f16 v30, v2, v30, v0
	v_mul_u32_u24_e32 v26, 0x10001, v26
	ds_load_2addr_b64 v[0:3], v44 offset0:64 offset1:96
	v_mul_u32_u24_e32 v27, 0x10001, v27
	s_wait_dscnt 0x2
	v_pk_fma_f16 v22, v5, v24, v22
	v_pk_fma_f16 v23, v4, v24, v23
	v_mul_u32_u24_e32 v24, 0x10001, v25
	v_pk_fma_f16 v5, v5, v26, v29
	v_pk_fma_f16 v4, v4, v26, v30
	v_and_b32_e32 v107, 0xffff, v15
	v_and_b32_e32 v15, 0xffff, v36
	;; [unrolled: 1-line block ×3, first 2 shown]
	v_lshrrev_b32_e32 v36, 16, v47
	v_and_b32_e32 v38, 0xffff, v47
	v_and_b32_e32 v47, 0xffff, v113
	v_add_nc_u64_e32 v[112:113], s[2:3], v[74:75]
	v_pk_fma_f16 v22, v7, v27, v22
	v_pk_fma_f16 v23, v6, v27, v23
	v_mul_u32_u24_e32 v19, 0x10001, v19
	v_pk_fma_f16 v5, v7, v24, v5
	v_pk_fma_f16 v4, v6, v24, v4
	v_mul_u32_u24_e32 v6, 0x10001, v17
	v_add_nc_u64_e32 v[40:41], v[112:113], v[60:61]
	ds_load_2addr_b64 v[112:115], v44 offset0:128 offset1:160
	v_mul_u32_u24_e32 v7, 0x10001, v18
	s_wait_dscnt 0x2
	v_pk_fma_f16 v17, v109, v19, v22
	v_pk_fma_f16 v18, v108, v19, v23
	v_mul_u32_u24_e32 v22, 0x10001, v16
	v_pk_fma_f16 v5, v109, v6, v5
	v_pk_fma_f16 v4, v108, v6, v4
	;; [unrolled: 1-line block ×4, first 2 shown]
	v_mul_u32_u24_e32 v23, 0x10001, v28
	v_pk_fma_f16 v5, v111, v22, v5
	v_pk_fma_f16 v4, v110, v22, v4
	v_mul_u32_u24_e32 v21, 0x10001, v21
	ds_load_2addr_b64 v[24:27], v44 offset0:192 offset1:224
	v_mul_u32_u24_e32 v22, 0x10001, v107
	s_wait_dscnt 0x2
	v_pk_fma_f16 v6, v1, v23, v6
	v_pk_fma_f16 v7, v0, v23, v7
	v_mul_u32_u24_e32 v107, 0x10001, v20
	v_pk_fma_f16 v1, v1, v21, v5
	v_pk_fma_f16 v0, v0, v21, v4
	;; [unrolled: 1-line block ×4, first 2 shown]
	v_mul_u32_u24_e32 v6, 0x10001, v15
	v_pk_fma_f16 v7, v3, v107, v1
	v_pk_fma_f16 v15, v2, v107, v0
	v_mul_u32_u24_e32 v13, 0x10001, v13
	ds_load_2addr_b64 v[16:19], v100 offset1:32
	v_mul_u32_u24_e32 v14, 0x10001, v14
	s_wait_dscnt 0x2
	v_pk_fma_f16 v4, v113, v6, v4
	v_pk_fma_f16 v5, v112, v6, v5
	v_mul_u32_u24_e32 v12, 0x10001, v12
	v_pk_fma_f16 v107, v113, v13, v7
	v_pk_fma_f16 v13, v112, v13, v15
	;; [unrolled: 1-line block ×4, first 2 shown]
	v_mul_u32_u24_e32 v11, 0x10001, v11
	v_pk_fma_f16 v107, v115, v12, v107
	v_pk_fma_f16 v110, v114, v12, v13
	v_mul_u32_u24_e32 v9, 0x10001, v9
	ds_load_2addr_b64 v[28:31], v100 offset0:64 offset1:96
	v_mul_u32_u24_e32 v10, 0x10001, v10
	s_wait_dscnt 0x2
	v_pk_fma_f16 v108, v25, v11, v108
	v_pk_fma_f16 v11, v24, v11, v109
	v_mul_u32_u24_e32 v109, 0x10001, v8
	v_pk_fma_f16 v25, v25, v9, v107
	v_pk_fma_f16 v24, v24, v9, v110
	;; [unrolled: 1-line block ×4, first 2 shown]
	v_mul_u32_u24_e32 v39, 0x10001, v39
	v_pk_fma_f16 v25, v27, v109, v25
	v_pk_fma_f16 v24, v26, v109, v24
	v_mul_u32_u24_e32 v26, 0x10001, v37
	ds_load_2addr_b64 v[20:23], v100 offset0:128 offset1:160
	v_mul_u32_u24_e32 v27, 0x10001, v38
	s_wait_dscnt 0x2
	v_pk_fma_f16 v37, v17, v39, v107
	v_pk_fma_f16 v38, v16, v39, v112
	v_mul_u32_u24_e32 v107, 0x10001, v36
	v_pk_fma_f16 v17, v17, v26, v25
	v_pk_fma_f16 v16, v16, v26, v24
	v_add_nc_u32_e32 v101, 0x1800, v80
	v_pk_fma_f16 v24, v19, v27, v37
	v_pk_fma_f16 v25, v18, v27, v38
	v_pk_fma_f16 v112, v19, v107, v17
	v_pk_fma_f16 v107, v18, v107, v16
	v_mul_u32_u24_e32 v26, 0x10001, v106
	v_mul_u32_u24_e32 v105, 0x10001, v105
	ds_load_2addr_b64 v[0:3], v100 offset0:192 offset1:224
	ds_load_2addr_b64 v[4:7], v101 offset1:32
	ds_load_2addr_b64 v[12:15], v101 offset0:64 offset1:96
	ds_load_2addr_b64 v[8:11], v101 offset0:128 offset1:160
	ds_load_b128 v[108:111], v91 offset:96
	ds_load_b128 v[36:39], v91 offset:112
	ds_load_2addr_b64 v[16:19], v101 offset0:192 offset1:224
	s_wait_dscnt 0x0
	s_barrier_signal -1
	s_barrier_wait -1
	v_pk_fma_f16 v106, v29, v26, v24
	v_pk_fma_f16 v113, v28, v26, v25
	global_load_b128 v[24:27], v[34:35], off
	s_wait_xcnt 0x0
	v_mul_u32_u24_e32 v34, 0x10001, v104
	v_mul_u32_u24_e32 v35, 0x10001, v103
	v_pk_fma_f16 v29, v29, v105, v112
	v_pk_fma_f16 v28, v28, v105, v107
	v_mul_u32_u24_e32 v50, 0x10001, v50
	v_pk_fma_f16 v104, v31, v34, v106
	v_pk_fma_f16 v34, v30, v34, v113
	;; [unrolled: 1-line block ×4, first 2 shown]
	v_mul_u32_u24_e32 v35, 0x10001, v102
	global_load_b128 v[28:31], v[32:33], off
	v_lshrrev_b32_e32 v103, 16, v108
	v_and_b32_e32 v105, 0xffff, v108
	v_mul_u32_u24_e32 v45, 0x10001, v45
	v_pk_fma_f16 v104, v21, v35, v104
	v_pk_fma_f16 v113, v20, v35, v34
	global_load_b128 v[32:35], v[42:43], off
	s_wait_xcnt 0x0
	v_mul_u32_u24_e32 v42, 0x10001, v51
	v_mul_u32_u24_e32 v43, 0x10001, v49
	v_pk_fma_f16 v21, v21, v50, v106
	v_pk_fma_f16 v20, v20, v50, v107
	v_lshrrev_b32_e32 v108, 16, v109
	v_pk_fma_f16 v50, v23, v42, v104
	v_pk_fma_f16 v42, v22, v42, v113
	;; [unrolled: 1-line block ×4, first 2 shown]
	global_load_b128 v[20:23], v[40:41], off
	s_wait_xcnt 0x0
	v_mul_u32_u24_e32 v40, 0x10001, v48
	v_mul_u32_u24_e32 v41, 0x10001, v46
	;; [unrolled: 1-line block ×3, first 2 shown]
	v_and_b32_e32 v109, 0xffff, v109
	v_mul_u32_u24_e32 v47, 0x10001, v105
	v_pk_fma_f16 v50, v1, v40, v50
	v_pk_fma_f16 v1, v1, v41, v51
	v_pk_fma_f16 v40, v0, v40, v42
	v_pk_fma_f16 v0, v0, v41, v43
	v_mul_u32_u24_e32 v48, 0x10001, v103
	v_pk_fma_f16 v41, v3, v46, v50
	v_pk_fma_f16 v1, v3, v45, v1
	v_pk_fma_f16 v3, v2, v46, v40
	v_pk_fma_f16 v0, v2, v45, v0
	v_dual_lshrrev_b32 v112, 16, v110 :: v_dual_lshrrev_b32 v102, 16, v111
	v_and_b32_e32 v110, 0xffff, v110
	v_mul_u32_u24_e32 v103, 0x10001, v109
	v_mul_u32_u24_e32 v105, 0x10001, v108
	v_pk_fma_f16 v2, v5, v47, v41
	v_pk_fma_f16 v1, v5, v48, v1
	v_pk_fma_f16 v3, v4, v47, v3
	v_pk_fma_f16 v0, v4, v48, v0
	v_and_b32_e32 v111, 0xffff, v111
	v_mul_u32_u24_e32 v108, 0x10001, v110
	v_mul_u32_u24_e32 v109, 0x10001, v112
	v_pk_fma_f16 v2, v7, v103, v2
	v_pk_fma_f16 v1, v7, v105, v1
	v_pk_fma_f16 v3, v6, v103, v3
	v_pk_fma_f16 v0, v6, v105, v0
	v_dual_lshrrev_b32 v49, 16, v36 :: v_dual_lshrrev_b32 v104, 16, v37
	v_and_b32_e32 v36, 0xffff, v36
	v_mul_u32_u24_e32 v110, 0x10001, v111
	v_mul_u32_u24_e32 v102, 0x10001, v102
	v_pk_fma_f16 v2, v13, v108, v2
	v_pk_fma_f16 v1, v13, v109, v1
	v_pk_fma_f16 v3, v12, v108, v3
	v_pk_fma_f16 v0, v12, v109, v0
	v_and_b32_e32 v37, 0xffff, v37
	v_mul_u32_u24_e32 v36, 0x10001, v36
	;; [unrolled: 15-line block ×3, first 2 shown]
	v_mul_u32_u24_e32 v7, 0x10001, v106
	v_pk_fma_f16 v2, v11, v5, v2
	v_pk_fma_f16 v1, v11, v4, v1
	;; [unrolled: 1-line block ×4, first 2 shown]
	v_mul_u32_u24_e32 v9, 0x10001, v39
	v_pk_fma_f16 v2, v17, v6, v2
	v_mul_u32_u24_e32 v4, 0x10001, v107
	v_pk_fma_f16 v1, v17, v7, v1
	v_pk_fma_f16 v3, v16, v6, v3
	;; [unrolled: 1-line block ×4, first 2 shown]
	s_wait_loadcnt 0x3
	ds_store_b128 v89, v[24:27]
	s_wait_loadcnt 0x2
	ds_store_b128 v92, v[28:31]
	;; [unrolled: 2-line block ×4, first 2 shown]
	s_wait_dscnt 0x0
	s_barrier_signal -1
	s_barrier_wait -1
	ds_load_b128 v[24:27], v91 offset:128
	ds_load_b128 v[36:39], v91 offset:144
	v_pk_fma_f16 v48, v19, v4, v1
	v_pk_fma_f16 v49, v18, v9, v3
	;; [unrolled: 1-line block ×3, first 2 shown]
	ds_load_2addr_b64 v[28:31], v80 offset1:32
	ds_load_b128 v[32:35], v91 offset:160
	ds_load_b128 v[0:3], v91 offset:176
	ds_load_2addr_b64 v[20:23], v80 offset0:64 offset1:96
	ds_load_2addr_b64 v[12:15], v80 offset0:128 offset1:160
	;; [unrolled: 1-line block ×3, first 2 shown]
	ds_load_2addr_b64 v[8:11], v44 offset1:32
	ds_load_2addr_b64 v[4:7], v44 offset0:64 offset1:96
	s_wait_dscnt 0x6
	v_dual_lshrrev_b32 v108, 16, v32 :: v_dual_lshrrev_b32 v106, 16, v33
	v_dual_lshrrev_b32 v51, 16, v24 :: v_dual_lshrrev_b32 v113, 16, v25
	v_and_b32_e32 v24, 0xffff, v24
	v_and_b32_e32 v114, 0xffff, v25
	;; [unrolled: 1-line block ×4, first 2 shown]
	v_mul_u32_u24_e32 v33, 0x10001, v51
	v_mul_u32_u24_e32 v32, 0x10001, v24
	v_dual_lshrrev_b32 v115, 16, v26 :: v_dual_lshrrev_b32 v46, 16, v27
	v_and_b32_e32 v116, 0xffff, v26
	v_dual_lshrrev_b32 v41, 16, v36 :: v_dual_lshrrev_b32 v42, 16, v37
	v_and_b32_e32 v45, 0xffff, v36
	;; [unrolled: 2-line block ×3, first 2 shown]
	v_and_b32_e32 v104, 0xffff, v35
	v_mul_u32_u24_e32 v34, 0x10001, v114
	v_pk_fma_f16 v35, v28, v32, v49
	v_pk_fma_f16 v32, v29, v32, v47
	v_mul_u32_u24_e32 v36, 0x10001, v113
	v_pk_fma_f16 v28, v28, v33, v50
	v_pk_fma_f16 v29, v29, v33, v48
	v_and_b32_e32 v117, 0xffff, v27
	v_pk_fma_f16 v47, v30, v34, v35
	v_pk_fma_f16 v48, v31, v34, v32
	v_mul_u32_u24_e32 v49, 0x10001, v116
	v_pk_fma_f16 v28, v30, v36, v28
	v_pk_fma_f16 v29, v31, v36, v29
	v_mul_u32_u24_e32 v30, 0x10001, v115
	v_mul_u32_u24_e32 v31, 0x10001, v117
	s_wait_dscnt 0x4
	v_pk_fma_f16 v47, v20, v49, v47
	v_pk_fma_f16 v48, v21, v49, v48
	v_mul_u32_u24_e32 v46, 0x10001, v46
	v_pk_fma_f16 v20, v20, v30, v28
	v_pk_fma_f16 v21, v21, v30, v29
	v_and_b32_e32 v43, 0xffff, v37
	v_pk_fma_f16 v47, v22, v31, v47
	v_pk_fma_f16 v113, v23, v31, v48
	v_mul_u32_u24_e32 v45, 0x10001, v45
	v_pk_fma_f16 v20, v22, v46, v20
	v_pk_fma_f16 v21, v23, v46, v21
	v_mul_u32_u24_e32 v22, 0x10001, v41
	v_dual_lshrrev_b32 v110, 16, v38 :: v_dual_lshrrev_b32 v111, 16, v39
	v_and_b32_e32 v40, 0xffff, v38
	v_mul_u32_u24_e32 v23, 0x10001, v43
	v_mul_u32_u24_e32 v41, 0x10001, v42
	s_wait_dscnt 0x3
	v_pk_fma_f16 v42, v12, v45, v47
	v_pk_fma_f16 v43, v13, v45, v113
	;; [unrolled: 1-line block ×4, first 2 shown]
	v_and_b32_e32 v112, 0xffff, v39
	v_mul_u32_u24_e32 v20, 0x10001, v40
	v_pk_fma_f16 v21, v14, v23, v42
	v_pk_fma_f16 v22, v15, v23, v43
	;; [unrolled: 1-line block ×4, first 2 shown]
	v_mul_u32_u24_e32 v14, 0x10001, v110
	v_mul_u32_u24_e32 v15, 0x10001, v112
	;; [unrolled: 1-line block ×3, first 2 shown]
	s_wait_dscnt 0x2
	v_pk_fma_f16 v111, v16, v20, v21
	v_pk_fma_f16 v112, v17, v20, v22
	;; [unrolled: 1-line block ×4, first 2 shown]
	ds_load_b128 v[24:27], v91 offset:192
	ds_load_b128 v[32:35], v91 offset:208
	v_mul_u32_u24_e32 v14, 0x10001, v109
	v_pk_fma_f16 v109, v18, v15, v111
	v_pk_fma_f16 v15, v19, v15, v112
	;; [unrolled: 1-line block ×4, first 2 shown]
	v_mul_u32_u24_e32 v108, 0x10001, v108
	ds_load_2addr_b64 v[48:51], v44 offset0:128 offset1:160
	ds_load_2addr_b64 v[40:43], v100 offset1:32
	ds_load_2addr_b64 v[20:23], v100 offset0:64 offset1:96
	ds_load_2addr_b64 v[16:19], v100 offset0:128 offset1:160
	s_wait_dscnt 0x7
	v_pk_fma_f16 v109, v8, v14, v109
	v_pk_fma_f16 v112, v9, v14, v15
	ds_load_2addr_b64 v[12:15], v100 offset0:192 offset1:224
	v_mul_u32_u24_e32 v100, 0x10001, v107
	v_mul_u32_u24_e32 v106, 0x10001, v106
	v_pk_fma_f16 v8, v8, v108, v111
	v_pk_fma_f16 v9, v9, v108, v110
	v_lshrrev_b32_e32 v107, 16, v0
	v_pk_fma_f16 v108, v10, v100, v109
	v_pk_fma_f16 v100, v11, v100, v112
	v_and_b32_e32 v109, 0xffff, v0
	v_pk_fma_f16 v8, v10, v106, v8
	v_pk_fma_f16 v9, v11, v106, v9
	v_mul_u32_u24_e32 v0, 0x10001, v105
	v_mul_u32_u24_e32 v103, 0x10001, v103
	ds_load_2addr_b64 v[44:47], v44 offset0:192 offset1:224
	v_mul_u32_u24_e32 v104, 0x10001, v104
	v_mul_u32_u24_e32 v102, 0x10001, v102
	s_wait_dscnt 0x8
	v_pk_fma_f16 v108, v4, v0, v108
	v_pk_fma_f16 v100, v5, v0, v100
	;; [unrolled: 1-line block ×4, first 2 shown]
	v_lshrrev_b32_e32 v10, 16, v1
	v_and_b32_e32 v11, 0xffff, v1
	s_wait_dscnt 0x7
	v_lshrrev_b32_e32 v103, 16, v24
	v_pk_fma_f16 v8, v6, v104, v108
	v_pk_fma_f16 v9, v7, v104, v100
	v_and_b32_e32 v100, 0xffff, v24
	v_pk_fma_f16 v24, v6, v102, v4
	v_pk_fma_f16 v102, v7, v102, v5
	v_lshrrev_b32_e32 v104, 16, v25
	v_and_b32_e32 v108, 0xffff, v25
	v_mul_u32_u24_e32 v4, 0x10001, v109
	v_mul_u32_u24_e32 v25, 0x10001, v107
	v_dual_lshrrev_b32 v106, 16, v2 :: v_dual_lshrrev_b32 v110, 16, v3
	v_and_b32_e32 v105, 0xffff, v2
	s_wait_dscnt 0x5
	v_pk_fma_f16 v8, v48, v4, v8
	v_pk_fma_f16 v9, v49, v4, v9
	v_mul_u32_u24_e32 v11, 0x10001, v11
	v_mul_u32_u24_e32 v10, 0x10001, v10
	v_pk_fma_f16 v24, v48, v25, v24
	v_pk_fma_f16 v25, v49, v25, v102
	v_and_b32_e32 v111, 0xffff, v3
	v_dual_lshrrev_b32 v112, 16, v26 :: v_dual_lshrrev_b32 v113, 16, v27
	v_and_b32_e32 v109, 0xffff, v26
	v_pk_fma_f16 v8, v50, v11, v8
	v_pk_fma_f16 v9, v51, v11, v9
	;; [unrolled: 1-line block ×4, first 2 shown]
	v_mul_u32_u24_e32 v10, 0x10001, v105
	v_mul_u32_u24_e32 v26, 0x10001, v106
	v_and_b32_e32 v114, 0xffff, v27
	v_mul_u32_u24_e32 v105, 0x10001, v111
	v_mul_u32_u24_e32 v106, 0x10001, v110
	s_wait_dscnt 0x0
	v_pk_fma_f16 v27, v44, v10, v8
	v_pk_fma_f16 v102, v45, v10, v9
	;; [unrolled: 1-line block ×4, first 2 shown]
	ds_load_2addr_b64 v[0:3], v101 offset1:32
	ds_load_2addr_b64 v[4:7], v101 offset0:64 offset1:96
	ds_load_2addr_b64 v[8:11], v101 offset0:128 offset1:160
	v_pk_fma_f16 v45, v46, v105, v27
	v_pk_fma_f16 v102, v47, v105, v102
	;; [unrolled: 1-line block ×4, first 2 shown]
	ds_load_2addr_b64 v[24:27], v101 offset0:192 offset1:224
	v_mul_u32_u24_e32 v100, 0x10001, v100
	v_mul_u32_u24_e32 v101, 0x10001, v103
	v_mul_u32_u24_e32 v103, 0x10001, v108
	v_mul_u32_u24_e32 v104, 0x10001, v104
	ds_load_b128 v[36:39], v91 offset:224
	ds_load_b128 v[28:31], v91 offset:240
	v_pk_fma_f16 v45, v40, v100, v45
	v_pk_fma_f16 v100, v41, v100, v102
	;; [unrolled: 1-line block ×4, first 2 shown]
	v_mul_u32_u24_e32 v101, 0x10001, v112
	v_pk_fma_f16 v45, v42, v103, v45
	v_pk_fma_f16 v46, v43, v103, v100
	;; [unrolled: 1-line block ×4, first 2 shown]
	v_mul_u32_u24_e32 v100, 0x10001, v109
	v_dual_lshrrev_b32 v48, 16, v32 :: v_dual_lshrrev_b32 v49, 16, v33
	v_and_b32_e32 v32, 0xffff, v32
	v_mul_u32_u24_e32 v103, 0x10001, v114
	v_mul_u32_u24_e32 v104, 0x10001, v113
	v_pk_fma_f16 v45, v20, v100, v45
	v_pk_fma_f16 v20, v20, v101, v40
	;; [unrolled: 1-line block ×4, first 2 shown]
	v_and_b32_e32 v33, 0xffff, v33
	v_mul_u32_u24_e32 v32, 0x10001, v32
	v_mul_u32_u24_e32 v48, 0x10001, v48
	v_pk_fma_f16 v41, v22, v103, v45
	v_pk_fma_f16 v20, v22, v104, v20
	;; [unrolled: 1-line block ×4, first 2 shown]
	v_dual_lshrrev_b32 v50, 16, v34 :: v_dual_lshrrev_b32 v51, 16, v35
	v_and_b32_e32 v34, 0xffff, v34
	v_mul_u32_u24_e32 v33, 0x10001, v33
	v_mul_u32_u24_e32 v49, 0x10001, v49
	v_pk_fma_f16 v40, v16, v32, v41
	v_pk_fma_f16 v16, v16, v48, v20
	v_pk_fma_f16 v20, v17, v32, v22
	v_pk_fma_f16 v17, v17, v48, v21
	v_and_b32_e32 v35, 0xffff, v35
	v_mul_u32_u24_e32 v34, 0x10001, v34
	v_mul_u32_u24_e32 v50, 0x10001, v50
	v_pk_fma_f16 v22, v18, v33, v40
	v_pk_fma_f16 v16, v18, v49, v16
	;; [unrolled: 1-line block ×4, first 2 shown]
	s_wait_dscnt 0x1
	v_dual_lshrrev_b32 v44, 16, v36 :: v_dual_lshrrev_b32 v105, 16, v37
	v_and_b32_e32 v36, 0xffff, v36
	v_mul_u32_u24_e32 v35, 0x10001, v35
	v_mul_u32_u24_e32 v51, 0x10001, v51
	v_pk_fma_f16 v20, v12, v34, v22
	v_pk_fma_f16 v12, v12, v50, v16
	;; [unrolled: 1-line block ×4, first 2 shown]
	v_and_b32_e32 v37, 0xffff, v37
	v_mul_u32_u24_e32 v36, 0x10001, v36
	v_mul_u32_u24_e32 v44, 0x10001, v44
	v_pk_fma_f16 v18, v14, v35, v20
	v_pk_fma_f16 v12, v14, v51, v12
	;; [unrolled: 1-line block ×4, first 2 shown]
	v_dual_lshrrev_b32 v106, 16, v38 :: v_dual_lshrrev_b32 v107, 16, v39
	v_and_b32_e32 v38, 0xffff, v38
	v_mul_u32_u24_e32 v37, 0x10001, v37
	v_mul_u32_u24_e32 v105, 0x10001, v105
	v_pk_fma_f16 v16, v0, v36, v18
	v_pk_fma_f16 v0, v0, v44, v12
	;; [unrolled: 1-line block ×4, first 2 shown]
	v_and_b32_e32 v39, 0xffff, v39
	v_mul_u32_u24_e32 v38, 0x10001, v38
	v_mul_u32_u24_e32 v23, 0x10001, v106
	v_pk_fma_f16 v14, v2, v37, v16
	v_pk_fma_f16 v0, v2, v105, v0
	;; [unrolled: 1-line block ×4, first 2 shown]
	s_wait_dscnt 0x0
	v_dual_lshrrev_b32 v102, 16, v28 :: v_dual_lshrrev_b32 v47, 16, v29
	v_and_b32_e32 v28, 0xffff, v28
	v_mul_u32_u24_e32 v21, 0x10001, v39
	v_mul_u32_u24_e32 v19, 0x10001, v107
	v_pk_fma_f16 v12, v4, v38, v14
	v_pk_fma_f16 v0, v4, v23, v0
	;; [unrolled: 1-line block ×4, first 2 shown]
	s_barrier_signal -1
	s_barrier_wait -1
	s_load_b32 s2, s[26:27], 0x4
	v_and_b32_e32 v29, 0xffff, v29
	v_mul_u32_u24_e32 v17, 0x10001, v28
	v_mul_u32_u24_e32 v15, 0x10001, v102
	v_pk_fma_f16 v5, v6, v21, v12
	v_pk_fma_f16 v0, v6, v19, v0
	;; [unrolled: 1-line block ×4, first 2 shown]
	v_dual_lshrrev_b32 v42, 16, v30 :: v_dual_lshrrev_b32 v43, 16, v31
	v_and_b32_e32 v30, 0xffff, v30
	v_mul_u32_u24_e32 v13, 0x10001, v29
	v_mul_u32_u24_e32 v3, 0x10001, v47
	v_pk_fma_f16 v5, v8, v17, v5
	v_pk_fma_f16 v0, v8, v15, v0
	;; [unrolled: 1-line block ×4, first 2 shown]
	v_and_b32_e32 v31, 0xffff, v31
	v_mul_u32_u24_e32 v4, 0x10001, v30
	v_mul_u32_u24_e32 v6, 0x10001, v42
	v_pk_fma_f16 v5, v10, v13, v5
	v_pk_fma_f16 v0, v10, v3, v0
	;; [unrolled: 1-line block ×4, first 2 shown]
	v_mul_u32_u24_e32 v7, 0x10001, v31
	v_mul_u32_u24_e32 v3, 0x10001, v43
	v_pk_fma_f16 v5, v24, v4, v5
	v_pk_fma_f16 v0, v24, v6, v0
	;; [unrolled: 1-line block ×4, first 2 shown]
	s_wait_kmcnt 0x0
	s_lshl_b32 s2, s2, 6
	v_pk_fma_f16 v24, v26, v7, v5
	v_pk_fma_f16 v22, v26, v3, v0
	;; [unrolled: 1-line block ×4, first 2 shown]
	s_add_co_i32 s10, s2, s10
	s_delay_alu instid0(SALU_CYCLE_1)
	s_cmp_ge_i32 s10, s30
	s_cbranch_scc1 .LBB78_27
; %bb.26:                               ;   in Loop: Header=BB78_9 Depth=1
	v_dual_mov_b32 v17, v76 :: v_dual_mov_b32 v16, v77
	s_branch .LBB78_9
.LBB78_27:
	v_mov_b32_e32 v3, v81
.LBB78_28:
	v_cmp_lt_i32_e32 vcc_lo, v99, v82
	s_cmp_lg_u64 s[12:13], 0
	s_cselect_b32 s2, -1, 0
	s_cmp_eq_u32 s31, 0
	v_cndmask_b32_e32 v0, v3, v99, vcc_lo
	v_cmp_lt_i32_e32 vcc_lo, v95, v82
	s_cselect_b32 s3, -1, 0
	s_delay_alu instid0(SALU_CYCLE_1) | instskip(SKIP_2) | instid1(VALU_DEP_2)
	s_and_b32 s2, s3, s2
	v_cndmask_b32_e32 v2, v3, v95, vcc_lo
	v_cmp_lt_i32_e32 vcc_lo, v96, v82
	v_dual_lshlrev_b32 v2, 2, v2 :: v_dual_lshlrev_b32 v1, 2, v0
	ds_bpermute_b32 v0, v1, v56
	ds_bpermute_b32 v1, v1, v57
	s_wait_dscnt 0x0
	v_pk_add_f32 v[0:1], v[56:57], v[0:1]
	ds_bpermute_b32 v4, v2, v0
	ds_bpermute_b32 v5, v2, v1
	v_cndmask_b32_e32 v2, v3, v96, vcc_lo
	v_cmp_lt_i32_e32 vcc_lo, v97, v82
	s_delay_alu instid0(VALU_DEP_2)
	v_lshlrev_b32_e32 v2, 2, v2
	s_wait_dscnt 0x0
	v_pk_add_f32 v[0:1], v[0:1], v[4:5]
	ds_bpermute_b32 v4, v2, v0
	ds_bpermute_b32 v5, v2, v1
	v_cndmask_b32_e32 v2, v3, v97, vcc_lo
	v_cmp_lt_i32_e32 vcc_lo, v98, v82
	s_delay_alu instid0(VALU_DEP_2)
	v_lshlrev_b32_e32 v2, 2, v2
	s_wait_dscnt 0x0
	v_pk_add_f32 v[0:1], v[0:1], v[4:5]
	ds_bpermute_b32 v4, v2, v0
	ds_bpermute_b32 v5, v2, v1
	v_cndmask_b32_e32 v2, v3, v98, vcc_lo
	s_and_b32 vcc_lo, exec_lo, s2
	s_delay_alu instid0(VALU_DEP_1)
	v_lshlrev_b32_e32 v3, 2, v2
	s_wait_dscnt 0x0
	v_pk_add_f32 v[0:1], v[0:1], v[4:5]
	ds_bpermute_b32 v2, v3, v0
	ds_bpermute_b32 v3, v3, v1
	s_wait_dscnt 0x0
	v_pk_add_f32 v[0:1], v[0:1], v[2:3]
	v_add_nc_u32_e32 v2, s33, v52
	s_cbranch_vccz .LBB78_30
; %bb.29:
	s_delay_alu instid0(VALU_DEP_1) | instskip(NEXT) | instid1(VALU_DEP_1)
	v_dual_ashrrev_i32 v3, 31, v2 :: v_dual_max_num_f32 v7, v77, v77
	v_lshl_add_u64 v[4:5], v[2:3], 2, s[12:13]
	v_max_num_f32_e32 v3, v76, v76
	global_load_b64 v[4:5], v[4:5], off
	s_wait_loadcnt 0x0
	v_dual_max_num_f32 v6, v4, v4 :: v_dual_max_num_f32 v8, v5, v5
	s_delay_alu instid0(VALU_DEP_1) | instskip(NEXT) | instid1(VALU_DEP_1)
	v_max_num_f32_e32 v6, v3, v6
	v_dual_max_num_f32 v7, v7, v8 :: v_dual_sub_f32 v3, v76, v6
	s_delay_alu instid0(VALU_DEP_1) | instskip(SKIP_2) | instid1(VALU_DEP_3)
	v_dual_sub_f32 v8, v4, v6 :: v_dual_sub_f32 v9, v77, v7
	v_sub_f32_e32 v10, v5, v7
	v_mov_b64_e32 v[76:77], v[6:7]
	v_dual_mul_f32 v4, 0x3fb8aa3b, v3 :: v_dual_mul_f32 v5, 0x3fb8aa3b, v8
	s_delay_alu instid0(VALU_DEP_4) | instskip(SKIP_1) | instid1(VALU_DEP_3)
	v_mul_f32_e32 v11, 0x3fb8aa3b, v9
	v_cmp_ngt_f32_e32 vcc_lo, 0xc2ce8ed0, v3
	v_fma_f32 v13, 0x3fb8aa3b, v3, -v4
	v_rndne_f32_e32 v14, v4
	s_delay_alu instid0(VALU_DEP_4) | instskip(SKIP_2) | instid1(VALU_DEP_4)
	v_rndne_f32_e32 v18, v11
	v_fma_f32 v17, 0x3fb8aa3b, v9, -v11
	v_rndne_f32_e32 v16, v5
	v_dual_fmac_f32 v13, 0x32a5705f, v3 :: v_dual_sub_f32 v4, v4, v14
	s_delay_alu instid0(VALU_DEP_4) | instskip(SKIP_4) | instid1(VALU_DEP_4)
	v_sub_f32_e32 v11, v11, v18
	v_mul_f32_e32 v12, 0x3fb8aa3b, v10
	v_fma_f32 v15, 0x3fb8aa3b, v8, -v5
	v_cvt_i32_f32_e32 v14, v14
	v_dual_add_f32 v4, v4, v13 :: v_dual_sub_f32 v5, v5, v16
	v_fma_f32 v19, 0x3fb8aa3b, v10, -v12
	v_rndne_f32_e32 v20, v12
	v_fmac_f32_e32 v17, 0x32a5705f, v9
	s_delay_alu instid0(VALU_DEP_4) | instskip(SKIP_1) | instid1(VALU_DEP_3)
	v_exp_f32_e32 v4, v4
	v_cvt_i32_f32_e32 v13, v16
	v_sub_f32_e32 v12, v12, v20
	v_cvt_i32_f32_e32 v16, v20
	s_delay_alu instid0(TRANS32_DEP_1) | instskip(NEXT) | instid1(VALU_DEP_1)
	v_ldexp_f32 v4, v4, v14
	v_dual_fmac_f32 v19, 0x32a5705f, v10 :: v_dual_cndmask_b32 v4, 0, v4
	s_delay_alu instid0(VALU_DEP_1) | instskip(SKIP_2) | instid1(VALU_DEP_3)
	v_dual_fmac_f32 v15, 0x32a5705f, v8 :: v_dual_add_f32 v12, v12, v19
	v_add_f32_e32 v11, v11, v17
	v_cmp_ngt_f32_e32 vcc_lo, 0xc2ce8ed0, v9
	v_add_f32_e32 v5, v5, v15
	v_cvt_i32_f32_e32 v15, v18
	s_delay_alu instid0(VALU_DEP_4) | instskip(SKIP_1) | instid1(VALU_DEP_2)
	v_exp_f32_e32 v11, v11
	v_exp_f32_e32 v12, v12
	;; [unrolled: 1-line block ×3, first 2 shown]
	s_delay_alu instid0(TRANS32_DEP_3) | instskip(NEXT) | instid1(VALU_DEP_1)
	v_ldexp_f32 v11, v11, v15
	v_cndmask_b32_e32 v11, 0, v11, vcc_lo
	v_cmp_nlt_f32_e32 vcc_lo, 0x42b17218, v3
	s_delay_alu instid0(TRANS32_DEP_1)
	v_ldexp_f32 v3, v5, v13
	v_cndmask_b32_e32 v4, 0x7f800000, v4, vcc_lo
	v_cmp_nlt_f32_e32 vcc_lo, 0x42b17218, v9
	v_ldexp_f32 v9, v12, v16
	v_cndmask_b32_e32 v5, 0x7f800000, v11, vcc_lo
	v_cmp_ngt_f32_e32 vcc_lo, 0xc2ce8ed0, v8
	v_cvt_f16_f32_e32 v11, v4
	s_delay_alu instid0(VALU_DEP_3) | instskip(SKIP_2) | instid1(VALU_DEP_4)
	v_cvt_f16_f32_e32 v12, v5
	v_cndmask_b32_e32 v3, 0, v3, vcc_lo
	v_cmp_ngt_f32_e32 vcc_lo, 0xc2ce8ed0, v10
	v_and_b32_e32 v11, 0xffff, v11
	v_cndmask_b32_e32 v9, 0, v9, vcc_lo
	v_cmp_nlt_f32_e32 vcc_lo, 0x42b17218, v8
	v_cndmask_b32_e32 v8, 0x7f800000, v3, vcc_lo
	v_and_b32_e32 v3, 0xffff, v12
	v_cmp_nlt_f32_e32 vcc_lo, 0x42b17218, v10
	v_mul_u32_u24_e32 v10, 0x10001, v11
	s_delay_alu instid0(VALU_DEP_3) | instskip(SKIP_1) | instid1(VALU_DEP_3)
	v_mul_u32_u24_e32 v3, 0x10001, v3
	v_cndmask_b32_e32 v9, 0x7f800000, v9, vcc_lo
	v_pk_mul_f16 v24, v24, v10
	v_pk_mul_f16 v25, v25, v10
	s_delay_alu instid0(VALU_DEP_4) | instskip(NEXT) | instid1(VALU_DEP_4)
	v_pk_mul_f16 v22, v22, v3
	v_pk_fma_f32 v[0:1], v[0:1], v[4:5], v[8:9]
	v_pk_mul_f16 v23, v23, v3
.LBB78_30:
	s_mov_b32 s2, exec_lo
	v_cmpx_gt_i32_e64 s22, v78
	s_cbranch_execz .LBB78_39
; %bb.31:
	s_load_b32 s0, s[0:1], 0xd4
	v_mov_b32_e32 v4, 1.0
	s_wait_kmcnt 0x0
	s_cmp_lg_u32 s0, 1
	s_cselect_b32 s2, -1, 0
	s_cmp_eq_u32 s0, 1
	s_cselect_b32 s1, -1, 0
	s_and_b32 vcc_lo, exec_lo, s2
	s_cbranch_vccnz .LBB78_33
; %bb.32:
	v_div_scale_f32 v3, null, v0, v0, 1.0
	s_delay_alu instid0(VALU_DEP_1) | instskip(SKIP_1) | instid1(TRANS32_DEP_1)
	v_rcp_f32_e32 v4, v3
	v_nop
	v_fma_f32 v5, -v3, v4, 1.0
	s_delay_alu instid0(VALU_DEP_1) | instskip(SKIP_1) | instid1(VALU_DEP_1)
	v_fmac_f32_e32 v4, v5, v4
	v_div_scale_f32 v5, vcc_lo, 1.0, v0, 1.0
	v_mul_f32_e32 v6, v5, v4
	s_delay_alu instid0(VALU_DEP_1) | instskip(NEXT) | instid1(VALU_DEP_1)
	v_fma_f32 v7, -v3, v6, v5
	v_fmac_f32_e32 v6, v7, v4
	s_delay_alu instid0(VALU_DEP_1) | instskip(NEXT) | instid1(VALU_DEP_1)
	v_fma_f32 v3, -v3, v6, v5
	v_div_fmas_f32 v3, v3, v4, v6
	s_delay_alu instid0(VALU_DEP_1)
	v_div_fixup_f32 v4, v3, v0, 1.0
.LBB78_33:
	v_mad_u32 v3, s28, s22, v78
	v_lshrrev_b32_e32 v5, 16, v25
	v_cvt_f32_f16_e32 v6, v24
	v_cvt_f32_f16_e32 v10, v25
	v_cmp_eq_u32_e32 vcc_lo, 0, v53
	v_mov_b32_e32 v9, 0
	v_cvt_f32_f16_e32 v11, v5
	s_and_b32 s2, vcc_lo, s2
	v_mad_u32 v2, v3, s23, v2
	v_lshrrev_b32_e32 v3, 16, v24
	s_delay_alu instid0(VALU_DEP_1) | instskip(NEXT) | instid1(VALU_DEP_1)
	v_cvt_f32_f16_e32 v7, v3
	v_pk_mul_f32 v[6:7], v[4:5], v[6:7] op_sel_hi:[0,1]
	s_delay_alu instid0(VALU_DEP_4) | instskip(NEXT) | instid1(VALU_DEP_1)
	v_mad_u32 v2, s0, v2, s31
	v_lshl_add_u32 v8, v2, 7, v79
	s_delay_alu instid0(VALU_DEP_1)
	v_lshl_add_u64 v[12:13], v[8:9], 2, s[16:17]
	v_pk_mul_f32 v[8:9], v[4:5], v[10:11] op_sel_hi:[0,1]
	global_store_b128 v[12:13], v[6:9], off
	s_wait_xcnt 0x0
	s_and_saveexec_b32 s3, s2
	s_cbranch_execz .LBB78_35
; %bb.34:
	v_dual_mov_b32 v4, v76 :: v_dual_mov_b32 v5, v0
	global_store_b64 v2, v[4:5], s[18:19] scale_offset
.LBB78_35:
	s_wait_xcnt 0x0
	s_or_b32 exec_lo, exec_lo, s3
	v_mov_b32_e32 v0, 1.0
	s_and_not1_b32 vcc_lo, exec_lo, s1
	s_cbranch_vccnz .LBB78_37
; %bb.36:
	v_div_scale_f32 v0, null, v1, v1, 1.0
	s_delay_alu instid0(VALU_DEP_1) | instskip(SKIP_1) | instid1(TRANS32_DEP_1)
	v_rcp_f32_e32 v3, v0
	v_nop
	v_fma_f32 v4, -v0, v3, 1.0
	s_delay_alu instid0(VALU_DEP_1) | instskip(SKIP_1) | instid1(VALU_DEP_1)
	v_fmac_f32_e32 v3, v4, v3
	v_div_scale_f32 v4, vcc_lo, 1.0, v1, 1.0
	v_mul_f32_e32 v5, v4, v3
	s_delay_alu instid0(VALU_DEP_1) | instskip(NEXT) | instid1(VALU_DEP_1)
	v_fma_f32 v6, -v0, v5, v4
	v_fmac_f32_e32 v5, v6, v3
	s_delay_alu instid0(VALU_DEP_1) | instskip(NEXT) | instid1(VALU_DEP_1)
	v_fma_f32 v0, -v0, v5, v4
	v_div_fmas_f32 v0, v0, v3, v5
	s_delay_alu instid0(VALU_DEP_1)
	v_div_fixup_f32 v0, v0, v1, 1.0
.LBB78_37:
	v_dual_mov_b32 v5, 0 :: v_dual_add_nc_u32 v2, s0, v2
	v_dual_lshrrev_b32 v3, 16, v22 :: v_dual_lshrrev_b32 v9, 16, v23
	v_cvt_f32_f16_e32 v6, v22
	s_delay_alu instid0(VALU_DEP_3) | instskip(SKIP_1) | instid1(VALU_DEP_4)
	v_lshl_add_u32 v4, v2, 7, v79
	v_cvt_f32_f16_e32 v8, v23
	v_cvt_f32_f16_e32 v7, v3
	;; [unrolled: 1-line block ×3, first 2 shown]
	s_delay_alu instid0(VALU_DEP_4) | instskip(NEXT) | instid1(VALU_DEP_3)
	v_lshl_add_u64 v[10:11], v[4:5], 2, s[16:17]
	v_pk_mul_f32 v[4:5], v[0:1], v[6:7] op_sel_hi:[0,1]
	s_delay_alu instid0(VALU_DEP_3)
	v_pk_mul_f32 v[6:7], v[0:1], v[8:9] op_sel_hi:[0,1]
	global_store_b128 v[10:11], v[4:7], off
	s_wait_xcnt 0x0
	s_and_b32 exec_lo, exec_lo, s2
	s_cbranch_execz .LBB78_39
; %bb.38:
	v_mov_b32_e32 v0, v77
	global_store_b64 v2, v[0:1], s[18:19] scale_offset
.LBB78_39:
	s_sendmsg sendmsg(MSG_DEALLOC_VGPRS)
	s_endpgm
	.section	.rodata,"a",@progbits
	.p2align	6, 0x0
	.amdhsa_kernel _ZL15flash_attn_tileILi128ELi128ELi2ELi4ELb1EEvPKcS1_S1_S1_S1_PKiPfP15HIP_vector_typeIfLj2EEffffjfiS5_IjLj3EEiiiiiiiiiiiliiliiiiil
		.amdhsa_group_segment_fixed_size 12288
		.amdhsa_private_segment_fixed_size 0
		.amdhsa_kernarg_size 464
		.amdhsa_user_sgpr_count 2
		.amdhsa_user_sgpr_dispatch_ptr 0
		.amdhsa_user_sgpr_queue_ptr 0
		.amdhsa_user_sgpr_kernarg_segment_ptr 1
		.amdhsa_user_sgpr_dispatch_id 0
		.amdhsa_user_sgpr_kernarg_preload_length 0
		.amdhsa_user_sgpr_kernarg_preload_offset 0
		.amdhsa_user_sgpr_private_segment_size 0
		.amdhsa_wavefront_size32 1
		.amdhsa_uses_dynamic_stack 0
		.amdhsa_enable_private_segment 0
		.amdhsa_system_sgpr_workgroup_id_x 1
		.amdhsa_system_sgpr_workgroup_id_y 1
		.amdhsa_system_sgpr_workgroup_id_z 1
		.amdhsa_system_sgpr_workgroup_info 0
		.amdhsa_system_vgpr_workitem_id 1
		.amdhsa_next_free_vgpr 118
		.amdhsa_next_free_sgpr 42
		.amdhsa_named_barrier_count 0
		.amdhsa_reserve_vcc 1
		.amdhsa_float_round_mode_32 0
		.amdhsa_float_round_mode_16_64 0
		.amdhsa_float_denorm_mode_32 3
		.amdhsa_float_denorm_mode_16_64 3
		.amdhsa_fp16_overflow 0
		.amdhsa_memory_ordered 1
		.amdhsa_forward_progress 1
		.amdhsa_inst_pref_size 90
		.amdhsa_round_robin_scheduling 0
		.amdhsa_exception_fp_ieee_invalid_op 0
		.amdhsa_exception_fp_denorm_src 0
		.amdhsa_exception_fp_ieee_div_zero 0
		.amdhsa_exception_fp_ieee_overflow 0
		.amdhsa_exception_fp_ieee_underflow 0
		.amdhsa_exception_fp_ieee_inexact 0
		.amdhsa_exception_int_div_zero 0
	.end_amdhsa_kernel
	.section	.text._ZL15flash_attn_tileILi128ELi128ELi2ELi4ELb1EEvPKcS1_S1_S1_S1_PKiPfP15HIP_vector_typeIfLj2EEffffjfiS5_IjLj3EEiiiiiiiiiiiliiliiiiil,"axG",@progbits,_ZL15flash_attn_tileILi128ELi128ELi2ELi4ELb1EEvPKcS1_S1_S1_S1_PKiPfP15HIP_vector_typeIfLj2EEffffjfiS5_IjLj3EEiiiiiiiiiiiliiliiiiil,comdat
.Lfunc_end78:
	.size	_ZL15flash_attn_tileILi128ELi128ELi2ELi4ELb1EEvPKcS1_S1_S1_S1_PKiPfP15HIP_vector_typeIfLj2EEffffjfiS5_IjLj3EEiiiiiiiiiiiliiliiiiil, .Lfunc_end78-_ZL15flash_attn_tileILi128ELi128ELi2ELi4ELb1EEvPKcS1_S1_S1_S1_PKiPfP15HIP_vector_typeIfLj2EEffffjfiS5_IjLj3EEiiiiiiiiiiiliiliiiiil
                                        ; -- End function
	.set _ZL15flash_attn_tileILi128ELi128ELi2ELi4ELb1EEvPKcS1_S1_S1_S1_PKiPfP15HIP_vector_typeIfLj2EEffffjfiS5_IjLj3EEiiiiiiiiiiiliiliiiiil.num_vgpr, 118
	.set _ZL15flash_attn_tileILi128ELi128ELi2ELi4ELb1EEvPKcS1_S1_S1_S1_PKiPfP15HIP_vector_typeIfLj2EEffffjfiS5_IjLj3EEiiiiiiiiiiiliiliiiiil.num_agpr, 0
	.set _ZL15flash_attn_tileILi128ELi128ELi2ELi4ELb1EEvPKcS1_S1_S1_S1_PKiPfP15HIP_vector_typeIfLj2EEffffjfiS5_IjLj3EEiiiiiiiiiiiliiliiiiil.numbered_sgpr, 42
	.set _ZL15flash_attn_tileILi128ELi128ELi2ELi4ELb1EEvPKcS1_S1_S1_S1_PKiPfP15HIP_vector_typeIfLj2EEffffjfiS5_IjLj3EEiiiiiiiiiiiliiliiiiil.num_named_barrier, 0
	.set _ZL15flash_attn_tileILi128ELi128ELi2ELi4ELb1EEvPKcS1_S1_S1_S1_PKiPfP15HIP_vector_typeIfLj2EEffffjfiS5_IjLj3EEiiiiiiiiiiiliiliiiiil.private_seg_size, 0
	.set _ZL15flash_attn_tileILi128ELi128ELi2ELi4ELb1EEvPKcS1_S1_S1_S1_PKiPfP15HIP_vector_typeIfLj2EEffffjfiS5_IjLj3EEiiiiiiiiiiiliiliiiiil.uses_vcc, 1
	.set _ZL15flash_attn_tileILi128ELi128ELi2ELi4ELb1EEvPKcS1_S1_S1_S1_PKiPfP15HIP_vector_typeIfLj2EEffffjfiS5_IjLj3EEiiiiiiiiiiiliiliiiiil.uses_flat_scratch, 0
	.set _ZL15flash_attn_tileILi128ELi128ELi2ELi4ELb1EEvPKcS1_S1_S1_S1_PKiPfP15HIP_vector_typeIfLj2EEffffjfiS5_IjLj3EEiiiiiiiiiiiliiliiiiil.has_dyn_sized_stack, 0
	.set _ZL15flash_attn_tileILi128ELi128ELi2ELi4ELb1EEvPKcS1_S1_S1_S1_PKiPfP15HIP_vector_typeIfLj2EEffffjfiS5_IjLj3EEiiiiiiiiiiiliiliiiiil.has_recursion, 0
	.set _ZL15flash_attn_tileILi128ELi128ELi2ELi4ELb1EEvPKcS1_S1_S1_S1_PKiPfP15HIP_vector_typeIfLj2EEffffjfiS5_IjLj3EEiiiiiiiiiiiliiliiiiil.has_indirect_call, 0
	.section	.AMDGPU.csdata,"",@progbits
; Kernel info:
; codeLenInByte = 11448
; TotalNumSgprs: 44
; NumVgprs: 118
; ScratchSize: 0
; MemoryBound: 0
; FloatMode: 240
; IeeeMode: 1
; LDSByteSize: 12288 bytes/workgroup (compile time only)
; SGPRBlocks: 0
; VGPRBlocks: 7
; NumSGPRsForWavesPerEU: 44
; NumVGPRsForWavesPerEU: 118
; NamedBarCnt: 0
; Occupancy: 8
; WaveLimiterHint : 1
; COMPUTE_PGM_RSRC2:SCRATCH_EN: 0
; COMPUTE_PGM_RSRC2:USER_SGPR: 2
; COMPUTE_PGM_RSRC2:TRAP_HANDLER: 0
; COMPUTE_PGM_RSRC2:TGID_X_EN: 1
; COMPUTE_PGM_RSRC2:TGID_Y_EN: 1
; COMPUTE_PGM_RSRC2:TGID_Z_EN: 1
; COMPUTE_PGM_RSRC2:TIDIG_COMP_CNT: 1
	.section	.text._ZL15flash_attn_tileILi128ELi128ELi1ELi4ELb1EEvPKcS1_S1_S1_S1_PKiPfP15HIP_vector_typeIfLj2EEffffjfiS5_IjLj3EEiiiiiiiiiiiliiliiiiil,"axG",@progbits,_ZL15flash_attn_tileILi128ELi128ELi1ELi4ELb1EEvPKcS1_S1_S1_S1_PKiPfP15HIP_vector_typeIfLj2EEffffjfiS5_IjLj3EEiiiiiiiiiiiliiliiiiil,comdat
	.globl	_ZL15flash_attn_tileILi128ELi128ELi1ELi4ELb1EEvPKcS1_S1_S1_S1_PKiPfP15HIP_vector_typeIfLj2EEffffjfiS5_IjLj3EEiiiiiiiiiiiliiliiiiil ; -- Begin function _ZL15flash_attn_tileILi128ELi128ELi1ELi4ELb1EEvPKcS1_S1_S1_S1_PKiPfP15HIP_vector_typeIfLj2EEffffjfiS5_IjLj3EEiiiiiiiiiiiliiliiiiil
	.p2align	8
	.type	_ZL15flash_attn_tileILi128ELi128ELi1ELi4ELb1EEvPKcS1_S1_S1_S1_PKiPfP15HIP_vector_typeIfLj2EEffffjfiS5_IjLj3EEiiiiiiiiiiiliiliiiiil,@function
_ZL15flash_attn_tileILi128ELi128ELi1ELi4ELb1EEvPKcS1_S1_S1_S1_PKiPfP15HIP_vector_typeIfLj2EEffffjfiS5_IjLj3EEiiiiiiiiiiiliiliiiiil: ; @_ZL15flash_attn_tileILi128ELi128ELi1ELi4ELb1EEvPKcS1_S1_S1_S1_PKiPfP15HIP_vector_typeIfLj2EEffffjfiS5_IjLj3EEiiiiiiiiiiiliiliiiiil
; %bb.0:
	s_clause 0x1
	s_load_b128 s[20:23], s[0:1], 0x5c
	s_load_b64 s[28:29], s[0:1], 0x80
	s_bfe_u32 s5, ttmp6, 0x40014
	s_lshr_b32 s4, ttmp7, 16
	s_add_co_i32 s5, s5, 1
	s_bfe_u32 s6, ttmp6, 0x40008
	s_mul_i32 s5, s4, s5
	s_getreg_b32 s24, hwreg(HW_REG_IB_STS2, 6, 4)
	s_add_co_i32 s6, s6, s5
	s_load_b64 s[36:37], s[0:1], 0xb8
	s_mov_b32 s35, 0
	s_mov_b64 s[30:31], 0
	s_wait_kmcnt 0x0
	s_ashr_i32 s2, s23, 31
	s_delay_alu instid0(SALU_CYCLE_1) | instskip(NEXT) | instid1(SALU_CYCLE_1)
	s_lshr_b32 s2, s2, 30
	s_add_co_i32 s2, s23, s2
	s_delay_alu instid0(SALU_CYCLE_1) | instskip(NEXT) | instid1(SALU_CYCLE_1)
	s_ashr_i32 s2, s2, 2
	s_cvt_f32_u32 s3, s2
	s_sub_co_i32 s7, 0, s2
	s_delay_alu instid0(SALU_CYCLE_2) | instskip(SKIP_1) | instid1(TRANS32_DEP_1)
	v_rcp_iflag_f32_e32 v1, s3
	v_nop
	v_readfirstlane_b32 s3, v1
	s_mul_f32 s3, s3, 0x4f7ffffe
	s_delay_alu instid0(SALU_CYCLE_3) | instskip(NEXT) | instid1(SALU_CYCLE_3)
	s_cvt_u32_f32 s3, s3
	s_mul_i32 s7, s7, s3
	s_delay_alu instid0(SALU_CYCLE_1) | instskip(NEXT) | instid1(SALU_CYCLE_1)
	s_mul_hi_u32 s7, s3, s7
	s_add_co_i32 s3, s3, s7
	s_cmp_eq_u32 s24, 0
	s_cselect_b32 s4, s4, s6
	s_delay_alu instid0(SALU_CYCLE_1) | instskip(NEXT) | instid1(SALU_CYCLE_1)
	s_mul_hi_u32 s3, s4, s3
	s_mul_i32 s5, s3, s2
	s_add_co_i32 s6, s3, 1
	s_sub_co_i32 s5, s4, s5
	s_delay_alu instid0(SALU_CYCLE_1)
	s_sub_co_i32 s7, s5, s2
	s_cmp_ge_u32 s5, s2
	s_cselect_b32 s3, s6, s3
	s_cselect_b32 s5, s7, s5
	s_add_co_i32 s6, s3, 1
	s_cmp_ge_u32 s5, s2
	s_cselect_b32 s2, s6, s3
	s_abs_i32 s3, s29
	s_lshl_b32 s4, s4, 2
	s_cvt_f32_u32 s5, s3
	s_sub_co_i32 s6, 0, s3
	s_mul_i32 s7, s2, s23
	s_abs_i32 s8, s23
	v_rcp_iflag_f32_e32 v1, s5
	s_sub_co_i32 s33, s4, s7
	v_nop
	s_delay_alu instid0(TRANS32_DEP_1) | instskip(SKIP_1) | instid1(SALU_CYCLE_3)
	v_readfirstlane_b32 s5, v1
	s_mul_f32 s5, s5, 0x4f7ffffe
	s_cvt_u32_f32 s5, s5
	s_delay_alu instid0(SALU_CYCLE_3) | instskip(NEXT) | instid1(SALU_CYCLE_1)
	s_mul_i32 s6, s6, s5
	s_mul_hi_u32 s6, s5, s6
	s_delay_alu instid0(SALU_CYCLE_1) | instskip(NEXT) | instid1(SALU_CYCLE_1)
	s_add_co_i32 s5, s5, s6
	s_mul_hi_u32 s4, s8, s5
	s_xor_b32 s5, s23, s29
	s_mul_i32 s6, s4, s3
	s_ashr_i32 s25, s5, 31
	s_sub_co_i32 s5, s8, s6
	s_add_co_i32 s6, s4, 1
	s_sub_co_i32 s7, s5, s3
	s_cmp_ge_u32 s5, s3
	s_cselect_b32 s4, s6, s4
	s_cselect_b32 s5, s7, s5
	s_add_co_i32 s6, s4, 1
	s_cmp_ge_u32 s5, s3
	s_cselect_b32 s3, s6, s4
	s_load_b512 s[4:19], s[0:1], 0x0
	s_xor_b32 s3, s3, s25
	s_delay_alu instid0(SALU_CYCLE_1) | instskip(NEXT) | instid1(SALU_CYCLE_1)
	s_sub_co_i32 s3, s3, s25
	s_abs_i32 s38, s3
	s_delay_alu instid0(SALU_CYCLE_1) | instskip(NEXT) | instid1(SALU_CYCLE_3)
	s_cvt_f32_u32 s25, s38
	v_rcp_iflag_f32_e32 v1, s25
	v_nop
	s_delay_alu instid0(TRANS32_DEP_1)
	v_readfirstlane_b32 s25, v1
	s_wait_kmcnt 0x0
	s_cmp_eq_u64 s[10:11], 0
	s_cbranch_scc1 .LBB79_2
; %bb.1:
	s_abs_i32 s29, s36
	s_abs_i32 s30, s2
	s_cvt_f32_u32 s26, s29
	s_sub_co_i32 s27, 0, s29
	s_delay_alu instid0(SALU_CYCLE_2) | instskip(SKIP_1) | instid1(TRANS32_DEP_1)
	v_rcp_iflag_f32_e32 v1, s26
	v_nop
	v_readfirstlane_b32 s26, v1
	s_mul_f32 s26, s26, 0x4f7ffffe
	s_delay_alu instid0(SALU_CYCLE_3) | instskip(NEXT) | instid1(SALU_CYCLE_3)
	s_cvt_u32_f32 s26, s26
	s_mul_i32 s27, s27, s26
	s_delay_alu instid0(SALU_CYCLE_1) | instskip(NEXT) | instid1(SALU_CYCLE_1)
	s_mul_hi_u32 s27, s26, s27
	s_add_co_i32 s26, s26, s27
	s_delay_alu instid0(SALU_CYCLE_1) | instskip(SKIP_2) | instid1(SALU_CYCLE_1)
	s_mul_hi_u32 s31, s30, s26
	s_load_b64 s[26:27], s[0:1], 0xc8
	s_mul_i32 s31, s31, s29
	s_sub_co_i32 s30, s30, s31
	s_ashr_i32 s31, s2, 31
	s_sub_co_i32 s34, s30, s29
	s_cmp_ge_u32 s30, s29
	s_cselect_b32 s30, s34, s30
	s_delay_alu instid0(SALU_CYCLE_1) | instskip(SKIP_2) | instid1(SALU_CYCLE_1)
	s_sub_co_i32 s34, s30, s29
	s_cmp_ge_u32 s30, s29
	s_cselect_b32 s29, s34, s30
	s_xor_b32 s29, s29, s31
	s_delay_alu instid0(SALU_CYCLE_1) | instskip(NEXT) | instid1(SALU_CYCLE_1)
	s_sub_co_i32 s30, s29, s31
	s_ashr_i32 s31, s30, 31
	s_wait_kmcnt 0x0
	s_mul_u64 s[26:27], s[26:27], s[30:31]
	s_delay_alu instid0(SALU_CYCLE_1)
	s_add_nc_u64 s[30:31], s[10:11], s[26:27]
.LBB79_2:
	s_bfe_u32 s10, ttmp6, 0x4000c
	v_dual_lshrrev_b32 v1, 10, v0 :: v_dual_mov_b32 v61, 0
	s_add_co_i32 s10, s10, 1
	s_and_b32 s11, ttmp6, 15
	s_mul_i32 s10, ttmp9, s10
	s_delay_alu instid0(VALU_DEP_1)
	v_bfe_u32 v1, v1, 2, 8
	s_add_co_i32 s11, s11, s10
	s_cmp_eq_u32 s24, 0
	s_load_b96 s[40:42], s[0:1], 0x70
	s_cselect_b32 s10, ttmp9, s11
	v_and_b32_e32 v92, 0x3ff, v0
	v_add_nc_u32_e32 v93, s10, v1
	v_bfe_u32 v60, v0, 10, 2
	v_dual_mov_b32 v3, v61 :: v_dual_mov_b32 v9, v61
	v_bfe_u32 v0, v0, 10, 10
	s_delay_alu instid0(VALU_DEP_4) | instskip(SKIP_1) | instid1(VALU_DEP_3)
	v_mul_hi_u32 v1, s20, v93
	v_lshlrev_b32_e32 v8, 4, v92
	v_lshl_add_u32 v94, v0, 8, 0x2400
	s_delay_alu instid0(VALU_DEP_3) | instskip(SKIP_3) | instid1(SALU_CYCLE_1)
	v_add_nc_u32_e32 v1, v93, v1
	s_wait_kmcnt 0x0
	s_mov_b32 s20, s41
	s_mul_i32 s26, s33, s41
	s_ashr_i32 s27, s26, 31
	v_lshrrev_b32_e32 v1, s21, v1
	s_ashr_i32 s21, s41, 31
	s_ashr_i32 s41, s40, 31
	s_lshr_b64 s[20:21], s[20:21], 2
	s_delay_alu instid0(VALU_DEP_1) | instskip(SKIP_2) | instid1(VALU_DEP_2)
	v_mul_lo_u32 v1, v1, s22
	v_mul_u64_e32 v[4:5], s[20:21], v[60:61]
	s_lshr_b64 s[20:21], s[40:41], 2
	v_sub_nc_u32_e32 v2, v93, v1
	s_delay_alu instid0(VALU_DEP_1) | instskip(SKIP_1) | instid1(SALU_CYCLE_1)
	v_mul_u64_e32 v[6:7], s[20:21], v[2:3]
	s_mul_i32 s20, s2, s42
	s_ashr_i32 s21, s20, 31
	s_cmp_eq_u64 s[14:15], 0
	s_add_nc_u64 s[4:5], s[4:5], s[20:21]
	s_delay_alu instid0(SALU_CYCLE_1)
	s_add_nc_u64 s[4:5], s[4:5], s[26:27]
	s_delay_alu instid0(VALU_DEP_3) | instid1(SALU_CYCLE_1)
	v_lshl_add_u64 v[4:5], v[4:5], 2, s[4:5]
	s_load_b32 s4, s[0:1], 0x40
	s_delay_alu instid0(VALU_DEP_1) | instskip(NEXT) | instid1(VALU_DEP_1)
	v_lshl_add_u64 v[4:5], v[6:7], 2, v[4:5]
	v_add_nc_u64_e32 v[4:5], v[4:5], v[8:9]
	global_load_b128 v[4:7], v[4:5], off
	s_wait_loadcnt 0x0
	s_wait_kmcnt 0x0
	v_fma_mixlo_f16 v1, s4, v4, 0
	v_mov_b32_e32 v4, v7
	s_delay_alu instid0(VALU_DEP_2) | instskip(NEXT) | instid1(VALU_DEP_2)
	v_and_b32_e32 v1, 0xffff, v1
	v_pk_mul_f32 v[4:5], s[4:5], v[4:5] op_sel_hi:[0,1]
	s_delay_alu instid0(VALU_DEP_1) | instskip(SKIP_2) | instid1(VALU_DEP_3)
	v_cvt_pk_f16_f32 v3, v4, v5
	v_fma_mixlo_f16 v4, s4, v6, 0
	v_lshlrev_b32_e32 v83, 3, v92
	v_and_b32_e32 v5, 0xffff0000, v3
	s_delay_alu instid0(VALU_DEP_3) | instskip(SKIP_1) | instid1(VALU_DEP_3)
	v_and_b32_e32 v4, 0xffff, v4
	v_lshlrev_b32_e32 v3, 16, v3
	v_dual_add_nc_u32 v6, v94, v83 :: v_dual_bitop2_b32 v1, v5, v1 bitop3:0x54
	s_delay_alu instid0(VALU_DEP_2) | instskip(NEXT) | instid1(VALU_DEP_2)
	v_or3_b32 v5, v3, v4, 0
	v_or3_b32 v4, 0, 0, v1
	ds_store_b64 v6, v[4:5]
	s_wait_dscnt 0x0
	s_barrier_signal -1
	s_barrier_wait -1
	s_cbranch_scc1 .LBB79_4
; %bb.3:
	s_load_b32 s4, s[0:1], 0xd0
	s_wait_kmcnt 0x0
	s_mul_i32 s4, s4, s2
	s_delay_alu instid0(SALU_CYCLE_1)
	s_add_co_i32 s4, s4, s10
	s_load_b32 s28, s[14:15], s4 offset:0x0 scale_offset
.LBB79_4:
	s_wait_xcnt 0x0
	s_bfe_u32 s4, ttmp6, 0x40010
	s_and_b32 s5, ttmp7, 0xffff
	s_add_co_i32 s4, s4, 1
	s_bfe_u32 s10, ttmp6, 0x40004
	s_mul_i32 s4, s5, s4
	v_mbcnt_lo_u32_b32 v95, -1, 0
	s_add_co_i32 s10, s10, s4
	s_cmp_eq_u32 s24, 0
	s_cselect_b32 s29, s5, s10
	s_mov_b32 s5, 0
	s_lshl_b32 s4, s29, 6
	s_wait_kmcnt 0x0
	s_cmp_lt_i32 s4, s28
	s_cbranch_scc1 .LBB79_7
; %bb.5:
	v_mbcnt_lo_u32_b32 v3, -1, 0
	s_delay_alu instid0(VALU_DEP_1)
	v_dual_mov_b32 v1, 32 :: v_dual_bitop2_b32 v110, 16, v3 bitop3:0x14
	v_xor_b32_e32 v109, 8, v3
	v_xor_b32_e32 v111, 4, v3
	;; [unrolled: 1-line block ×3, first 2 shown]
	v_dual_lshlrev_b32 v61, 2, v92 :: v_dual_bitop2_b32 v113, 1, v3 bitop3:0x14
	s_and_not1_b32 vcc_lo, exec_lo, s5
	s_cbranch_vccz .LBB79_8
; %bb.6:
	v_dual_mov_b32 v16, 0 :: v_dual_mov_b32 v0, 0
	v_dual_mov_b32 v82, 0xfeffffff :: v_dual_mov_b32 v17, 0
	s_branch .LBB79_20
.LBB79_7:
                                        ; implicit-def: $vgpr3
                                        ; implicit-def: $vgpr1
                                        ; implicit-def: $vgpr110
                                        ; implicit-def: $vgpr109
                                        ; implicit-def: $vgpr111
                                        ; implicit-def: $vgpr112
                                        ; implicit-def: $vgpr113
	v_lshlrev_b32_e32 v61, 2, v92
.LBB79_8:
	s_mul_f32 s5, s25, 0x4f7ffffe
	s_clause 0x1
	s_load_b128 s[24:27], s[0:1], 0x98
	s_load_b64 s[14:15], s[0:1], 0x8c
	s_sub_co_i32 s10, 0, s38
	s_load_b64 s[20:21], s[0:1], 0xa8
	s_cvt_u32_f32 s5, s5
	s_ashr_i32 s39, s3, 31
	s_abs_i32 s34, s33
	s_mov_b32 s11, s35
	s_mul_i32 s10, s10, s5
	v_dual_lshrrev_b32 v1, 3, v92 :: v_dual_bitop2_b32 v4, 28, v61 bitop3:0x40
	s_mul_hi_u32 s3, s5, s10
	s_ashr_i32 s36, s33, 31
	s_add_co_i32 s10, s5, s3
	s_delay_alu instid0(VALU_DEP_1)
	v_lshl_add_u32 v1, v0, 2, v1
	s_mul_u64 s[10:11], s[34:35], s[10:11]
	s_ashr_i32 s37, s37, 1
	s_mul_i32 s5, s11, s38
	s_ashr_i32 s3, s2, 31
	s_sub_co_i32 s5, s34, s5
	s_xor_b32 s35, s36, s39
	s_wait_kmcnt 0x0
	s_ashr_i32 s10, s26, 2
	s_ashr_i32 s14, s14, 2
	s_add_co_i32 s26, s11, 1
	s_sub_co_i32 s34, s5, s38
	s_cmp_ge_u32 s5, s38
	v_mul_lo_u32 v62, s14, v1
	s_cselect_b32 s11, s26, s11
	s_cselect_b32 s5, s34, s5
	s_add_co_i32 s26, s11, 1
	s_cmp_ge_u32 s5, s38
	s_mul_u64 s[24:25], s[24:25], s[2:3]
	s_cselect_b32 s5, s26, s11
	s_add_nc_u64 s[6:7], s[6:7], s[24:25]
	s_load_b32 s24, s[0:1], 0x54
	s_mul_u64 s[20:21], s[20:21], s[2:3]
	s_lshl_b32 s3, s14, 4
	s_delay_alu instid0(SALU_CYCLE_1) | instskip(SKIP_2) | instid1(VALU_DEP_3)
	v_dual_lshrrev_b32 v3, 4, v92 :: v_dual_add_nc_u32 v64, s3, v62
	v_dual_ashrrev_i32 v63, 31, v62 :: v_dual_lshlrev_b32 v5, 2, v4
	v_mov_b32_e32 v67, 0
	v_lshl_add_u32 v3, v0, 1, v3
	s_delay_alu instid0(VALU_DEP_4) | instskip(SKIP_2) | instid1(VALU_DEP_4)
	v_dual_add_nc_u32 v68, s3, v64 :: v_dual_ashrrev_i32 v65, 31, v64
	v_and_b32_e32 v8, 60, v61
	v_mad_u32_u24 v96, 0x90, v1, v5
	v_mul_lo_u32 v6, s10, v3
	s_delay_alu instid0(VALU_DEP_4)
	v_dual_ashrrev_i32 v69, 31, v68 :: v_dual_add_nc_u32 v70, s3, v68
	s_lshl_b32 s3, s10, 3
	v_lshlrev_b32_e32 v1, 2, v8
	v_lshl_add_u32 v100, v0, 7, 0x2800
	v_mad_u32 v103, v2, s37, v92
	s_xor_b32 s5, s5, s35
	v_dual_mov_b32 v16, v67 :: v_dual_add_nc_u32 v97, 0x900, v96
	s_sub_co_i32 s5, s5, s35
	v_add_nc_u32_e32 v10, s3, v6
	v_lshl_or_b32 v102, v3, 8, v1
	s_mul_i32 s34, s5, s15
	s_mul_i32 s26, s5, s27
	v_dual_mov_b32 v73, v67 :: v_dual_add_nc_u32 v98, 0x1200, v96
	v_dual_add_nc_u32 v0, s3, v10 :: v_dual_ashrrev_i32 v11, 31, v10
	v_ashrrev_i32_e32 v71, 31, v70
	v_dual_mov_b32 v18, 0xfeffffff :: v_dual_ashrrev_i32 v7, 31, v6
	s_delay_alu instid0(VALU_DEP_3) | instskip(NEXT) | instid1(VALU_DEP_4)
	v_dual_add_nc_u32 v2, s3, v0 :: v_dual_ashrrev_i32 v1, 31, v0
	v_lshlrev_b64_e32 v[76:77], 2, v[10:11]
	s_delay_alu instid0(VALU_DEP_3) | instskip(SKIP_1) | instid1(VALU_DEP_4)
	v_lshlrev_b64_e32 v[74:75], 2, v[6:7]
	v_dual_mov_b32 v108, v67 :: v_dual_add_nc_u32 v99, 0x1b00, v96
	v_ashrrev_i32_e32 v3, 31, v2
	v_lshlrev_b64_e32 v[78:79], 2, v[0:1]
	v_mul_u32_u24_e32 v101, 0x90, v92
	v_lshl_add_u32 v104, v92, 1, v100
	v_add_nc_u32_e32 v105, 0x800, v102
	v_lshlrev_b64_e32 v[80:81], 2, v[2:3]
	v_dual_mov_b32 v17, v67 :: v_dual_add_nc_u32 v106, 0x1000, v102
	v_add_nc_u32_e32 v107, 0x1800, v102
	v_lshlrev_b32_e32 v72, 2, v4
	v_lshlrev_b32_e32 v66, 2, v8
	s_ashr_i32 s35, s34, 31
	s_add_nc_u64 s[8:9], s[8:9], s[20:21]
	s_ashr_i32 s27, s26, 31
	s_add_nc_u64 s[6:7], s[6:7], s[34:35]
	s_add_nc_u64 s[8:9], s[8:9], s[26:27]
	s_ashr_i32 s15, s14, 31
	s_ashr_i32 s11, s10, 31
	s_add_nc_u64 s[20:21], s[0:1], 0xd0
	s_mov_b32 s3, 0xbbbac73d
.LBB79_9:                               ; =>This Inner Loop Header: Depth=1
	s_ashr_i32 s5, s4, 31
                                        ; implicit-def: $vgpr19
	s_delay_alu instid0(SALU_CYCLE_1) | instskip(NEXT) | instid1(SALU_CYCLE_1)
	s_mul_u64 s[26:27], s[4:5], s[14:15]
	s_lshl_b64 s[26:27], s[26:27], 2
	s_delay_alu instid0(SALU_CYCLE_1) | instskip(NEXT) | instid1(SALU_CYCLE_1)
	s_add_nc_u64 s[26:27], s[6:7], s[26:27]
	v_lshl_add_u64 v[0:1], v[62:63], 2, s[26:27]
	v_lshl_add_u64 v[2:3], v[64:65], 2, s[26:27]
	;; [unrolled: 1-line block ×4, first 2 shown]
	s_delay_alu instid0(VALU_DEP_4) | instskip(NEXT) | instid1(VALU_DEP_4)
	v_add_nc_u64_e32 v[6:7], v[0:1], v[72:73]
	v_add_nc_u64_e32 v[2:3], v[2:3], v[72:73]
	s_delay_alu instid0(VALU_DEP_4) | instskip(NEXT) | instid1(VALU_DEP_4)
	v_add_nc_u64_e32 v[4:5], v[4:5], v[72:73]
	v_add_nc_u64_e32 v[0:1], v[8:9], v[72:73]
	s_clause 0x3
	global_load_b128 v[8:11], v[6:7], off
	global_load_b128 v[12:15], v[2:3], off
	;; [unrolled: 1-line block ×4, first 2 shown]
	s_wait_loadcnt 0x3
	ds_store_b128 v96, v[8:11]
	s_wait_loadcnt 0x2
	ds_store_b128 v97, v[12:15]
	;; [unrolled: 2-line block ×4, first 2 shown]
	s_wait_dscnt 0x0
	s_barrier_signal -1
	s_barrier_wait -1
	ds_load_b128 v[8:11], v101
	ds_load_b128 v[12:15], v94
	ds_load_b128 v[24:27], v101 offset:4608
	v_dual_mov_b32 v22, 0 :: v_dual_mov_b32 v23, 0
	s_wait_dscnt 0x1
	;;#ASMSTART
	v_dot2_f32_f16 v22, v8, v12, v22
	;;#ASMEND
	;;#ASMSTART
	v_dot2_f32_f16 v22, v9, v13, v22
	;;#ASMEND
	;;#ASMSTART
	v_dot2_f32_f16 v22, v10, v14, v22
	;;#ASMEND
	;;#ASMSTART
	v_dot2_f32_f16 v22, v11, v15, v22
	;;#ASMEND
	s_wait_dscnt 0x0
	;;#ASMSTART
	v_dot2_f32_f16 v23, v24, v12, v23
	;;#ASMEND
	;;#ASMSTART
	v_dot2_f32_f16 v23, v25, v13, v23
	;;#ASMEND
	;;#ASMSTART
	v_dot2_f32_f16 v23, v26, v14, v23
	;;#ASMEND
	;;#ASMSTART
	v_dot2_f32_f16 v23, v27, v15, v23
	;;#ASMEND
	ds_load_b128 v[8:11], v101 offset:16
	ds_load_b128 v[12:15], v94 offset:16
	ds_load_b128 v[24:27], v101 offset:4624
	s_wait_dscnt 0x1
	;;#ASMSTART
	v_dot2_f32_f16 v22, v8, v12, v22
	;;#ASMEND
	;;#ASMSTART
	v_dot2_f32_f16 v22, v9, v13, v22
	;;#ASMEND
	;;#ASMSTART
	v_dot2_f32_f16 v22, v10, v14, v22
	;;#ASMEND
	;;#ASMSTART
	v_dot2_f32_f16 v22, v11, v15, v22
	;;#ASMEND
	s_wait_dscnt 0x0
	;;#ASMSTART
	v_dot2_f32_f16 v23, v24, v12, v23
	;;#ASMEND
	;;#ASMSTART
	v_dot2_f32_f16 v23, v25, v13, v23
	;;#ASMEND
	;;#ASMSTART
	v_dot2_f32_f16 v23, v26, v14, v23
	;;#ASMEND
	;;#ASMSTART
	v_dot2_f32_f16 v23, v27, v15, v23
	;;#ASMEND
	ds_load_b128 v[8:11], v101 offset:32
	ds_load_b128 v[12:15], v94 offset:32
	ds_load_b128 v[24:27], v101 offset:4640
	s_wait_dscnt 0x1
	;;#ASMSTART
	v_dot2_f32_f16 v22, v8, v12, v22
	;;#ASMEND
	;;#ASMSTART
	v_dot2_f32_f16 v22, v9, v13, v22
	;;#ASMEND
	;;#ASMSTART
	v_dot2_f32_f16 v22, v10, v14, v22
	;;#ASMEND
	;;#ASMSTART
	v_dot2_f32_f16 v22, v11, v15, v22
	;;#ASMEND
	s_wait_dscnt 0x0
	;;#ASMSTART
	v_dot2_f32_f16 v23, v24, v12, v23
	;;#ASMEND
	;;#ASMSTART
	v_dot2_f32_f16 v23, v25, v13, v23
	;;#ASMEND
	;;#ASMSTART
	v_dot2_f32_f16 v23, v26, v14, v23
	;;#ASMEND
	;;#ASMSTART
	v_dot2_f32_f16 v23, v27, v15, v23
	;;#ASMEND
	ds_load_b128 v[8:11], v101 offset:48
	ds_load_b128 v[12:15], v94 offset:48
	ds_load_b128 v[24:27], v101 offset:4656
	s_wait_dscnt 0x1
	;;#ASMSTART
	v_dot2_f32_f16 v22, v8, v12, v22
	;;#ASMEND
	;;#ASMSTART
	v_dot2_f32_f16 v22, v9, v13, v22
	;;#ASMEND
	;;#ASMSTART
	v_dot2_f32_f16 v22, v10, v14, v22
	;;#ASMEND
	;;#ASMSTART
	v_dot2_f32_f16 v22, v11, v15, v22
	;;#ASMEND
	s_wait_dscnt 0x0
	;;#ASMSTART
	v_dot2_f32_f16 v23, v24, v12, v23
	;;#ASMEND
	;;#ASMSTART
	v_dot2_f32_f16 v23, v25, v13, v23
	;;#ASMEND
	;;#ASMSTART
	v_dot2_f32_f16 v23, v26, v14, v23
	;;#ASMEND
	;;#ASMSTART
	v_dot2_f32_f16 v23, v27, v15, v23
	;;#ASMEND
	ds_load_b128 v[8:11], v101 offset:64
	ds_load_b128 v[12:15], v94 offset:64
	ds_load_b128 v[24:27], v101 offset:4672
	s_wait_dscnt 0x1
	;;#ASMSTART
	v_dot2_f32_f16 v22, v8, v12, v22
	;;#ASMEND
	;;#ASMSTART
	v_dot2_f32_f16 v22, v9, v13, v22
	;;#ASMEND
	;;#ASMSTART
	v_dot2_f32_f16 v22, v10, v14, v22
	;;#ASMEND
	;;#ASMSTART
	v_dot2_f32_f16 v22, v11, v15, v22
	;;#ASMEND
	s_wait_dscnt 0x0
	;;#ASMSTART
	v_dot2_f32_f16 v23, v24, v12, v23
	;;#ASMEND
	;;#ASMSTART
	v_dot2_f32_f16 v23, v25, v13, v23
	;;#ASMEND
	;;#ASMSTART
	v_dot2_f32_f16 v23, v26, v14, v23
	;;#ASMEND
	;;#ASMSTART
	v_dot2_f32_f16 v23, v27, v15, v23
	;;#ASMEND
	ds_load_b128 v[8:11], v101 offset:80
	ds_load_b128 v[12:15], v94 offset:80
	ds_load_b128 v[24:27], v101 offset:4688
	s_wait_dscnt 0x1
	;;#ASMSTART
	v_dot2_f32_f16 v22, v8, v12, v22
	;;#ASMEND
	;;#ASMSTART
	v_dot2_f32_f16 v22, v9, v13, v22
	;;#ASMEND
	;;#ASMSTART
	v_dot2_f32_f16 v22, v10, v14, v22
	;;#ASMEND
	;;#ASMSTART
	v_dot2_f32_f16 v22, v11, v15, v22
	;;#ASMEND
	s_wait_dscnt 0x0
	;;#ASMSTART
	v_dot2_f32_f16 v23, v24, v12, v23
	;;#ASMEND
	;;#ASMSTART
	v_dot2_f32_f16 v23, v25, v13, v23
	;;#ASMEND
	;;#ASMSTART
	v_dot2_f32_f16 v23, v26, v14, v23
	;;#ASMEND
	;;#ASMSTART
	v_dot2_f32_f16 v23, v27, v15, v23
	;;#ASMEND
	ds_load_b128 v[8:11], v101 offset:96
	ds_load_b128 v[12:15], v94 offset:96
	ds_load_b128 v[24:27], v101 offset:4704
	s_wait_dscnt 0x1
	;;#ASMSTART
	v_dot2_f32_f16 v22, v8, v12, v22
	;;#ASMEND
	;;#ASMSTART
	v_dot2_f32_f16 v22, v9, v13, v22
	;;#ASMEND
	;;#ASMSTART
	v_dot2_f32_f16 v22, v10, v14, v22
	;;#ASMEND
	;;#ASMSTART
	v_dot2_f32_f16 v22, v11, v15, v22
	;;#ASMEND
	s_wait_dscnt 0x0
	;;#ASMSTART
	v_dot2_f32_f16 v23, v24, v12, v23
	;;#ASMEND
	;;#ASMSTART
	v_dot2_f32_f16 v23, v25, v13, v23
	;;#ASMEND
	;;#ASMSTART
	v_dot2_f32_f16 v23, v26, v14, v23
	;;#ASMEND
	;;#ASMSTART
	v_dot2_f32_f16 v23, v27, v15, v23
	;;#ASMEND
	ds_load_b128 v[8:11], v101 offset:112
	ds_load_b128 v[12:15], v94 offset:112
	ds_load_b128 v[24:27], v101 offset:4720
	s_wait_dscnt 0x1
	;;#ASMSTART
	v_dot2_f32_f16 v22, v8, v12, v22
	;;#ASMEND
	;;#ASMSTART
	v_dot2_f32_f16 v22, v9, v13, v22
	;;#ASMEND
	;; [unrolled: 3-line block ×4, first 2 shown]
	s_wait_dscnt 0x0
	;;#ASMSTART
	v_dot2_f32_f16 v23, v24, v12, v23
	;;#ASMEND
	;;#ASMSTART
	v_dot2_f32_f16 v23, v25, v13, v23
	;;#ASMEND
	;; [unrolled: 3-line block ×4, first 2 shown]
	s_barrier_signal -1
	s_barrier_wait -1
	s_clause 0x3
	global_load_b128 v[6:9], v[6:7], off offset:128
	global_load_b128 v[10:13], v[2:3], off offset:128
	;; [unrolled: 1-line block ×3, first 2 shown]
	; meta instruction
	; meta instruction
	global_load_b128 v[0:3], v[0:1], off offset:128
	s_wait_loadcnt 0x3
	ds_store_b128 v96, v[6:9]
	s_wait_loadcnt 0x2
	ds_store_b128 v97, v[10:13]
	;; [unrolled: 2-line block ×4, first 2 shown]
	s_wait_dscnt 0x0
	s_barrier_signal -1
	s_barrier_wait -1
	ds_load_b128 v[0:3], v101
	ds_load_b128 v[4:7], v94 offset:128
	ds_load_b128 v[8:11], v101 offset:4608
	s_wait_dscnt 0x1
	;;#ASMSTART
	v_dot2_f32_f16 v22, v0, v4, v22
	;;#ASMEND
	;;#ASMSTART
	v_dot2_f32_f16 v22, v1, v5, v22
	;;#ASMEND
	;;#ASMSTART
	v_dot2_f32_f16 v22, v2, v6, v22
	;;#ASMEND
	;;#ASMSTART
	v_dot2_f32_f16 v22, v3, v7, v22
	;;#ASMEND
	s_wait_dscnt 0x0
	;;#ASMSTART
	v_dot2_f32_f16 v23, v8, v4, v23
	;;#ASMEND
	;;#ASMSTART
	v_dot2_f32_f16 v23, v9, v5, v23
	;;#ASMEND
	;;#ASMSTART
	v_dot2_f32_f16 v23, v10, v6, v23
	;;#ASMEND
	;;#ASMSTART
	v_dot2_f32_f16 v23, v11, v7, v23
	;;#ASMEND
	ds_load_b128 v[0:3], v101 offset:16
	ds_load_b128 v[4:7], v94 offset:144
	ds_load_b128 v[8:11], v101 offset:4624
	s_wait_dscnt 0x1
	;;#ASMSTART
	v_dot2_f32_f16 v22, v0, v4, v22
	;;#ASMEND
	;;#ASMSTART
	v_dot2_f32_f16 v22, v1, v5, v22
	;;#ASMEND
	;;#ASMSTART
	v_dot2_f32_f16 v22, v2, v6, v22
	;;#ASMEND
	;;#ASMSTART
	v_dot2_f32_f16 v22, v3, v7, v22
	;;#ASMEND
	s_wait_dscnt 0x0
	;;#ASMSTART
	v_dot2_f32_f16 v23, v8, v4, v23
	;;#ASMEND
	;;#ASMSTART
	v_dot2_f32_f16 v23, v9, v5, v23
	;;#ASMEND
	;;#ASMSTART
	v_dot2_f32_f16 v23, v10, v6, v23
	;;#ASMEND
	;;#ASMSTART
	v_dot2_f32_f16 v23, v11, v7, v23
	;;#ASMEND
	ds_load_b128 v[0:3], v101 offset:32
	ds_load_b128 v[4:7], v94 offset:160
	ds_load_b128 v[8:11], v101 offset:4640
	s_wait_dscnt 0x1
	;;#ASMSTART
	v_dot2_f32_f16 v22, v0, v4, v22
	;;#ASMEND
	;;#ASMSTART
	v_dot2_f32_f16 v22, v1, v5, v22
	;;#ASMEND
	;;#ASMSTART
	v_dot2_f32_f16 v22, v2, v6, v22
	;;#ASMEND
	;;#ASMSTART
	v_dot2_f32_f16 v22, v3, v7, v22
	;;#ASMEND
	s_wait_dscnt 0x0
	;;#ASMSTART
	v_dot2_f32_f16 v23, v8, v4, v23
	;;#ASMEND
	;;#ASMSTART
	v_dot2_f32_f16 v23, v9, v5, v23
	;;#ASMEND
	;;#ASMSTART
	v_dot2_f32_f16 v23, v10, v6, v23
	;;#ASMEND
	;;#ASMSTART
	v_dot2_f32_f16 v23, v11, v7, v23
	;;#ASMEND
	ds_load_b128 v[0:3], v101 offset:48
	ds_load_b128 v[4:7], v94 offset:176
	ds_load_b128 v[8:11], v101 offset:4656
	s_wait_dscnt 0x1
	;;#ASMSTART
	v_dot2_f32_f16 v22, v0, v4, v22
	;;#ASMEND
	;;#ASMSTART
	v_dot2_f32_f16 v22, v1, v5, v22
	;;#ASMEND
	;;#ASMSTART
	v_dot2_f32_f16 v22, v2, v6, v22
	;;#ASMEND
	;;#ASMSTART
	v_dot2_f32_f16 v22, v3, v7, v22
	;;#ASMEND
	s_wait_dscnt 0x0
	;;#ASMSTART
	v_dot2_f32_f16 v23, v8, v4, v23
	;;#ASMEND
	;;#ASMSTART
	v_dot2_f32_f16 v23, v9, v5, v23
	;;#ASMEND
	;;#ASMSTART
	v_dot2_f32_f16 v23, v10, v6, v23
	;;#ASMEND
	;;#ASMSTART
	v_dot2_f32_f16 v23, v11, v7, v23
	;;#ASMEND
	ds_load_b128 v[0:3], v101 offset:64
	ds_load_b128 v[4:7], v94 offset:192
	ds_load_b128 v[8:11], v101 offset:4672
	s_wait_dscnt 0x1
	;;#ASMSTART
	v_dot2_f32_f16 v22, v0, v4, v22
	;;#ASMEND
	;;#ASMSTART
	v_dot2_f32_f16 v22, v1, v5, v22
	;;#ASMEND
	;;#ASMSTART
	v_dot2_f32_f16 v22, v2, v6, v22
	;;#ASMEND
	;;#ASMSTART
	v_dot2_f32_f16 v22, v3, v7, v22
	;;#ASMEND
	s_wait_dscnt 0x0
	;;#ASMSTART
	v_dot2_f32_f16 v23, v8, v4, v23
	;;#ASMEND
	;;#ASMSTART
	v_dot2_f32_f16 v23, v9, v5, v23
	;;#ASMEND
	;;#ASMSTART
	v_dot2_f32_f16 v23, v10, v6, v23
	;;#ASMEND
	;;#ASMSTART
	v_dot2_f32_f16 v23, v11, v7, v23
	;;#ASMEND
	ds_load_b128 v[0:3], v101 offset:80
	ds_load_b128 v[4:7], v94 offset:208
	ds_load_b128 v[8:11], v101 offset:4688
	s_wait_dscnt 0x1
	;;#ASMSTART
	v_dot2_f32_f16 v22, v0, v4, v22
	;;#ASMEND
	;;#ASMSTART
	v_dot2_f32_f16 v22, v1, v5, v22
	;;#ASMEND
	;;#ASMSTART
	v_dot2_f32_f16 v22, v2, v6, v22
	;;#ASMEND
	;;#ASMSTART
	v_dot2_f32_f16 v22, v3, v7, v22
	;;#ASMEND
	s_wait_dscnt 0x0
	;;#ASMSTART
	v_dot2_f32_f16 v23, v8, v4, v23
	;;#ASMEND
	;;#ASMSTART
	v_dot2_f32_f16 v23, v9, v5, v23
	;;#ASMEND
	;;#ASMSTART
	v_dot2_f32_f16 v23, v10, v6, v23
	;;#ASMEND
	;;#ASMSTART
	v_dot2_f32_f16 v23, v11, v7, v23
	;;#ASMEND
	ds_load_b128 v[0:3], v101 offset:96
	ds_load_b128 v[4:7], v94 offset:224
	ds_load_b128 v[8:11], v101 offset:4704
	s_wait_dscnt 0x1
	;;#ASMSTART
	v_dot2_f32_f16 v22, v0, v4, v22
	;;#ASMEND
	;;#ASMSTART
	v_dot2_f32_f16 v22, v1, v5, v22
	;;#ASMEND
	;;#ASMSTART
	v_dot2_f32_f16 v22, v2, v6, v22
	;;#ASMEND
	;;#ASMSTART
	v_dot2_f32_f16 v22, v3, v7, v22
	;;#ASMEND
	s_wait_dscnt 0x0
	;;#ASMSTART
	v_dot2_f32_f16 v23, v8, v4, v23
	;;#ASMEND
	;;#ASMSTART
	v_dot2_f32_f16 v23, v9, v5, v23
	;;#ASMEND
	;;#ASMSTART
	v_dot2_f32_f16 v23, v10, v6, v23
	;;#ASMEND
	;;#ASMSTART
	v_dot2_f32_f16 v23, v11, v7, v23
	;;#ASMEND
	ds_load_b128 v[0:3], v101 offset:112
	ds_load_b128 v[4:7], v94 offset:240
	ds_load_b128 v[8:11], v101 offset:4720
	s_wait_dscnt 0x1
	;;#ASMSTART
	v_dot2_f32_f16 v22, v0, v4, v22
	;;#ASMEND
	;;#ASMSTART
	v_dot2_f32_f16 v22, v1, v5, v22
	;;#ASMEND
	;;#ASMSTART
	v_dot2_f32_f16 v22, v2, v6, v22
	;;#ASMEND
	;;#ASMSTART
	v_dot2_f32_f16 v22, v3, v7, v22
	;;#ASMEND
	v_cmp_ngt_f32_e64 s25, 0x3f200000, |v22|
	s_wait_dscnt 0x0
	;;#ASMSTART
	v_dot2_f32_f16 v23, v8, v4, v23
	;;#ASMEND
	;;#ASMSTART
	v_dot2_f32_f16 v23, v9, v5, v23
	;;#ASMEND
	;; [unrolled: 3-line block ×4, first 2 shown]
	s_and_saveexec_b32 s26, s25
	s_delay_alu instid0(SALU_CYCLE_1)
	s_xor_b32 s25, exec_lo, s26
	s_cbranch_execz .LBB79_11
; %bb.10:                               ;   in Loop: Header=BB79_9 Depth=1
	v_add_f32_e64 v0, |v22|, |v22|
	s_delay_alu instid0(VALU_DEP_1) | instskip(SKIP_1) | instid1(VALU_DEP_2)
	v_mul_f32_e32 v1, 0x3fb8aa3b, v0
	v_cmp_ngt_f32_e32 vcc_lo, 0xc2ce8ed0, v0
	v_rndne_f32_e32 v2, v1
	v_fma_f32 v3, 0x3fb8aa3b, v0, -v1
	s_delay_alu instid0(VALU_DEP_2) | instskip(NEXT) | instid1(VALU_DEP_2)
	v_sub_f32_e32 v1, v1, v2
	v_fmac_f32_e32 v3, 0x32a5705f, v0
	v_cvt_i32_f32_e32 v2, v2
	s_delay_alu instid0(VALU_DEP_2) | instskip(NEXT) | instid1(VALU_DEP_1)
	v_add_f32_e32 v1, v1, v3
	v_exp_f32_e32 v1, v1
	v_nop
	s_delay_alu instid0(TRANS32_DEP_1) | instskip(NEXT) | instid1(VALU_DEP_1)
	v_ldexp_f32 v1, v1, v2
	v_cndmask_b32_e32 v1, 0, v1, vcc_lo
	v_cmp_nlt_f32_e32 vcc_lo, 0x42b17218, v0
	s_delay_alu instid0(VALU_DEP_2) | instskip(NEXT) | instid1(VALU_DEP_1)
	v_cndmask_b32_e32 v0, 0x7f800000, v1, vcc_lo
	v_add_f32_e32 v0, 1.0, v0
	s_delay_alu instid0(VALU_DEP_1) | instskip(SKIP_1) | instid1(TRANS32_DEP_1)
	v_rcp_f32_e32 v0, v0
	v_nop
	v_fma_f32 v19, v0, -2.0, 1.0
.LBB79_11:                              ;   in Loop: Header=BB79_9 Depth=1
	s_and_not1_saveexec_b32 s25, s25
	s_cbranch_execz .LBB79_13
; %bb.12:                               ;   in Loop: Header=BB79_9 Depth=1
	v_mul_f32_e32 v0, v22, v22
	s_delay_alu instid0(VALU_DEP_1) | instskip(NEXT) | instid1(VALU_DEP_1)
	v_fmaak_f32 v1, s3, v0, 0x3ca908c9
	v_fmaak_f32 v1, v0, v1, 0xbd5c1c4e
	s_delay_alu instid0(VALU_DEP_1) | instskip(NEXT) | instid1(VALU_DEP_1)
	v_fmaak_f32 v1, v0, v1, 0x3e088382
	v_fmaak_f32 v1, v0, v1, 0xbeaaaa99
	s_delay_alu instid0(VALU_DEP_1) | instskip(NEXT) | instid1(VALU_DEP_1)
	v_mul_f32_e64 v1, |v22|, v1
	v_fma_f32 v19, v0, v1, |v22|
.LBB79_13:                              ;   in Loop: Header=BB79_9 Depth=1
	s_or_b32 exec_lo, exec_lo, s25
	v_add_nc_u32_e32 v0, s4, v103
	v_cmp_ngt_f32_e64 s25, 0x3f200000, |v23|
                                        ; implicit-def: $vgpr21
	global_load_u16 v20, v0, s[30:31] scale_offset
	s_wait_xcnt 0x0
	s_and_saveexec_b32 s26, s25
	s_delay_alu instid0(SALU_CYCLE_1)
	s_xor_b32 s25, exec_lo, s26
	s_cbranch_execz .LBB79_15
; %bb.14:                               ;   in Loop: Header=BB79_9 Depth=1
	v_add_f32_e64 v1, |v23|, |v23|
	s_delay_alu instid0(VALU_DEP_1) | instskip(SKIP_1) | instid1(VALU_DEP_2)
	v_mul_f32_e32 v2, 0x3fb8aa3b, v1
	v_cmp_ngt_f32_e32 vcc_lo, 0xc2ce8ed0, v1
	v_rndne_f32_e32 v3, v2
	v_fma_f32 v4, 0x3fb8aa3b, v1, -v2
	s_delay_alu instid0(VALU_DEP_2) | instskip(NEXT) | instid1(VALU_DEP_2)
	v_sub_f32_e32 v2, v2, v3
	v_fmac_f32_e32 v4, 0x32a5705f, v1
	v_cvt_i32_f32_e32 v3, v3
	s_delay_alu instid0(VALU_DEP_2) | instskip(NEXT) | instid1(VALU_DEP_1)
	v_add_f32_e32 v2, v2, v4
	v_exp_f32_e32 v2, v2
	v_nop
	s_delay_alu instid0(TRANS32_DEP_1) | instskip(NEXT) | instid1(VALU_DEP_1)
	v_ldexp_f32 v2, v2, v3
	v_cndmask_b32_e32 v2, 0, v2, vcc_lo
	v_cmp_nlt_f32_e32 vcc_lo, 0x42b17218, v1
	s_delay_alu instid0(VALU_DEP_2) | instskip(NEXT) | instid1(VALU_DEP_1)
	v_cndmask_b32_e32 v1, 0x7f800000, v2, vcc_lo
	v_add_f32_e32 v1, 1.0, v1
	s_delay_alu instid0(VALU_DEP_1) | instskip(SKIP_1) | instid1(TRANS32_DEP_1)
	v_rcp_f32_e32 v1, v1
	v_nop
	v_fma_f32 v21, v1, -2.0, 1.0
.LBB79_15:                              ;   in Loop: Header=BB79_9 Depth=1
	s_and_not1_saveexec_b32 s25, s25
	s_cbranch_execz .LBB79_17
; %bb.16:                               ;   in Loop: Header=BB79_9 Depth=1
	v_mul_f32_e32 v1, v23, v23
	s_delay_alu instid0(VALU_DEP_1) | instskip(NEXT) | instid1(VALU_DEP_1)
	v_fmaak_f32 v2, s3, v1, 0x3ca908c9
	v_fmaak_f32 v2, v1, v2, 0xbd5c1c4e
	s_delay_alu instid0(VALU_DEP_1) | instskip(NEXT) | instid1(VALU_DEP_1)
	v_fmaak_f32 v2, v1, v2, 0x3e088382
	v_fmaak_f32 v2, v1, v2, 0xbeaaaa99
	s_delay_alu instid0(VALU_DEP_1) | instskip(NEXT) | instid1(VALU_DEP_1)
	v_mul_f32_e64 v2, |v23|, v2
	v_fma_f32 v21, v1, v2, |v23|
.LBB79_17:                              ;   in Loop: Header=BB79_9 Depth=1
	s_or_b32 exec_lo, exec_lo, s25
	v_dual_ashrrev_i32 v1, 31, v0 :: v_dual_bitop2_b32 v110, 16, v95 bitop3:0x14
	s_mul_u64 s[26:27], s[4:5], s[10:11]
	v_bfi_b32 v19, 0x7fffffff, v19, v22
	s_lshl_b64 s[26:27], s[26:27], 2
	s_delay_alu instid0(VALU_DEP_2)
	v_lshl_add_u64 v[0:1], v[0:1], 1, s[30:31]
	s_add_nc_u64 s[26:27], s[8:9], s[26:27]
	v_bfi_b32 v21, 0x7fffffff, v21, v23
	v_add_nc_u64_e32 v[2:3], s[26:27], v[76:77]
	v_add_nc_u64_e32 v[4:5], s[26:27], v[78:79]
	global_load_u16 v24, v[0:1], off offset:64
	s_wait_xcnt 0x0
	v_add_nc_u64_e32 v[0:1], s[26:27], v[74:75]
	v_add_nc_u64_e32 v[6:7], s[26:27], v[80:81]
	s_wait_loadcnt 0x0
	s_barrier_signal -1
	v_add_nc_u64_e32 v[8:9], v[2:3], v[66:67]
	v_add_nc_u64_e32 v[10:11], v[4:5], v[66:67]
	s_barrier_wait -1
	v_add_nc_u64_e32 v[0:1], v[0:1], v[66:67]
	v_add_nc_u64_e32 v[12:13], v[6:7], v[66:67]
	v_cmp_gt_i32_e32 vcc_lo, 32, v110
	s_wait_kmcnt 0x0
	v_fma_mix_f32 v19, s24, v19, v20 op_sel_hi:[0,0,1]
	s_or_b32 s26, s4, 32
	s_clause 0x3
	global_load_b128 v[0:3], v[0:1], off
	global_load_b128 v[4:7], v[8:9], off
	;; [unrolled: 1-line block ×4, first 2 shown]
	s_ashr_i32 s27, s26, 31
	v_add_nc_u32_e32 v117, 0x1800, v83
	s_mul_u64 s[26:27], s[26:27], s[10:11]
	v_xor_b32_e32 v109, 8, v95
	s_lshl_b64 s[26:27], s[26:27], 2
	v_xor_b32_e32 v111, 4, v95
	s_add_nc_u64 s[26:27], s[8:9], s[26:27]
	v_add_nc_u32_e32 v118, 0x1000, v83
	v_fma_mix_f32 v21, s24, v21, v24 op_sel_hi:[0,0,1]
	v_cndmask_b32_e32 v20, v95, v110, vcc_lo
	v_cmp_gt_i32_e32 vcc_lo, 32, v109
	s_delay_alu instid0(VALU_DEP_3) | instskip(NEXT) | instid1(VALU_DEP_3)
	v_dual_add_f32 v22, 0x40051340, v19 :: v_dual_add_f32 v23, 0x40051340, v21
	v_lshlrev_b32_e32 v20, 2, v20
	s_delay_alu instid0(VALU_DEP_2)
	v_max3_num_f32 v22, v18, v22, v23
	v_cndmask_b32_e32 v23, v95, v109, vcc_lo
	v_cmp_gt_i32_e32 vcc_lo, 32, v111
	ds_bpermute_b32 v20, v20, v22
	s_wait_dscnt 0x0
	v_dual_max_num_f32 v20, v20, v20 :: v_dual_lshlrev_b32 v23, 2, v23
	s_delay_alu instid0(VALU_DEP_1) | instskip(SKIP_3) | instid1(VALU_DEP_1)
	v_max_num_f32_e32 v20, v22, v20
	ds_bpermute_b32 v22, v23, v20
	s_wait_dscnt 0x0
	v_dual_cndmask_b32 v23, v95, v111 :: v_dual_max_num_f32 v22, v22, v22
	v_dual_max_num_f32 v20, v20, v22 :: v_dual_lshlrev_b32 v23, 2, v23
	ds_bpermute_b32 v22, v23, v20
	s_wait_dscnt 0x0
	v_dual_max_num_f32 v22, v22, v22 :: v_dual_bitop2_b32 v112, 2, v95 bitop3:0x14
	s_delay_alu instid0(VALU_DEP_1) | instskip(NEXT) | instid1(VALU_DEP_2)
	v_cmp_gt_i32_e32 vcc_lo, 32, v112
	v_dual_max_num_f32 v20, v20, v22 :: v_dual_cndmask_b32 v23, v95, v112
	s_delay_alu instid0(VALU_DEP_1) | instskip(SKIP_3) | instid1(VALU_DEP_1)
	v_lshlrev_b32_e32 v23, 2, v23
	ds_bpermute_b32 v22, v23, v20
	s_wait_dscnt 0x0
	v_dual_max_num_f32 v22, v22, v22 :: v_dual_bitop2_b32 v113, 1, v95 bitop3:0x14
	v_max_num_f32_e32 v20, v20, v22
	s_delay_alu instid0(VALU_DEP_2) | instskip(SKIP_1) | instid1(VALU_DEP_1)
	v_cmp_gt_i32_e32 vcc_lo, 32, v113
	v_cndmask_b32_e32 v23, v95, v113, vcc_lo
	v_lshlrev_b32_e32 v23, 2, v23
	ds_bpermute_b32 v22, v23, v20
	s_wait_dscnt 0x0
	v_max_num_f32_e32 v22, v22, v22
	s_delay_alu instid0(VALU_DEP_1) | instskip(NEXT) | instid1(VALU_DEP_1)
	v_max_num_f32_e32 v82, v20, v22
	v_dual_sub_f32 v20, v19, v82 :: v_dual_sub_f32 v19, v21, v82
	s_delay_alu instid0(VALU_DEP_1) | instskip(NEXT) | instid1(VALU_DEP_2)
	v_dual_sub_f32 v18, v18, v82 :: v_dual_mul_f32 v21, 0x3fb8aa3b, v20
	v_mul_f32_e32 v22, 0x3fb8aa3b, v19
	v_cmp_ngt_f32_e32 vcc_lo, 0xc2ce8ed0, v20
	s_delay_alu instid0(VALU_DEP_3) | instskip(SKIP_1) | instid1(VALU_DEP_4)
	v_fma_f32 v23, 0x3fb8aa3b, v20, -v21
	v_rndne_f32_e32 v24, v21
	v_rndne_f32_e32 v26, v22
	v_fma_f32 v25, 0x3fb8aa3b, v19, -v22
	s_delay_alu instid0(VALU_DEP_4) | instskip(NEXT) | instid1(VALU_DEP_3)
	v_fmac_f32_e32 v23, 0x32a5705f, v20
	v_dual_sub_f32 v21, v21, v24 :: v_dual_sub_f32 v22, v22, v26
	v_cvt_i32_f32_e32 v24, v24
	v_cvt_i32_f32_e32 v26, v26
	s_delay_alu instid0(VALU_DEP_3) | instskip(NEXT) | instid1(VALU_DEP_1)
	v_add_f32_e32 v21, v21, v23
	v_exp_f32_e32 v21, v21
	v_nop
	s_delay_alu instid0(TRANS32_DEP_1) | instskip(NEXT) | instid1(VALU_DEP_1)
	v_ldexp_f32 v21, v21, v24
	v_cndmask_b32_e32 v21, 0, v21, vcc_lo
	v_cmp_ngt_f32_e32 vcc_lo, 0xc2ce8ed0, v19
	v_fmac_f32_e32 v25, 0x32a5705f, v19
	s_delay_alu instid0(VALU_DEP_1) | instskip(NEXT) | instid1(VALU_DEP_1)
	v_add_f32_e32 v22, v22, v25
	v_exp_f32_e32 v22, v22
	v_nop
	s_delay_alu instid0(TRANS32_DEP_1) | instskip(NEXT) | instid1(VALU_DEP_1)
	v_ldexp_f32 v22, v22, v26
	v_cndmask_b32_e32 v22, 0, v22, vcc_lo
	v_cmp_nlt_f32_e32 vcc_lo, 0x42b17218, v20
	v_cndmask_b32_e32 v114, 0x7f800000, v21, vcc_lo
	v_cmp_nlt_f32_e32 vcc_lo, 0x42b17218, v19
	s_delay_alu instid0(VALU_DEP_2) | instskip(SKIP_3) | instid1(VALU_DEP_3)
	v_cvt_f16_f32_e32 v21, v114
	v_cndmask_b32_e32 v115, 0x7f800000, v22, vcc_lo
	v_cmp_ngt_f32_e32 vcc_lo, 0xc2ce8ed0, v18
	v_mul_f32_e32 v23, 0x3fb8aa3b, v18
	v_cvt_f16_f32_e32 v22, v115
	ds_store_b16 v104, v21
	ds_store_b16 v104, v22 offset:64
	s_wait_loadcnt 0x3
	ds_store_b128 v102, v[0:3]
	s_wait_loadcnt 0x2
	ds_store_b128 v105, v[4:7]
	;; [unrolled: 2-line block ×4, first 2 shown]
	v_fma_f32 v25, 0x3fb8aa3b, v18, -v23
	v_rndne_f32_e32 v27, v23
	s_wait_dscnt 0x0
	s_barrier_signal -1
	s_barrier_wait -1
	s_delay_alu instid0(VALU_DEP_1)
	v_sub_f32_e32 v23, v23, v27
	ds_load_b128 v[2:5], v100
	v_fmac_f32_e32 v25, 0x32a5705f, v18
	v_cvt_i32_f32_e32 v20, v27
	ds_load_2addr_b64 v[12:15], v83 offset1:32
	v_add_nc_u64_e32 v[0:1], s[26:27], v[74:75]
	v_add_nc_u64_e32 v[8:9], s[26:27], v[78:79]
	v_add_f32_e32 v23, v23, v25
	v_add_nc_u64_e32 v[6:7], s[26:27], v[76:77]
	s_delay_alu instid0(VALU_DEP_2) | instskip(NEXT) | instid1(VALU_DEP_4)
	v_exp_f32_e32 v19, v23
	v_add_nc_u64_e32 v[84:85], v[0:1], v[66:67]
	s_delay_alu instid0(VALU_DEP_4) | instskip(NEXT) | instid1(VALU_DEP_3)
	v_add_nc_u64_e32 v[88:89], v[8:9], v[66:67]
	v_add_nc_u64_e32 v[86:87], v[6:7], v[66:67]
	s_delay_alu instid0(TRANS32_DEP_1) | instskip(NEXT) | instid1(VALU_DEP_1)
	v_ldexp_f32 v19, v19, v20
	v_cndmask_b32_e32 v10, 0, v19, vcc_lo
	v_cmp_nlt_f32_e32 vcc_lo, 0x42b17218, v18
	s_delay_alu instid0(VALU_DEP_2) | instskip(SKIP_2) | instid1(VALU_DEP_3)
	v_cndmask_b32_e32 v116, 0x7f800000, v10, vcc_lo
	v_add_nc_u64_e32 v[10:11], s[26:27], v[80:81]
	v_add_nc_u32_e32 v119, 0x800, v83
	v_cvt_f16_f32_e32 v18, v116
	s_delay_alu instid0(VALU_DEP_3)
	v_add_nc_u64_e32 v[90:91], v[10:11], v[66:67]
	ds_load_b128 v[8:11], v100 offset:16
	s_wait_dscnt 0x2
	v_and_b32_e32 v1, 0xffff, v2
	v_and_b32_e32 v0, 0xffff, v18
	ds_load_2addr_b64 v[32:35], v83 offset0:64 offset1:96
	ds_load_2addr_b64 v[120:123], v83 offset0:128 offset1:160
	;; [unrolled: 1-line block ×3, first 2 shown]
	ds_load_2addr_b64 v[44:47], v119 offset1:32
	v_lshrrev_b32_e32 v2, 16, v2
	v_and_b32_e32 v7, 0xffff, v3
	v_mul_u32_u24_e32 v1, 0x10001, v1
	v_mul_u32_u24_e32 v0, 0x10001, v0
	ds_load_2addr_b64 v[36:39], v119 offset0:64 offset1:96
	ds_load_2addr_b64 v[20:23], v119 offset0:128 offset1:160
	v_mul_u32_u24_e32 v2, 0x10001, v2
	v_mul_u32_u24_e32 v7, 0x10001, v7
	s_wait_dscnt 0x7
	v_pk_mul_f16 v6, v12, v1
	v_pk_mul_f16 v1, v13, v1
	v_lshrrev_b32_e32 v12, 16, v3
	ds_load_2addr_b64 v[28:31], v119 offset0:192 offset1:224
	ds_load_2addr_b64 v[40:43], v118 offset1:32
	v_pk_fma_f16 v6, v17, v0, v6
	v_pk_fma_f16 v0, v16, v0, v1
	v_mul_u32_u24_e32 v12, 0x10001, v12
	s_delay_alu instid0(VALU_DEP_3) | instskip(NEXT) | instid1(VALU_DEP_3)
	v_pk_fma_f16 v6, v14, v2, v6
	v_pk_fma_f16 v13, v15, v2, v0
	v_and_b32_e32 v14, 0xffff, v4
	v_lshrrev_b32_e32 v4, 16, v4
	ds_load_b128 v[24:27], v100 offset:32
	ds_load_b128 v[0:3], v100 offset:48
	s_wait_dscnt 0x9
	v_pk_fma_f16 v6, v32, v7, v6
	v_pk_fma_f16 v7, v33, v7, v13
	v_mul_u32_u24_e32 v13, 0x10001, v14
	v_mul_u32_u24_e32 v4, 0x10001, v4
	ds_load_2addr_b64 v[48:51], v118 offset0:64 offset1:96
	v_pk_fma_f16 v6, v34, v12, v6
	v_pk_fma_f16 v7, v35, v12, v7
	v_and_b32_e32 v12, 0xffff, v5
	v_lshrrev_b32_e32 v5, 16, v5
	ds_load_2addr_b64 v[52:55], v118 offset0:128 offset1:160
	s_wait_dscnt 0xa
	v_pk_fma_f16 v6, v120, v13, v6
	v_pk_fma_f16 v7, v121, v13, v7
	v_mul_u32_u24_e32 v12, 0x10001, v12
	ds_load_2addr_b64 v[56:59], v118 offset0:192 offset1:224
	ds_load_2addr_b64 v[32:35], v117 offset1:32
	ds_load_2addr_b64 v[16:19], v117 offset0:64 offset1:96
	v_pk_fma_f16 v6, v122, v4, v6
	v_pk_fma_f16 v4, v123, v4, v7
	v_and_b32_e32 v123, 0xffff, v8
	v_lshrrev_b32_e32 v8, 16, v8
	v_mul_u32_u24_e32 v120, 0x10001, v5
	s_wait_dscnt 0xc
	v_pk_fma_f16 v121, v124, v12, v6
	v_pk_fma_f16 v122, v125, v12, v4
	ds_load_2addr_b64 v[12:15], v117 offset0:128 offset1:160
	v_mul_u32_u24_e32 v8, 0x10001, v8
	ds_load_2addr_b64 v[4:7], v117 offset0:192 offset1:224
	v_pk_fma_f16 v121, v126, v120, v121
	v_pk_fma_f16 v120, v127, v120, v122
	v_mul_u32_u24_e32 v122, 0x10001, v123
	s_wait_dscnt 0x0
	s_barrier_signal -1
	s_barrier_wait -1
	s_delay_alu instid0(VALU_DEP_1)
	v_pk_fma_f16 v44, v44, v122, v121
	v_pk_fma_f16 v45, v45, v122, v120
	s_clause 0x1
	global_load_b128 v[120:123], v[84:85], off
	global_load_b128 v[84:87], v[86:87], off
	v_and_b32_e32 v125, 0xffff, v9
	v_lshrrev_b32_e32 v9, 16, v9
	v_pk_fma_f16 v124, v46, v8, v44
	v_pk_fma_f16 v8, v47, v8, v45
	s_clause 0x1
	global_load_b128 v[44:47], v[88:89], off
	global_load_b128 v[88:91], v[90:91], off
	v_mul_u32_u24_e32 v125, 0x10001, v125
	v_mul_u32_u24_e32 v9, 0x10001, v9
	s_wait_loadcnt 0x3
	ds_store_b128 v102, v[120:123]
	s_wait_loadcnt 0x2
	ds_store_b128 v105, v[84:87]
	;; [unrolled: 2-line block ×4, first 2 shown]
	v_pk_fma_f16 v36, v36, v125, v124
	v_pk_fma_f16 v8, v37, v125, v8
	v_and_b32_e32 v37, 0xffff, v10
	s_wait_dscnt 0x0
	s_barrier_signal -1
	v_pk_fma_f16 v36, v38, v9, v36
	v_pk_fma_f16 v8, v39, v9, v8
	v_lshrrev_b32_e32 v9, 16, v10
	v_mul_u32_u24_e32 v10, 0x10001, v37
	v_and_b32_e32 v37, 0xffff, v11
	v_lshrrev_b32_e32 v11, 16, v11
	s_barrier_wait -1
	v_mul_u32_u24_e32 v9, 0x10001, v9
	v_pk_fma_f16 v20, v20, v10, v36
	v_pk_fma_f16 v8, v21, v10, v8
	v_mul_u32_u24_e32 v36, 0x10001, v37
	v_mul_u32_u24_e32 v11, 0x10001, v11
	v_and_b32_e32 v21, 0xffff, v25
	v_pk_fma_f16 v10, v22, v9, v20
	v_pk_fma_f16 v8, v23, v9, v8
	v_and_b32_e32 v20, 0xffff, v24
	s_delay_alu instid0(VALU_DEP_4) | instskip(NEXT) | instid1(VALU_DEP_4)
	v_mul_u32_u24_e32 v21, 0x10001, v21
	v_pk_fma_f16 v9, v28, v36, v10
	s_delay_alu instid0(VALU_DEP_4) | instskip(SKIP_2) | instid1(VALU_DEP_4)
	v_pk_fma_f16 v8, v29, v36, v8
	v_lshrrev_b32_e32 v10, 16, v24
	v_mul_u32_u24_e32 v20, 0x10001, v20
	v_pk_fma_f16 v9, v30, v11, v9
	s_delay_alu instid0(VALU_DEP_4) | instskip(SKIP_2) | instid1(VALU_DEP_4)
	v_pk_fma_f16 v8, v31, v11, v8
	v_lshrrev_b32_e32 v11, 16, v25
	v_mul_u32_u24_e32 v10, 0x10001, v10
	v_pk_fma_f16 v9, v40, v20, v9
	s_delay_alu instid0(VALU_DEP_4) | instskip(SKIP_2) | instid1(VALU_DEP_4)
	v_pk_fma_f16 v8, v41, v20, v8
	v_and_b32_e32 v20, 0xffff, v26
	v_mul_u32_u24_e32 v11, 0x10001, v11
	v_pk_fma_f16 v9, v42, v10, v9
	s_delay_alu instid0(VALU_DEP_4) | instskip(SKIP_2) | instid1(VALU_DEP_4)
	v_pk_fma_f16 v8, v43, v10, v8
	v_lshrrev_b32_e32 v10, 16, v26
	v_mul_u32_u24_e32 v20, 0x10001, v20
	v_pk_fma_f16 v9, v48, v21, v9
	s_delay_alu instid0(VALU_DEP_4) | instskip(SKIP_1) | instid1(VALU_DEP_3)
	v_pk_fma_f16 v8, v49, v21, v8
	v_and_b32_e32 v21, 0xffff, v27
	v_pk_fma_f16 v9, v50, v11, v9
	s_delay_alu instid0(VALU_DEP_3)
	v_pk_fma_f16 v8, v51, v11, v8
	v_lshrrev_b32_e32 v11, 16, v27
	v_mul_u32_u24_e32 v10, 0x10001, v10
	v_mul_u32_u24_e32 v21, 0x10001, v21
	v_pk_fma_f16 v9, v52, v20, v9
	v_pk_fma_f16 v8, v53, v20, v8
	v_and_b32_e32 v20, 0xffff, v0
	v_mul_u32_u24_e32 v11, 0x10001, v11
	v_lshrrev_b32_e32 v0, 16, v0
	v_pk_fma_f16 v9, v54, v10, v9
	v_pk_fma_f16 v8, v55, v10, v8
	v_mul_u32_u24_e32 v10, 0x10001, v20
	v_and_b32_e32 v20, 0xffff, v1
	v_lshrrev_b32_e32 v1, 16, v1
	v_pk_fma_f16 v9, v56, v21, v9
	v_pk_fma_f16 v8, v57, v21, v8
	v_mul_u32_u24_e32 v0, 0x10001, v0
	v_mul_u32_u24_e32 v24, 0x10001, v20
	v_mul_u32_u24_e32 v1, 0x10001, v1
	v_pk_fma_f16 v9, v58, v11, v9
	v_pk_fma_f16 v8, v59, v11, v8
	v_and_b32_e32 v11, 0xffff, v2
	ds_load_b128 v[20:23], v100 offset:64
	v_lshrrev_b32_e32 v2, 16, v2
	v_pk_fma_f16 v9, v32, v10, v9
	v_pk_fma_f16 v8, v33, v10, v8
	v_mul_u32_u24_e32 v10, 0x10001, v11
	s_delay_alu instid0(VALU_DEP_3) | instskip(NEXT) | instid1(VALU_DEP_3)
	v_pk_fma_f16 v9, v34, v0, v9
	v_pk_fma_f16 v0, v35, v0, v8
	s_delay_alu instid0(VALU_DEP_2) | instskip(NEXT) | instid1(VALU_DEP_2)
	v_pk_fma_f16 v8, v16, v24, v9
	v_pk_fma_f16 v0, v17, v24, v0
	v_and_b32_e32 v9, 0xffff, v3
	s_delay_alu instid0(VALU_DEP_3) | instskip(NEXT) | instid1(VALU_DEP_3)
	v_pk_fma_f16 v8, v18, v1, v8
	v_pk_fma_f16 v16, v19, v1, v0
	s_delay_alu instid0(VALU_DEP_3)
	v_mul_u32_u24_e32 v17, 0x10001, v9
	s_wait_dscnt 0x0
	v_and_b32_e32 v19, 0xffff, v20
	v_pk_fma_f16 v8, v12, v10, v8
	v_lshrrev_b32_e32 v12, 16, v3
	v_mul_u32_u24_e32 v11, 0x10001, v2
	ds_load_2addr_b64 v[0:3], v83 offset1:32
	v_pk_fma_f16 v9, v13, v10, v16
	v_mul_u32_u24_e32 v19, 0x10001, v19
	v_mul_u32_u24_e32 v16, 0x10001, v12
	v_pk_fma_f16 v8, v14, v11, v8
	s_delay_alu instid0(VALU_DEP_4) | instskip(NEXT) | instid1(VALU_DEP_2)
	v_pk_fma_f16 v18, v15, v11, v9
	v_pk_fma_f16 v4, v4, v17, v8
	ds_load_2addr_b64 v[12:15], v83 offset0:64 offset1:96
	ds_load_b128 v[8:11], v100 offset:80
	v_pk_fma_f16 v5, v5, v17, v18
	v_lshrrev_b32_e32 v18, 16, v20
	v_and_b32_e32 v20, 0xffff, v21
	v_pk_fma_f16 v17, v6, v16, v4
	ds_load_2addr_b64 v[24:27], v118 offset0:64 offset1:96
	v_pk_fma_f16 v16, v7, v16, v5
	ds_load_2addr_b64 v[4:7], v83 offset0:128 offset1:160
	s_wait_dscnt 0x4
	v_pk_fma_f16 v0, v0, v19, v17
	v_pk_fma_f16 v1, v1, v19, v16
	v_lshrrev_b32_e32 v16, 16, v21
	v_mul_u32_u24_e32 v18, 0x10001, v18
	v_mul_u32_u24_e32 v17, 0x10001, v20
	v_and_b32_e32 v20, 0xffff, v22
	s_delay_alu instid0(VALU_DEP_4) | instskip(NEXT) | instid1(VALU_DEP_4)
	v_mul_u32_u24_e32 v16, 0x10001, v16
	v_pk_fma_f16 v19, v2, v18, v0
	v_pk_fma_f16 v18, v3, v18, v1
	ds_load_2addr_b64 v[0:3], v83 offset0:192 offset1:224
	s_wait_dscnt 0x3
	v_and_b32_e32 v21, 0xffff, v9
	v_lshrrev_b32_e32 v9, 16, v9
	v_pk_fma_f16 v12, v12, v17, v19
	v_pk_fma_f16 v13, v13, v17, v18
	v_lshrrev_b32_e32 v17, 16, v22
	v_mul_u32_u24_e32 v18, 0x10001, v20
	v_and_b32_e32 v20, 0xffff, v23
	v_pk_fma_f16 v19, v14, v16, v12
	v_pk_fma_f16 v16, v15, v16, v13
	ds_load_2addr_b64 v[12:15], v119 offset1:32
	v_and_b32_e32 v22, 0xffff, v10
	v_mul_u32_u24_e32 v9, 0x10001, v9
	s_wait_dscnt 0x2
	v_pk_fma_f16 v4, v4, v18, v19
	v_pk_fma_f16 v5, v5, v18, v16
	v_lshrrev_b32_e32 v16, 16, v23
	v_mul_u32_u24_e32 v17, 0x10001, v17
	v_mul_u32_u24_e32 v18, 0x10001, v20
	v_and_b32_e32 v20, 0xffff, v8
	v_lshrrev_b32_e32 v8, 16, v8
	v_mul_u32_u24_e32 v16, 0x10001, v16
	v_pk_fma_f16 v19, v6, v17, v4
	v_pk_fma_f16 v17, v7, v17, v5
	ds_load_2addr_b64 v[4:7], v119 offset0:64 offset1:96
	v_mul_u32_u24_e32 v20, 0x10001, v20
	v_mul_u32_u24_e32 v8, 0x10001, v8
	s_wait_dscnt 0x2
	v_pk_fma_f16 v0, v0, v18, v19
	v_pk_fma_f16 v1, v1, v18, v17
	s_delay_alu instid0(VALU_DEP_2) | instskip(NEXT) | instid1(VALU_DEP_2)
	v_pk_fma_f16 v0, v2, v16, v0
	v_pk_fma_f16 v1, v3, v16, v1
	ds_load_2addr_b64 v[16:19], v119 offset0:128 offset1:160
	s_wait_dscnt 0x2
	v_pk_fma_f16 v12, v12, v20, v0
	v_pk_fma_f16 v13, v13, v20, v1
	v_mul_u32_u24_e32 v20, 0x10001, v21
	ds_load_b128 v[0:3], v100 offset:96
	v_pk_fma_f16 v21, v14, v8, v12
	v_pk_fma_f16 v8, v15, v8, v13
	ds_load_2addr_b64 v[12:15], v119 offset0:192 offset1:224
	s_wait_dscnt 0x3
	v_pk_fma_f16 v4, v4, v20, v21
	v_pk_fma_f16 v5, v5, v20, v8
	v_lshrrev_b32_e32 v8, 16, v10
	v_mul_u32_u24_e32 v10, 0x10001, v22
	ds_load_2addr_b64 v[20:23], v118 offset1:32
	v_pk_fma_f16 v4, v6, v9, v4
	v_pk_fma_f16 v5, v7, v9, v5
	v_and_b32_e32 v6, 0xffff, v11
	v_mul_u32_u24_e32 v7, 0x10001, v8
	v_lshrrev_b32_e32 v8, 16, v11
	s_wait_dscnt 0x3
	v_pk_fma_f16 v4, v16, v10, v4
	v_pk_fma_f16 v5, v17, v10, v5
	v_mul_u32_u24_e32 v9, 0x10001, v6
	v_mul_u32_u24_e32 v8, 0x10001, v8
	s_delay_alu instid0(VALU_DEP_4) | instskip(NEXT) | instid1(VALU_DEP_4)
	v_pk_fma_f16 v10, v18, v7, v4
	v_pk_fma_f16 v11, v19, v7, v5
	ds_load_b128 v[4:7], v100 offset:112
	s_wait_dscnt 0x3
	v_and_b32_e32 v16, 0xffff, v0
	v_lshrrev_b32_e32 v0, 16, v0
	s_wait_dscnt 0x2
	v_pk_fma_f16 v10, v12, v9, v10
	v_pk_fma_f16 v9, v13, v9, v11
	v_mul_u32_u24_e32 v12, 0x10001, v16
	v_mul_u32_u24_e32 v0, 0x10001, v0
	s_delay_alu instid0(VALU_DEP_4) | instskip(NEXT) | instid1(VALU_DEP_4)
	v_pk_fma_f16 v13, v14, v8, v10
	v_pk_fma_f16 v14, v15, v8, v9
	ds_load_2addr_b64 v[8:11], v118 offset0:128 offset1:160
	v_and_b32_e32 v15, 0xffff, v1
	v_lshrrev_b32_e32 v1, 16, v1
	s_wait_dscnt 0x2
	v_pk_fma_f16 v13, v20, v12, v13
	v_pk_fma_f16 v12, v21, v12, v14
	v_and_b32_e32 v20, 0xffff, v2
	v_mul_u32_u24_e32 v16, 0x10001, v15
	v_mul_u32_u24_e32 v1, 0x10001, v1
	v_pk_fma_f16 v17, v22, v0, v13
	v_pk_fma_f16 v0, v23, v0, v12
	ds_load_2addr_b64 v[12:15], v118 offset0:192 offset1:224
	v_lshrrev_b32_e32 v2, 16, v2
	v_pk_fma_f16 v21, v24, v16, v17
	v_pk_fma_f16 v0, v25, v16, v0
	v_mul_u32_u24_e32 v24, 0x10001, v20
	ds_load_2addr_b64 v[16:19], v117 offset1:32
	v_pk_fma_f16 v25, v26, v1, v21
	v_pk_fma_f16 v0, v27, v1, v0
	v_and_b32_e32 v1, 0xffff, v3
	v_lshrrev_b32_e32 v3, 16, v3
	v_mul_u32_u24_e32 v2, 0x10001, v2
	s_wait_dscnt 0x2
	v_pk_fma_f16 v8, v8, v24, v25
	v_pk_fma_f16 v0, v9, v24, v0
	v_mul_u32_u24_e32 v1, 0x10001, v1
	ds_load_2addr_b64 v[20:23], v117 offset0:64 offset1:96
	v_mul_u32_u24_e32 v3, 0x10001, v3
	v_pk_fma_f16 v28, v10, v2, v8
	v_pk_fma_f16 v0, v11, v2, v0
	v_and_b32_e32 v2, 0xffff, v4
	ds_load_2addr_b64 v[24:27], v117 offset0:128 offset1:160
	ds_load_2addr_b64 v[8:11], v117 offset0:192 offset1:224
	s_wait_dscnt 0x4
	v_pk_fma_f16 v12, v12, v1, v28
	v_pk_fma_f16 v0, v13, v1, v0
	v_lshrrev_b32_e32 v1, 16, v4
	v_mul_u32_u24_e32 v2, 0x10001, v2
	s_wait_dscnt 0x0
	v_pk_fma_f16 v4, v14, v3, v12
	v_pk_fma_f16 v0, v15, v3, v0
	v_and_b32_e32 v3, 0xffff, v5
	s_barrier_signal -1
	s_barrier_wait -1
	v_pk_fma_f16 v4, v16, v2, v4
	v_pk_fma_f16 v0, v17, v2, v0
	v_lshrrev_b32_e32 v2, 16, v5
	v_mul_u32_u24_e32 v1, 0x10001, v1
	v_mul_u32_u24_e32 v3, 0x10001, v3
	s_load_b32 s5, s[20:21], 0x4
	s_delay_alu instid0(VALU_DEP_3) | instskip(NEXT) | instid1(VALU_DEP_3)
	v_mul_u32_u24_e32 v2, 0x10001, v2
	v_pk_fma_f16 v4, v18, v1, v4
	v_pk_fma_f16 v0, v19, v1, v0
	v_and_b32_e32 v1, 0xffff, v6
	s_delay_alu instid0(VALU_DEP_3) | instskip(NEXT) | instid1(VALU_DEP_3)
	v_pk_fma_f16 v4, v20, v3, v4
	v_pk_fma_f16 v0, v21, v3, v0
	v_lshrrev_b32_e32 v3, 16, v6
	s_delay_alu instid0(VALU_DEP_4) | instskip(NEXT) | instid1(VALU_DEP_4)
	v_mul_u32_u24_e32 v1, 0x10001, v1
	v_pk_fma_f16 v4, v22, v2, v4
	s_delay_alu instid0(VALU_DEP_4) | instskip(SKIP_1) | instid1(VALU_DEP_3)
	v_pk_fma_f16 v0, v23, v2, v0
	v_and_b32_e32 v2, 0xffff, v7
	v_pk_fma_f16 v4, v24, v1, v4
	s_delay_alu instid0(VALU_DEP_3)
	v_pk_fma_f16 v0, v25, v1, v0
	v_lshrrev_b32_e32 v1, 16, v7
	v_mul_u32_u24_e32 v3, 0x10001, v3
	v_mul_u32_u24_e32 v2, 0x10001, v2
	s_wait_kmcnt 0x0
	s_lshl_b32 s5, s5, 6
	v_mul_u32_u24_e32 v1, 0x10001, v1
	v_pk_fma_f16 v4, v26, v3, v4
	v_pk_fma_f16 v3, v27, v3, v0
	v_add_f32_e32 v0, v114, v115
	s_add_co_i32 s4, s5, s4
	s_delay_alu instid0(VALU_DEP_3) | instskip(NEXT) | instid1(VALU_DEP_3)
	v_pk_fma_f16 v4, v8, v2, v4
	v_pk_fma_f16 v2, v9, v2, v3
	s_delay_alu instid0(VALU_DEP_3) | instskip(SKIP_1) | instid1(VALU_DEP_3)
	v_fmac_f32_e32 v0, v108, v116
	s_cmp_ge_i32 s4, s28
	v_pk_fma_f16 v17, v10, v1, v4
	s_delay_alu instid0(VALU_DEP_3)
	v_pk_fma_f16 v16, v11, v1, v2
	s_cbranch_scc1 .LBB79_19
; %bb.18:                               ;   in Loop: Header=BB79_9 Depth=1
	v_dual_mov_b32 v18, v82 :: v_dual_mov_b32 v108, v0
	s_branch .LBB79_9
.LBB79_19:
	v_dual_mov_b32 v1, 32 :: v_dual_mov_b32 v3, v95
.LBB79_20:
	s_delay_alu instid0(VALU_DEP_1)
	v_cmp_lt_i32_e32 vcc_lo, v110, v1
	s_cmp_lg_u64 s[12:13], 0
	s_cselect_b32 s3, -1, 0
	s_cmp_eq_u32 s29, 0
	v_cndmask_b32_e32 v2, v3, v110, vcc_lo
	v_cmp_lt_i32_e32 vcc_lo, v109, v1
	s_cselect_b32 s4, -1, 0
	s_delay_alu instid0(SALU_CYCLE_1) | instskip(NEXT) | instid1(VALU_DEP_2)
	s_and_b32 s3, s4, s3
	v_dual_cndmask_b32 v4, v3, v109, vcc_lo :: v_dual_lshlrev_b32 v2, 2, v2
	v_cmp_lt_i32_e32 vcc_lo, v111, v1
	s_delay_alu instid0(VALU_DEP_2)
	v_lshlrev_b32_e32 v4, 2, v4
	ds_bpermute_b32 v2, v2, v0
	s_wait_dscnt 0x0
	v_add_f32_e32 v0, v0, v2
	ds_bpermute_b32 v2, v4, v0
	v_cndmask_b32_e32 v4, v3, v111, vcc_lo
	v_cmp_lt_i32_e32 vcc_lo, v112, v1
	s_wait_dscnt 0x0
	s_delay_alu instid0(VALU_DEP_2)
	v_dual_lshlrev_b32 v4, 2, v4 :: v_dual_add_f32 v0, v0, v2
	ds_bpermute_b32 v2, v4, v0
	v_cndmask_b32_e32 v4, v3, v112, vcc_lo
	v_cmp_lt_i32_e32 vcc_lo, v113, v1
	v_cndmask_b32_e32 v1, v3, v113, vcc_lo
	s_and_b32 vcc_lo, exec_lo, s3
	s_wait_dscnt 0x0
	v_dual_add_f32 v0, v0, v2 :: v_dual_lshlrev_b32 v4, 2, v4
	ds_bpermute_b32 v2, v4, v0
	s_wait_dscnt 0x0
	v_dual_add_f32 v0, v0, v2 :: v_dual_lshlrev_b32 v1, 2, v1
	ds_bpermute_b32 v1, v1, v0
	s_wait_dscnt 0x0
	v_dual_add_f32 v83, v0, v1 :: v_dual_add_nc_u32 v2, s33, v60
	s_cbranch_vccz .LBB79_22
; %bb.21:
	global_load_b32 v1, v2, s[12:13] scale_offset
	s_wait_loadcnt 0x0
	v_dual_max_num_f32 v0, v82, v82 :: v_dual_max_num_f32 v3, v1, v1
	s_delay_alu instid0(VALU_DEP_1) | instskip(NEXT) | instid1(VALU_DEP_1)
	v_max_num_f32_e32 v0, v0, v3
	v_sub_f32_e32 v1, v1, v0
	s_delay_alu instid0(VALU_DEP_1) | instskip(SKIP_1) | instid1(VALU_DEP_2)
	v_mul_f32_e32 v7, 0x3fb8aa3b, v1
	v_sub_f32_e32 v3, v82, v0
	v_rndne_f32_e32 v9, v7
	s_delay_alu instid0(VALU_DEP_2) | instskip(NEXT) | instid1(VALU_DEP_1)
	v_mul_f32_e32 v4, 0x3fb8aa3b, v3
	v_fma_f32 v5, 0x3fb8aa3b, v3, -v4
	v_rndne_f32_e32 v6, v4
	s_delay_alu instid0(VALU_DEP_1) | instskip(SKIP_2) | instid1(VALU_DEP_3)
	v_dual_sub_f32 v4, v4, v6 :: v_dual_fmac_f32 v5, 0x32a5705f, v3
	v_cvt_i32_f32_e32 v6, v6
	v_cmp_ngt_f32_e32 vcc_lo, 0xc2ce8ed0, v3
	v_add_f32_e32 v4, v4, v5
	v_fma_f32 v8, 0x3fb8aa3b, v1, -v7
	v_sub_f32_e32 v5, v7, v9
	s_delay_alu instid0(VALU_DEP_3) | instskip(NEXT) | instid1(VALU_DEP_2)
	v_exp_f32_e32 v4, v4
	v_fmac_f32_e32 v8, 0x32a5705f, v1
	s_delay_alu instid0(TRANS32_DEP_1) | instskip(SKIP_1) | instid1(VALU_DEP_2)
	v_ldexp_f32 v4, v4, v6
	v_cvt_i32_f32_e32 v6, v9
	v_cndmask_b32_e32 v4, 0, v4, vcc_lo
	v_cmp_nlt_f32_e32 vcc_lo, 0x42b17218, v3
	s_delay_alu instid0(VALU_DEP_2) | instskip(SKIP_2) | instid1(VALU_DEP_2)
	v_cndmask_b32_e32 v3, 0x7f800000, v4, vcc_lo
	v_add_f32_e32 v5, v5, v8
	v_cmp_ngt_f32_e32 vcc_lo, 0xc2ce8ed0, v1
	v_exp_f32_e32 v5, v5
	v_nop
	s_delay_alu instid0(TRANS32_DEP_1) | instskip(SKIP_1) | instid1(VALU_DEP_2)
	v_ldexp_f32 v4, v5, v6
	v_cvt_f16_f32_e32 v5, v3
	v_cndmask_b32_e32 v4, 0, v4, vcc_lo
	v_cmp_nlt_f32_e32 vcc_lo, 0x42b17218, v1
	s_delay_alu instid0(VALU_DEP_3) | instskip(NEXT) | instid1(VALU_DEP_3)
	v_and_b32_e32 v5, 0xffff, v5
	v_cndmask_b32_e32 v1, 0x7f800000, v4, vcc_lo
	s_delay_alu instid0(VALU_DEP_2) | instskip(NEXT) | instid1(VALU_DEP_2)
	v_mul_u32_u24_e32 v4, 0x10001, v5
	v_fmac_f32_e32 v1, v83, v3
	s_delay_alu instid0(VALU_DEP_2) | instskip(SKIP_1) | instid1(VALU_DEP_3)
	v_pk_mul_f16 v17, v17, v4
	v_pk_mul_f16 v16, v16, v4
	v_mov_b64_e32 v[82:83], v[0:1]
	s_branch .LBB79_23
.LBB79_22:
	s_delay_alu instid0(VALU_DEP_1)
	v_mov_b32_e32 v1, v83
.LBB79_23:
	s_delay_alu instid0(VALU_DEP_1) | instskip(SKIP_2) | instid1(VALU_DEP_3)
	v_div_scale_f32 v0, null, v1, v1, 1.0
	v_div_scale_f32 v5, vcc_lo, 1.0, v1, 1.0
	v_mad_u32 v6, s2, s22, v93
	v_rcp_f32_e32 v4, v0
	s_load_b32 s0, s[0:1], 0xd4
	v_nop
	s_delay_alu instid0(TRANS32_DEP_1) | instskip(NEXT) | instid1(VALU_DEP_3)
	v_fma_f32 v3, -v0, v4, 1.0
	v_mad_u32 v2, v6, s23, v2
	v_cvt_f32_f16_e32 v6, v16
	s_delay_alu instid0(VALU_DEP_3) | instskip(NEXT) | instid1(VALU_DEP_1)
	v_fmac_f32_e32 v4, v3, v4
	v_mul_f32_e32 v7, v5, v4
	s_wait_kmcnt 0x0
	s_cmp_lg_u32 s0, 1
	s_delay_alu instid0(VALU_DEP_1) | instskip(NEXT) | instid1(VALU_DEP_1)
	v_fma_f32 v3, -v0, v7, v5
	v_dual_fmac_f32 v7, v3, v4 :: v_dual_mov_b32 v3, 0
	s_delay_alu instid0(VALU_DEP_1) | instskip(SKIP_2) | instid1(VALU_DEP_2)
	v_fma_f32 v5, -v0, v7, v5
	v_mad_u32 v0, s0, v2, s29
	s_cselect_b32 s0, -1, 0
	v_div_fmas_f32 v2, v5, v4, v7
	v_dual_lshrrev_b32 v5, 16, v17 :: v_dual_lshrrev_b32 v7, 16, v16
	v_cvt_f32_f16_e32 v4, v17
	v_cmp_eq_u32_e32 vcc_lo, 0, v92
	s_delay_alu instid0(VALU_DEP_4) | instskip(NEXT) | instid1(VALU_DEP_4)
	v_div_fixup_f32 v1, v2, v1, 1.0
	v_cvt_f32_f16_e32 v5, v5
	v_lshl_add_u32 v2, v0, 7, v61
	v_cvt_f32_f16_e32 v7, v7
	s_delay_alu instid0(VALU_DEP_4) | instskip(SKIP_1) | instid1(VALU_DEP_3)
	v_cndmask_b32_e64 v8, v1, 1.0, s0
	s_and_b32 s0, vcc_lo, s0
	v_lshl_add_u64 v[10:11], v[2:3], 2, s[16:17]
	s_delay_alu instid0(VALU_DEP_2)
	v_pk_mul_f32 v[2:3], v[8:9], v[4:5] op_sel_hi:[0,1]
	v_pk_mul_f32 v[4:5], v[8:9], v[6:7] op_sel_hi:[0,1]
	global_store_b128 v[10:11], v[2:5], off
	s_wait_xcnt 0x0
	s_and_saveexec_b32 s1, s0
	s_cbranch_execz .LBB79_25
; %bb.24:
	global_store_b64 v0, v[82:83], s[18:19] scale_offset
.LBB79_25:
	s_sendmsg sendmsg(MSG_DEALLOC_VGPRS)
	s_endpgm
	.section	.rodata,"a",@progbits
	.p2align	6, 0x0
	.amdhsa_kernel _ZL15flash_attn_tileILi128ELi128ELi1ELi4ELb1EEvPKcS1_S1_S1_S1_PKiPfP15HIP_vector_typeIfLj2EEffffjfiS5_IjLj3EEiiiiiiiiiiiliiliiiiil
		.amdhsa_group_segment_fixed_size 10752
		.amdhsa_private_segment_fixed_size 0
		.amdhsa_kernarg_size 464
		.amdhsa_user_sgpr_count 2
		.amdhsa_user_sgpr_dispatch_ptr 0
		.amdhsa_user_sgpr_queue_ptr 0
		.amdhsa_user_sgpr_kernarg_segment_ptr 1
		.amdhsa_user_sgpr_dispatch_id 0
		.amdhsa_user_sgpr_kernarg_preload_length 0
		.amdhsa_user_sgpr_kernarg_preload_offset 0
		.amdhsa_user_sgpr_private_segment_size 0
		.amdhsa_wavefront_size32 1
		.amdhsa_uses_dynamic_stack 0
		.amdhsa_enable_private_segment 0
		.amdhsa_system_sgpr_workgroup_id_x 1
		.amdhsa_system_sgpr_workgroup_id_y 1
		.amdhsa_system_sgpr_workgroup_id_z 1
		.amdhsa_system_sgpr_workgroup_info 0
		.amdhsa_system_vgpr_workitem_id 1
		.amdhsa_next_free_vgpr 128
		.amdhsa_next_free_sgpr 43
		.amdhsa_named_barrier_count 0
		.amdhsa_reserve_vcc 1
		.amdhsa_float_round_mode_32 0
		.amdhsa_float_round_mode_16_64 0
		.amdhsa_float_denorm_mode_32 3
		.amdhsa_float_denorm_mode_16_64 3
		.amdhsa_fp16_overflow 0
		.amdhsa_memory_ordered 1
		.amdhsa_forward_progress 1
		.amdhsa_inst_pref_size 58
		.amdhsa_round_robin_scheduling 0
		.amdhsa_exception_fp_ieee_invalid_op 0
		.amdhsa_exception_fp_denorm_src 0
		.amdhsa_exception_fp_ieee_div_zero 0
		.amdhsa_exception_fp_ieee_overflow 0
		.amdhsa_exception_fp_ieee_underflow 0
		.amdhsa_exception_fp_ieee_inexact 0
		.amdhsa_exception_int_div_zero 0
	.end_amdhsa_kernel
	.section	.text._ZL15flash_attn_tileILi128ELi128ELi1ELi4ELb1EEvPKcS1_S1_S1_S1_PKiPfP15HIP_vector_typeIfLj2EEffffjfiS5_IjLj3EEiiiiiiiiiiiliiliiiiil,"axG",@progbits,_ZL15flash_attn_tileILi128ELi128ELi1ELi4ELb1EEvPKcS1_S1_S1_S1_PKiPfP15HIP_vector_typeIfLj2EEffffjfiS5_IjLj3EEiiiiiiiiiiiliiliiiiil,comdat
.Lfunc_end79:
	.size	_ZL15flash_attn_tileILi128ELi128ELi1ELi4ELb1EEvPKcS1_S1_S1_S1_PKiPfP15HIP_vector_typeIfLj2EEffffjfiS5_IjLj3EEiiiiiiiiiiiliiliiiiil, .Lfunc_end79-_ZL15flash_attn_tileILi128ELi128ELi1ELi4ELb1EEvPKcS1_S1_S1_S1_PKiPfP15HIP_vector_typeIfLj2EEffffjfiS5_IjLj3EEiiiiiiiiiiiliiliiiiil
                                        ; -- End function
	.set _ZL15flash_attn_tileILi128ELi128ELi1ELi4ELb1EEvPKcS1_S1_S1_S1_PKiPfP15HIP_vector_typeIfLj2EEffffjfiS5_IjLj3EEiiiiiiiiiiiliiliiiiil.num_vgpr, 128
	.set _ZL15flash_attn_tileILi128ELi128ELi1ELi4ELb1EEvPKcS1_S1_S1_S1_PKiPfP15HIP_vector_typeIfLj2EEffffjfiS5_IjLj3EEiiiiiiiiiiiliiliiiiil.num_agpr, 0
	.set _ZL15flash_attn_tileILi128ELi128ELi1ELi4ELb1EEvPKcS1_S1_S1_S1_PKiPfP15HIP_vector_typeIfLj2EEffffjfiS5_IjLj3EEiiiiiiiiiiiliiliiiiil.numbered_sgpr, 43
	.set _ZL15flash_attn_tileILi128ELi128ELi1ELi4ELb1EEvPKcS1_S1_S1_S1_PKiPfP15HIP_vector_typeIfLj2EEffffjfiS5_IjLj3EEiiiiiiiiiiiliiliiiiil.num_named_barrier, 0
	.set _ZL15flash_attn_tileILi128ELi128ELi1ELi4ELb1EEvPKcS1_S1_S1_S1_PKiPfP15HIP_vector_typeIfLj2EEffffjfiS5_IjLj3EEiiiiiiiiiiiliiliiiiil.private_seg_size, 0
	.set _ZL15flash_attn_tileILi128ELi128ELi1ELi4ELb1EEvPKcS1_S1_S1_S1_PKiPfP15HIP_vector_typeIfLj2EEffffjfiS5_IjLj3EEiiiiiiiiiiiliiliiiiil.uses_vcc, 1
	.set _ZL15flash_attn_tileILi128ELi128ELi1ELi4ELb1EEvPKcS1_S1_S1_S1_PKiPfP15HIP_vector_typeIfLj2EEffffjfiS5_IjLj3EEiiiiiiiiiiiliiliiiiil.uses_flat_scratch, 0
	.set _ZL15flash_attn_tileILi128ELi128ELi1ELi4ELb1EEvPKcS1_S1_S1_S1_PKiPfP15HIP_vector_typeIfLj2EEffffjfiS5_IjLj3EEiiiiiiiiiiiliiliiiiil.has_dyn_sized_stack, 0
	.set _ZL15flash_attn_tileILi128ELi128ELi1ELi4ELb1EEvPKcS1_S1_S1_S1_PKiPfP15HIP_vector_typeIfLj2EEffffjfiS5_IjLj3EEiiiiiiiiiiiliiliiiiil.has_recursion, 0
	.set _ZL15flash_attn_tileILi128ELi128ELi1ELi4ELb1EEvPKcS1_S1_S1_S1_PKiPfP15HIP_vector_typeIfLj2EEffffjfiS5_IjLj3EEiiiiiiiiiiiliiliiiiil.has_indirect_call, 0
	.section	.AMDGPU.csdata,"",@progbits
; Kernel info:
; codeLenInByte = 7416
; TotalNumSgprs: 45
; NumVgprs: 128
; ScratchSize: 0
; MemoryBound: 0
; FloatMode: 240
; IeeeMode: 1
; LDSByteSize: 10752 bytes/workgroup (compile time only)
; SGPRBlocks: 0
; VGPRBlocks: 7
; NumSGPRsForWavesPerEU: 45
; NumVGPRsForWavesPerEU: 128
; NamedBarCnt: 0
; Occupancy: 8
; WaveLimiterHint : 1
; COMPUTE_PGM_RSRC2:SCRATCH_EN: 0
; COMPUTE_PGM_RSRC2:USER_SGPR: 2
; COMPUTE_PGM_RSRC2:TRAP_HANDLER: 0
; COMPUTE_PGM_RSRC2:TGID_X_EN: 1
; COMPUTE_PGM_RSRC2:TGID_Y_EN: 1
; COMPUTE_PGM_RSRC2:TGID_Z_EN: 1
; COMPUTE_PGM_RSRC2:TIDIG_COMP_CNT: 1
	.section	.text._ZL15flash_attn_tileILi128ELi128ELi32ELi2ELb1EEvPKcS1_S1_S1_S1_PKiPfP15HIP_vector_typeIfLj2EEffffjfiS5_IjLj3EEiiiiiiiiiiiliiliiiiil,"axG",@progbits,_ZL15flash_attn_tileILi128ELi128ELi32ELi2ELb1EEvPKcS1_S1_S1_S1_PKiPfP15HIP_vector_typeIfLj2EEffffjfiS5_IjLj3EEiiiiiiiiiiiliiliiiiil,comdat
	.globl	_ZL15flash_attn_tileILi128ELi128ELi32ELi2ELb1EEvPKcS1_S1_S1_S1_PKiPfP15HIP_vector_typeIfLj2EEffffjfiS5_IjLj3EEiiiiiiiiiiiliiliiiiil ; -- Begin function _ZL15flash_attn_tileILi128ELi128ELi32ELi2ELb1EEvPKcS1_S1_S1_S1_PKiPfP15HIP_vector_typeIfLj2EEffffjfiS5_IjLj3EEiiiiiiiiiiiliiliiiiil
	.p2align	8
	.type	_ZL15flash_attn_tileILi128ELi128ELi32ELi2ELb1EEvPKcS1_S1_S1_S1_PKiPfP15HIP_vector_typeIfLj2EEffffjfiS5_IjLj3EEiiiiiiiiiiiliiliiiiil,@function
_ZL15flash_attn_tileILi128ELi128ELi32ELi2ELb1EEvPKcS1_S1_S1_S1_PKiPfP15HIP_vector_typeIfLj2EEffffjfiS5_IjLj3EEiiiiiiiiiiiliiliiiiil: ; @_ZL15flash_attn_tileILi128ELi128ELi32ELi2ELb1EEvPKcS1_S1_S1_S1_PKiPfP15HIP_vector_typeIfLj2EEffffjfiS5_IjLj3EEiiiiiiiiiiiliiliiiiil
; %bb.0:
	s_clause 0x1
	s_load_b128 s[20:23], s[0:1], 0x5c
	s_load_b64 s[34:35], s[0:1], 0x80
	s_bfe_u32 s5, ttmp6, 0x40014
	s_lshr_b32 s4, ttmp7, 16
	s_add_co_i32 s5, s5, 1
	s_bfe_u32 s6, ttmp6, 0x40008
	s_mul_i32 s5, s4, s5
	s_getreg_b32 s31, hwreg(HW_REG_IB_STS2, 6, 4)
	s_add_co_i32 s6, s6, s5
	s_load_b64 s[26:27], s[0:1], 0xb8
	s_mov_b64 s[36:37], 0
	s_wait_kmcnt 0x0
	s_lshr_b32 s2, s23, 31
	s_delay_alu instid0(SALU_CYCLE_1) | instskip(NEXT) | instid1(SALU_CYCLE_1)
	s_add_co_i32 s2, s23, s2
	s_ashr_i32 s2, s2, 1
	s_delay_alu instid0(SALU_CYCLE_1) | instskip(SKIP_1) | instid1(SALU_CYCLE_2)
	s_cvt_f32_u32 s3, s2
	s_sub_co_i32 s7, 0, s2
	v_rcp_iflag_f32_e32 v1, s3
	v_nop
	s_delay_alu instid0(TRANS32_DEP_1) | instskip(SKIP_1) | instid1(SALU_CYCLE_3)
	v_readfirstlane_b32 s3, v1
	s_mul_f32 s3, s3, 0x4f7ffffe
	s_cvt_u32_f32 s3, s3
	s_delay_alu instid0(SALU_CYCLE_3) | instskip(NEXT) | instid1(SALU_CYCLE_1)
	s_mul_i32 s7, s7, s3
	s_mul_hi_u32 s7, s3, s7
	s_delay_alu instid0(SALU_CYCLE_1) | instskip(SKIP_2) | instid1(SALU_CYCLE_1)
	s_add_co_i32 s3, s3, s7
	s_cmp_eq_u32 s31, 0
	s_cselect_b32 s4, s4, s6
	s_mul_hi_u32 s3, s4, s3
	s_delay_alu instid0(SALU_CYCLE_1) | instskip(SKIP_2) | instid1(SALU_CYCLE_1)
	s_mul_i32 s5, s3, s2
	s_add_co_i32 s6, s3, 1
	s_sub_co_i32 s5, s4, s5
	s_sub_co_i32 s7, s5, s2
	s_cmp_ge_u32 s5, s2
	s_cselect_b32 s3, s6, s3
	s_cselect_b32 s5, s7, s5
	s_add_co_i32 s6, s3, 1
	s_cmp_ge_u32 s5, s2
	s_cselect_b32 s30, s6, s3
	s_abs_i32 s2, s35
	s_abs_i32 s7, s23
	s_cvt_f32_u32 s3, s2
	s_sub_co_i32 s5, 0, s2
	s_lshl_b32 s4, s4, 1
	s_mul_i32 s6, s30, s23
	v_rcp_iflag_f32_e32 v1, s3
	s_sub_co_i32 s28, s4, s6
	s_xor_b32 s4, s23, s35
	s_delay_alu instid0(SALU_CYCLE_1) | instskip(SKIP_1) | instid1(TRANS32_DEP_1)
	s_ashr_i32 s24, s4, 31
	v_nop
	v_readfirstlane_b32 s3, v1
	s_mul_f32 s3, s3, 0x4f7ffffe
	s_delay_alu instid0(SALU_CYCLE_3) | instskip(NEXT) | instid1(SALU_CYCLE_3)
	s_cvt_u32_f32 s3, s3
	s_mul_i32 s5, s5, s3
	s_delay_alu instid0(SALU_CYCLE_1) | instskip(NEXT) | instid1(SALU_CYCLE_1)
	s_mul_hi_u32 s5, s3, s5
	s_add_co_i32 s3, s3, s5
	s_delay_alu instid0(SALU_CYCLE_1) | instskip(NEXT) | instid1(SALU_CYCLE_1)
	s_mul_hi_u32 s3, s7, s3
	s_mul_i32 s5, s3, s2
	s_delay_alu instid0(SALU_CYCLE_1)
	s_sub_co_i32 s4, s7, s5
	s_add_co_i32 s5, s3, 1
	s_sub_co_i32 s6, s4, s2
	s_cmp_ge_u32 s4, s2
	s_cselect_b32 s3, s5, s3
	s_cselect_b32 s4, s6, s4
	s_add_co_i32 s5, s3, 1
	s_cmp_ge_u32 s4, s2
	s_cselect_b32 s2, s5, s3
	s_load_b512 s[4:19], s[0:1], 0x0
	s_xor_b32 s2, s2, s24
	s_mov_b32 s3, 0
	s_sub_co_i32 s29, s2, s24
	s_delay_alu instid0(SALU_CYCLE_1) | instskip(NEXT) | instid1(SALU_CYCLE_1)
	s_abs_i32 s45, s29
	s_cvt_f32_u32 s2, s45
	s_delay_alu instid0(SALU_CYCLE_3) | instskip(SKIP_1) | instid1(TRANS32_DEP_1)
	v_rcp_iflag_f32_e32 v1, s2
	v_nop
	v_readfirstlane_b32 s2, v1
	s_wait_kmcnt 0x0
	s_cmp_eq_u64 s[10:11], 0
	s_cbranch_scc1 .LBB80_2
; %bb.1:
	s_abs_i32 s26, s26
	s_abs_i32 s33, s30
	s_cvt_f32_u32 s24, s26
	s_sub_co_i32 s25, 0, s26
	s_delay_alu instid0(SALU_CYCLE_2) | instskip(SKIP_1) | instid1(TRANS32_DEP_1)
	v_rcp_iflag_f32_e32 v1, s24
	v_nop
	v_readfirstlane_b32 s24, v1
	s_mul_f32 s24, s24, 0x4f7ffffe
	s_delay_alu instid0(SALU_CYCLE_3) | instskip(NEXT) | instid1(SALU_CYCLE_3)
	s_cvt_u32_f32 s24, s24
	s_mul_i32 s25, s25, s24
	s_delay_alu instid0(SALU_CYCLE_1) | instskip(NEXT) | instid1(SALU_CYCLE_1)
	s_mul_hi_u32 s25, s24, s25
	s_add_co_i32 s24, s24, s25
	s_delay_alu instid0(SALU_CYCLE_1) | instskip(SKIP_2) | instid1(SALU_CYCLE_1)
	s_mul_hi_u32 s35, s33, s24
	s_load_b64 s[24:25], s[0:1], 0xc8
	s_mul_i32 s35, s35, s26
	s_sub_co_i32 s33, s33, s35
	s_ashr_i32 s35, s30, 31
	s_sub_co_i32 s36, s33, s26
	s_cmp_ge_u32 s33, s26
	s_cselect_b32 s33, s36, s33
	s_delay_alu instid0(SALU_CYCLE_1) | instskip(SKIP_2) | instid1(SALU_CYCLE_1)
	s_sub_co_i32 s36, s33, s26
	s_cmp_ge_u32 s33, s26
	s_cselect_b32 s26, s36, s33
	s_xor_b32 s26, s26, s35
	s_delay_alu instid0(SALU_CYCLE_1) | instskip(NEXT) | instid1(SALU_CYCLE_1)
	s_sub_co_i32 s36, s26, s35
	s_ashr_i32 s37, s36, 31
	s_wait_kmcnt 0x0
	s_mul_u64 s[24:25], s[24:25], s[36:37]
	s_delay_alu instid0(SALU_CYCLE_1)
	s_add_nc_u64 s[36:37], s[10:11], s[24:25]
.LBB80_2:
	v_bfe_u32 v4, v0, 10, 10
	v_mov_b32_e32 v3, 0
	s_bfe_u32 s11, ttmp6, 0x4000c
	s_and_b32 s10, ttmp6, 15
	s_add_co_i32 s11, s11, 1
	s_delay_alu instid0(VALU_DEP_1) | instskip(SKIP_3) | instid1(VALU_DEP_2)
	v_dual_lshlrev_b32 v1, 3, v4 :: v_dual_mov_b32 v7, v3
	s_mul_i32 s11, ttmp9, s11
	v_mov_b32_e32 v9, v3
	s_add_co_i32 s10, s10, s11
	v_or_b32_e32 v5, 2, v1
	s_cmp_eq_u32 s31, 0
	v_or_b32_e32 v42, 3, v1
	s_cselect_b32 s10, ttmp9, s10
	s_clause 0x1
	s_load_b96 s[24:26], s[0:1], 0x70
	s_load_b32 s11, s[0:1], 0x40
	v_dual_lshrrev_b32 v70, 1, v5 :: v_dual_lshrrev_b32 v68, 1, v42
	s_lshl_b32 s35, s10, 5
	v_or_b32_e32 v43, 4, v1
	s_delay_alu instid0(VALU_DEP_2) | instskip(NEXT) | instid1(VALU_DEP_3)
	v_dual_add_nc_u32 v72, s35, v70 :: v_dual_bitop2_b32 v46, 7, v1 bitop3:0x54
	v_dual_add_nc_u32 v69, s35, v68 :: v_dual_bitop2_b32 v44, 5, v1 bitop3:0x54
	s_delay_alu instid0(VALU_DEP_3) | instskip(NEXT) | instid1(VALU_DEP_3)
	v_dual_lshrrev_b32 v66, 1, v43 :: v_dual_bitop2_b32 v45, 6, v1 bitop3:0x54
	v_mul_hi_u32 v1, v72, s20
	s_delay_alu instid0(VALU_DEP_3) | instskip(NEXT) | instid1(VALU_DEP_4)
	v_lshrrev_b32_e32 v64, 1, v44
	v_mul_hi_u32 v2, v69, s20
	s_delay_alu instid0(VALU_DEP_4) | instskip(NEXT) | instid1(VALU_DEP_3)
	v_dual_add_nc_u32 v67, s35, v66 :: v_dual_lshrrev_b32 v62, 1, v45
	v_dual_lshrrev_b32 v60, 1, v46 :: v_dual_add_nc_u32 v65, s35, v64
	v_dual_mov_b32 v15, v3 :: v_dual_mov_b32 v17, v3
	s_delay_alu instid0(VALU_DEP_3) | instskip(SKIP_1) | instid1(VALU_DEP_4)
	v_mul_hi_u32 v6, v67, s20
	v_dual_lshlrev_b32 v73, 2, v4 :: v_dual_add_nc_u32 v1, v72, v1
	v_dual_add_nc_u32 v63, s35, v62 :: v_dual_add_nc_u32 v61, s35, v60
	v_mul_hi_u32 v8, v65, s20
	s_delay_alu instid0(VALU_DEP_3) | instskip(NEXT) | instid1(VALU_DEP_3)
	v_dual_add_nc_u32 v75, s35, v73 :: v_dual_add_nc_u32 v2, v69, v2
	v_mul_hi_u32 v10, v63, s20
	v_lshrrev_b32_e32 v1, s21, v1
	v_mul_hi_u32 v11, v61, s20
	s_delay_alu instid0(VALU_DEP_4)
	v_mul_hi_u32 v12, v75, s20
	v_add_nc_u32_e32 v6, v67, v6
	v_lshrrev_b32_e32 v2, s21, v2
	v_mul_lo_u32 v1, v1, s22
	s_wait_kmcnt 0x0
	s_mul_i32 s38, s28, s25
	v_dual_add_nc_u32 v8, v65, v8 :: v_dual_lshrrev_b32 v6, s21, v6
	v_mul_lo_u32 v2, v2, s22
	v_add_nc_u32_e32 v10, v63, v10
	s_ashr_i32 s41, s25, 31
	s_delay_alu instid0(VALU_DEP_3) | instskip(SKIP_3) | instid1(VALU_DEP_3)
	v_lshrrev_b32_e32 v8, s21, v8
	v_dual_add_nc_u32 v12, v75, v12 :: v_dual_add_nc_u32 v11, v61, v11
	v_mul_lo_u32 v13, v6, s22
	v_dual_lshrrev_b32 v10, s21, v10 :: v_dual_sub_nc_u32 v6, v72, v1
	v_lshrrev_b32_e32 v1, s21, v12
	v_mul_lo_u32 v14, v8, s22
	v_dual_lshrrev_b32 v12, s21, v11 :: v_dual_sub_nc_u32 v8, v69, v2
	s_mov_b32 s40, s25
	s_delay_alu instid0(VALU_DEP_3)
	v_mul_lo_u32 v1, v1, s22
	s_ashr_i32 s25, s24, 31
	v_mul_lo_u32 v16, v10, s22
	v_mul_lo_u32 v18, v12, s22
	s_lshr_b64 s[24:25], s[24:25], 2
	v_mov_b32_e32 v11, v3
	v_mul_u64_e32 v[6:7], s[24:25], v[6:7]
	v_mul_u64_e32 v[8:9], s[24:25], v[8:9]
	v_dual_sub_nc_u32 v10, v67, v13 :: v_dual_sub_nc_u32 v12, v65, v14
	v_mov_b32_e32 v13, v3
	v_sub_nc_u32_e32 v2, v75, v1
	v_and_b32_e32 v74, 0x3ff, v0
	s_delay_alu instid0(VALU_DEP_4)
	v_mul_u64_e32 v[10:11], s[24:25], v[10:11]
	v_sub_nc_u32_e32 v14, v63, v16
	v_mul_u64_e32 v[12:13], s[24:25], v[12:13]
	v_sub_nc_u32_e32 v16, v61, v18
	v_mul_u64_e32 v[18:19], s[24:25], v[2:3]
	v_lshlrev_b32_e32 v0, 4, v74
	v_mul_u64_e32 v[14:15], s[24:25], v[14:15]
	s_ashr_i32 s39, s38, 31
	v_mul_u64_e32 v[16:17], s[24:25], v[16:17]
	s_mul_i32 s24, s30, s26
	v_dual_mov_b32 v1, v3 :: v_dual_lshlrev_b32 v76, 11, v4
	s_ashr_i32 s25, s24, 31
	s_delay_alu instid0(SALU_CYCLE_1)
	s_add_nc_u64 s[4:5], s[4:5], s[24:25]
	s_and_b64 s[24:25], s[40:41], -4
	s_add_nc_u64 s[4:5], s[4:5], s[38:39]
	s_cmp_eq_u64 s[14:15], 0
	s_add_nc_u64 s[24:25], s[4:5], s[24:25]
	v_lshl_add_u64 v[6:7], v[6:7], 2, s[4:5]
	v_lshl_add_u64 v[8:9], v[8:9], 2, s[24:25]
	s_delay_alu instid0(VALU_DEP_2) | instskip(NEXT) | instid1(VALU_DEP_2)
	v_add_nc_u64_e32 v[6:7], v[6:7], v[0:1]
	v_add_nc_u64_e32 v[20:21], v[8:9], v[0:1]
	v_lshl_add_u64 v[10:11], v[10:11], 2, s[4:5]
	v_lshl_add_u64 v[22:23], v[12:13], 2, s[24:25]
	v_lshlrev_b64_e32 v[26:27], 2, v[18:19]
	global_load_b128 v[6:9], v[6:7], off
	v_add_nc_u64_e32 v[24:25], v[10:11], v[0:1]
	global_load_b128 v[10:13], v[20:21], off
	s_wait_xcnt 0x0
	v_add_nc_u64_e32 v[20:21], v[22:23], v[0:1]
	v_lshl_add_u64 v[22:23], v[16:17], 2, s[24:25]
	v_lshl_add_u64 v[18:19], v[14:15], 2, s[4:5]
	v_add_nc_u64_e32 v[28:29], s[4:5], v[26:27]
	v_add_nc_u64_e32 v[32:33], s[24:25], v[26:27]
	global_load_b128 v[14:17], v[24:25], off
	v_add_nc_u64_e32 v[30:31], v[22:23], v[0:1]
	v_add_nc_u64_e32 v[38:39], v[28:29], v[0:1]
	;; [unrolled: 1-line block ×3, first 2 shown]
	global_load_b128 v[26:29], v[30:31], off
	s_wait_xcnt 0x1
	v_add_nc_u64_e32 v[24:25], v[18:19], v[0:1]
	s_clause 0x3
	global_load_b128 v[18:21], v[20:21], off
	global_load_b128 v[22:25], v[24:25], off
	;; [unrolled: 1-line block ×4, first 2 shown]
	s_wait_loadcnt 0x7
	v_fma_mixlo_f16 v6, s11, v6, 0
	v_fma_mixlo_f16 v7, s11, v7, 0
	v_lshlrev_b32_e32 v1, 3, v74
	v_fma_mixlo_f16 v8, s11, v8, 0
	v_fma_mixlo_f16 v9, s11, v9, 0
	s_wait_loadcnt 0x6
	v_fma_mixlo_f16 v10, s11, v10, 0
	v_fma_mixlo_f16 v11, s11, v11, 0
	;; [unrolled: 1-line block ×3, first 2 shown]
	s_wait_loadcnt 0x5
	v_fma_mixlo_f16 v14, s11, v14, 0
	v_fma_mixlo_f16 v15, s11, v15, 0
	;; [unrolled: 1-line block ×5, first 2 shown]
	v_lshlrev_b32_e32 v7, 16, v7
	v_and_b32_e32 v6, 0xffff, v6
	v_dual_add_nc_u32 v3, v1, v76 :: v_dual_lshlrev_b32 v9, 16, v9
	s_wait_loadcnt 0x4
	v_fma_mixlo_f16 v26, s11, v26, 0
	s_wait_loadcnt 0x3
	v_fma_mixlo_f16 v18, s11, v18, 0
	v_fma_mixlo_f16 v19, s11, v19, 0
	;; [unrolled: 1-line block ×5, first 2 shown]
	v_and_b32_e32 v8, 0xffff, v8
	s_wait_loadcnt 0x2
	v_fma_mixlo_f16 v22, s11, v22, 0
	v_fma_mixlo_f16 v23, s11, v23, 0
	s_wait_loadcnt 0x1
	v_fma_mixlo_f16 v30, s11, v30, 0
	v_fma_mixlo_f16 v31, s11, v31, 0
	;; [unrolled: 3-line block ×3, first 2 shown]
	v_dual_lshlrev_b32 v11, 16, v11 :: v_dual_lshlrev_b32 v13, 16, v13
	v_and_b32_e32 v10, 0xffff, v10
	v_dual_lshlrev_b32 v15, 16, v15 :: v_dual_lshlrev_b32 v17, 16, v17
	v_and_b32_e32 v14, 0xffff, v14
	v_and_b32_e32 v12, 0xffff, v12
	v_dual_lshlrev_b32 v19, 16, v19 :: v_dual_lshlrev_b32 v21, 16, v21
	v_and_b32_e32 v18, 0xffff, v18
	v_fma_mixlo_f16 v24, s11, v24, 0
	v_fma_mixlo_f16 v25, s11, v25, 0
	v_lshlrev_b32_e32 v23, 16, v23
	v_and_b32_e32 v22, 0xffff, v22
	v_fma_mixlo_f16 v28, s11, v28, 0
	v_fma_mixlo_f16 v29, s11, v29, 0
	;; [unrolled: 1-line block ×6, first 2 shown]
	v_and_b32_e32 v16, 0xffff, v16
	v_and_b32_e32 v20, 0xffff, v20
	v_dual_lshlrev_b32 v27, 16, v27 :: v_dual_lshlrev_b32 v29, 16, v29
	v_and_b32_e32 v26, 0xffff, v26
	v_dual_lshlrev_b32 v31, 16, v31 :: v_dual_lshlrev_b32 v33, 16, v33
	v_and_b32_e32 v30, 0xffff, v30
	v_dual_lshlrev_b32 v35, 16, v35 :: v_dual_lshlrev_b32 v37, 16, v37
	v_and_b32_e32 v34, 0xffff, v34
	v_or_b32_e32 v6, v7, v6
	v_or3_b32 v7, v9, v8, 0
	v_or_b32_e32 v8, v11, v10
	v_or_b32_e32 v10, v15, v14
	v_or3_b32 v9, v13, v12, 0
	v_dual_lshlrev_b32 v25, 16, v25 :: v_dual_bitop2_b32 v12, v19, v18 bitop3:0x54
	v_and_b32_e32 v24, 0xffff, v24
	v_or_b32_e32 v14, v23, v22
	v_lshl_add_u32 v5, v5, 8, v1
	v_and_b32_e32 v28, 0xffff, v28
	v_and_b32_e32 v32, 0xffff, v32
	;; [unrolled: 1-line block ×3, first 2 shown]
	v_or3_b32 v11, v17, v16, 0
	v_or3_b32 v13, v21, v20, 0
	v_or_b32_e32 v16, v27, v26
	v_or_b32_e32 v18, v31, v30
	;; [unrolled: 1-line block ×3, first 2 shown]
	v_or3_b32 v6, 0, 0, v6
	v_lshl_add_u32 v38, v42, 8, v1
	v_or3_b32 v8, 0, 0, v8
	v_lshl_add_u32 v39, v43, 8, v1
	;; [unrolled: 2-line block ×4, first 2 shown]
	v_or3_b32 v15, v25, v24, 0
	v_or3_b32 v14, 0, 0, v14
	v_lshl_add_u32 v42, v46, 8, v1
	v_or3_b32 v17, v29, v28, 0
	v_or3_b32 v19, v33, v32, 0
	;; [unrolled: 1-line block ×6, first 2 shown]
	ds_store_b64 v5, v[6:7]
	ds_store_b64 v38, v[8:9]
	;; [unrolled: 1-line block ×6, first 2 shown]
	ds_store_2addr_b64 v3, v[18:19], v[20:21] offset1:32
	s_wait_dscnt 0x0
	s_barrier_signal -1
	s_barrier_wait -1
	s_cbranch_scc1 .LBB80_4
; %bb.3:
	s_load_b32 s4, s[0:1], 0xd0
	s_wait_kmcnt 0x0
	s_mul_i32 s4, s4, s30
	s_delay_alu instid0(SALU_CYCLE_1)
	s_add_co_i32 s4, s4, s10
	s_load_b32 s34, s[14:15], s4 offset:0x0 scale_offset
.LBB80_4:
	s_wait_xcnt 0x0
	s_bfe_u32 s4, ttmp6, 0x40010
	s_and_b32 s5, ttmp7, 0xffff
	s_add_co_i32 s4, s4, 1
	s_bfe_u32 s10, ttmp6, 0x40004
	s_mul_i32 s4, s5, s4
	v_mbcnt_lo_u32_b32 v78, -1, 0
	s_add_co_i32 s10, s10, s4
	s_cmp_eq_u32 s31, 0
	s_mov_b32 s4, 0
	s_cselect_b32 s33, s5, s10
	s_delay_alu instid0(SALU_CYCLE_1)
	s_lshl_b32 s14, s33, 6
	s_wait_kmcnt 0x0
	s_cmp_lt_i32 s14, s34
	s_cbranch_scc1 .LBB80_7
; %bb.5:
	v_mbcnt_lo_u32_b32 v8, -1, 0
	s_delay_alu instid0(VALU_DEP_1)
	v_dual_mov_b32 v77, 32 :: v_dual_bitop2_b32 v30, 16, v8 bitop3:0x14
	v_xor_b32_e32 v29, 8, v8
	v_xor_b32_e32 v28, 4, v8
	;; [unrolled: 1-line block ×3, first 2 shown]
	v_dual_lshlrev_b32 v71, 2, v74 :: v_dual_bitop2_b32 v26, 1, v8 bitop3:0x14
	s_and_not1_b32 vcc_lo, exec_lo, s4
	s_cbranch_vccz .LBB80_8
; %bb.6:
	v_dual_mov_b32 v105, 0 :: v_dual_mov_b32 v45, 0
	v_dual_mov_b32 v7, 0xfeffffff :: v_dual_mov_b32 v6, 0xfeffffff
	;; [unrolled: 1-line block ×16, first 2 shown]
	s_branch .LBB80_76
.LBB80_7:
                                        ; implicit-def: $vgpr8
                                        ; implicit-def: $vgpr77
                                        ; implicit-def: $vgpr30
                                        ; implicit-def: $vgpr29
                                        ; implicit-def: $vgpr28
                                        ; implicit-def: $vgpr27
                                        ; implicit-def: $vgpr26
	v_lshlrev_b32_e32 v71, 2, v74
.LBB80_8:
	v_dual_mov_b32 v43, 0 :: v_dual_add_nc_u32 v42, 1, v75
	s_mov_b32 s40, s20
	s_mov_b32 s41, s3
	v_or_b32_e32 v80, 0x4000, v1
	v_lshl_add_u32 v79, v4, 10, 0x6400
	v_mul_u64_e32 v[6:7], s[40:41], v[42:43]
	s_ashr_i32 s47, s27, 1
	s_ashr_i32 s46, s29, 31
	v_mul_lo_u32 v82, v2, s47
	s_clause 0x3
	s_load_b32 s29, s[0:1], 0x54
	s_load_b64 s[4:5], s[0:1], 0x8c
	s_load_b128 s[24:27], s[0:1], 0x98
	s_load_b64 s[10:11], s[0:1], 0xa8
	s_mul_f32 s15, s2, 0x4f7ffffe
	s_sub_co_i32 s20, 0, s45
	s_ashr_i32 s42, s28, 31
	s_abs_i32 s2, s28
	s_cvt_u32_f32 s15, s15
	s_mov_b32 s43, s3
	s_xor_b32 s46, s42, s46
	s_ashr_i32 s31, s30, 31
	s_mul_i32 s20, s20, s15
	s_movk_i32 s48, 0x4000
	s_mul_hi_u32 s20, s15, s20
	v_dual_mov_b32 v114, 0xfeffffff :: v_dual_mov_b32 v113, 0xfeffffff
	s_add_co_i32 s42, s15, s20
	v_dual_mov_b32 v111, 0xfeffffff :: v_dual_mov_b32 v110, 0xfeffffff
	v_dual_mov_b32 v108, 0xfeffffff :: v_dual_mov_b32 v107, 0xfeffffff
	s_wait_kmcnt 0x0
	s_ashr_i32 s20, s26, 2
	s_mul_u64 s[10:11], s[10:11], s[30:31]
	v_mad_u32_u24 v81, 0x90, v74, s48
	v_dual_mov_b32 v51, v43 :: v_dual_mov_b32 v92, v43
	v_dual_mov_b32 v91, v43 :: v_dual_mov_b32 v94, v43
	v_dual_lshrrev_b32 v9, 4, v74 :: v_dual_add_nc_u32 v3, v42, v7
	v_dual_mov_b32 v93, v43 :: v_dual_mov_b32 v95, v43
	v_dual_mov_b32 v96, v43 :: v_dual_mov_b32 v97, v43
	s_delay_alu instid0(VALU_DEP_3) | instskip(NEXT) | instid1(VALU_DEP_4)
	v_dual_mov_b32 v112, 0xfeffffff :: v_dual_lshrrev_b32 v3, s21, v3
	v_lshl_add_u32 v4, v4, 1, v9
	v_dual_mov_b32 v99, v43 :: v_dual_mov_b32 v100, v43
	s_delay_alu instid0(VALU_DEP_3)
	v_mul_lo_u32 v3, v3, s22
	v_dual_mov_b32 v101, v43 :: v_dual_mov_b32 v102, v43
	v_dual_mov_b32 v103, v43 :: v_dual_mov_b32 v104, v43
	v_dual_mov_b32 v106, v43 :: v_dual_mov_b32 v105, v43
	v_dual_mov_b32 v40, v43 :: v_dual_mov_b32 v41, v43
	v_mov_b32_e32 v109, 0xfeffffff
	v_dual_mov_b32 v77, 32 :: v_dual_sub_nc_u32 v5, v42, v3
	v_dual_lshrrev_b32 v3, 3, v74 :: v_dual_add_nc_u32 v42, 2, v75
	v_and_b32_e32 v8, 60, v71
	s_add_nc_u64 s[38:39], s[0:1], 0xd0
	s_delay_alu instid0(VALU_DEP_3) | instskip(NEXT) | instid1(VALU_DEP_3)
	v_mul_lo_u32 v88, v5, s47
	v_add_nc_u32_e32 v2, v3, v73
	v_mul_u64_e32 v[6:7], s[40:41], v[42:43]
	s_mov_b32 s44, 0xbbbac73d
	v_dual_mov_b32 v98, v43 :: v_dual_mov_b32 v48, v43
	v_dual_mov_b32 v49, v43 :: v_dual_mov_b32 v46, v43
	v_dual_mov_b32 v47, v43 :: v_dual_mov_b32 v44, v43
	s_delay_alu instid0(VALU_DEP_4) | instskip(NEXT) | instid1(VALU_DEP_1)
	v_dual_mov_b32 v45, v43 :: v_dual_add_nc_u32 v1, v42, v7
	v_dual_lshrrev_b32 v1, s21, v1 :: v_dual_bitop2_b32 v6, 28, v71 bitop3:0x40
	s_delay_alu instid0(VALU_DEP_1) | instskip(SKIP_1) | instid1(VALU_DEP_3)
	v_dual_lshlrev_b32 v3, 2, v6 :: v_dual_lshlrev_b32 v7, 2, v8
	v_lshlrev_b32_e32 v50, 2, v6
	v_mul_lo_u32 v1, v1, s22
	s_delay_alu instid0(VALU_DEP_1) | instskip(SKIP_1) | instid1(VALU_DEP_2)
	v_dual_add_nc_u32 v83, v79, v0 :: v_dual_sub_nc_u32 v6, v42, v1
	v_add_nc_u32_e32 v42, 3, v75
	v_mul_lo_u32 v89, v6, s47
	s_delay_alu instid0(VALU_DEP_2)
	v_mul_u64_e32 v[0:1], s[40:41], v[42:43]
	v_mad_u32_u24 v0, 0x90, v2, v3
	s_mul_u64 s[40:41], s[2:3], s[42:43]
	s_ashr_i32 s40, s4, 2
	v_lshl_or_b32 v3, v4, 8, v7
	v_mul_lo_u32 v52, s40, v2
	v_add_nc_u32_e32 v84, 0x4000, v0
	v_add_nc_u32_e32 v85, 0x5200, v0
	v_mul_lo_u32 v0, s20, v4
	v_add_nc_u32_e32 v86, 0x4000, v3
	v_add_nc_u32_e32 v87, 0x5000, v3
	s_mul_i32 s3, s41, s45
	s_add_co_i32 s15, s41, 1
	s_sub_co_i32 s42, s2, s3
	s_mul_u64 s[2:3], s[24:25], s[30:31]
	s_sub_co_i32 s4, s42, s45
	v_ashrrev_i32_e32 v53, 31, v52
	v_lshl_add_u32 v54, s40, 5, v52
	s_cmp_ge_u32 s42, s45
	v_lshl_add_u32 v2, s20, 4, v0
	s_cselect_b32 s15, s15, s41
	s_cselect_b32 s4, s4, s42
	v_ashrrev_i32_e32 v55, 31, v54
	s_add_co_i32 s24, s15, 1
	v_ashrrev_i32_e32 v3, 31, v2
	s_cmp_ge_u32 s4, s45
	s_add_nc_u64 s[2:3], s[6:7], s[2:3]
	s_cselect_b32 s4, s24, s15
	s_add_nc_u64 s[6:7], s[8:9], s[10:11]
	s_xor_b32 s4, s4, s46
	v_lshlrev_b64_e32 v[58:59], 2, v[2:3]
	s_sub_co_i32 s8, s4, s46
	v_add_nc_u32_e32 v1, v42, v1
	s_mul_i32 s4, s8, s5
	s_mul_i32 s8, s8, s27
	s_ashr_i32 s5, s4, 31
	s_ashr_i32 s9, s8, 31
	v_lshrrev_b32_e32 v1, s21, v1
	s_ashr_i32 s41, s40, 31
	s_ashr_i32 s21, s20, 31
	s_add_nc_u64 s[24:25], s[2:3], s[4:5]
	s_add_nc_u64 s[26:27], s[6:7], s[8:9]
	v_mul_lo_u32 v4, v1, s22
	v_ashrrev_i32_e32 v1, 31, v0
	s_delay_alu instid0(VALU_DEP_1) | instskip(NEXT) | instid1(VALU_DEP_3)
	v_lshlrev_b64_e32 v[56:57], 2, v[0:1]
	v_sub_nc_u32_e32 v0, v42, v4
	v_lshlrev_b32_e32 v42, 2, v8
	s_delay_alu instid0(VALU_DEP_2)
	v_mul_lo_u32 v90, v0, s47
.LBB80_9:                               ; =>This Inner Loop Header: Depth=1
	s_ashr_i32 s15, s14, 31
	v_dual_mov_b32 v128, 0 :: v_dual_mov_b32 v126, 0
	s_mul_u64 s[2:3], s[14:15], s[40:41]
	v_dual_mov_b32 v124, 0 :: v_dual_mov_b32 v123, 0
	s_lshl_b64 s[2:3], s[2:3], 2
	v_dual_mov_b32 v120, 0 :: v_dual_mov_b32 v115, 0
	s_add_nc_u64 s[2:3], s[24:25], s[2:3]
	v_dual_mov_b32 v116, 0 :: v_dual_mov_b32 v118, 0
	v_lshl_add_u64 v[0:1], v[52:53], 2, s[2:3]
	v_lshl_add_u64 v[2:3], v[54:55], 2, s[2:3]
	v_dual_mov_b32 v130, 0 :: v_dual_mov_b32 v129, 0
	v_dual_mov_b32 v127, 0 :: v_dual_mov_b32 v125, 0
	s_delay_alu instid0(VALU_DEP_4) | instskip(NEXT) | instid1(VALU_DEP_4)
	v_add_nc_u64_e32 v[0:1], v[0:1], v[50:51]
	v_add_nc_u64_e32 v[2:3], v[2:3], v[50:51]
	s_clause 0x1
	global_load_b128 v[4:7], v[0:1], off
	global_load_b128 v[8:11], v[2:3], off
	v_dual_mov_b32 v122, 0 :: v_dual_mov_b32 v121, 0
	v_dual_mov_b32 v117, 0 :: v_dual_mov_b32 v119, 0
	s_wait_loadcnt 0x1
	ds_store_b128 v84, v[4:7]
	s_wait_loadcnt 0x0
	ds_store_b128 v85, v[8:11]
	s_wait_dscnt 0x0
	s_barrier_signal -1
	s_barrier_wait -1
	ds_load_b128 v[4:7], v81
	ds_load_b128 v[8:11], v76
	ds_load_b128 v[12:15], v76 offset:256
	ds_load_b128 v[16:19], v76 offset:512
	;; [unrolled: 1-line block ×8, first 2 shown]
	s_wait_dscnt 0x8
	;;#ASMSTART
	v_dot2_f32_f16 v128, v4, v8, v128
	;;#ASMEND
	;;#ASMSTART
	v_dot2_f32_f16 v128, v5, v9, v128
	;;#ASMEND
	;;#ASMSTART
	v_dot2_f32_f16 v128, v6, v10, v128
	;;#ASMEND
	;;#ASMSTART
	v_dot2_f32_f16 v128, v7, v11, v128
	;;#ASMEND
	s_wait_dscnt 0x7
	;;#ASMSTART
	v_dot2_f32_f16 v126, v4, v12, v126
	;;#ASMEND
	;;#ASMSTART
	v_dot2_f32_f16 v126, v5, v13, v126
	;;#ASMEND
	;;#ASMSTART
	v_dot2_f32_f16 v126, v6, v14, v126
	;;#ASMEND
	;;#ASMSTART
	v_dot2_f32_f16 v126, v7, v15, v126
	;;#ASMEND
	s_wait_dscnt 0x6
	;;#ASMSTART
	v_dot2_f32_f16 v124, v4, v16, v124
	;;#ASMEND
	;;#ASMSTART
	v_dot2_f32_f16 v124, v5, v17, v124
	;;#ASMEND
	;;#ASMSTART
	v_dot2_f32_f16 v124, v6, v18, v124
	;;#ASMEND
	;;#ASMSTART
	v_dot2_f32_f16 v124, v7, v19, v124
	;;#ASMEND
	s_wait_dscnt 0x5
	;;#ASMSTART
	v_dot2_f32_f16 v123, v4, v20, v123
	;;#ASMEND
	;;#ASMSTART
	v_dot2_f32_f16 v123, v5, v21, v123
	;;#ASMEND
	;;#ASMSTART
	v_dot2_f32_f16 v123, v6, v22, v123
	;;#ASMEND
	;;#ASMSTART
	v_dot2_f32_f16 v123, v7, v23, v123
	;;#ASMEND
	s_wait_dscnt 0x3
	;;#ASMSTART
	v_dot2_f32_f16 v120, v4, v28, v120
	;;#ASMEND
	;;#ASMSTART
	v_dot2_f32_f16 v120, v5, v29, v120
	;;#ASMEND
	;;#ASMSTART
	v_dot2_f32_f16 v120, v6, v30, v120
	;;#ASMEND
	;;#ASMSTART
	v_dot2_f32_f16 v120, v7, v31, v120
	;;#ASMEND
	s_wait_dscnt 0x2
	;;#ASMSTART
	v_dot2_f32_f16 v115, v4, v32, v115
	;;#ASMEND
	;;#ASMSTART
	v_dot2_f32_f16 v115, v5, v33, v115
	;;#ASMEND
	;;#ASMSTART
	v_dot2_f32_f16 v115, v6, v34, v115
	;;#ASMEND
	;;#ASMSTART
	v_dot2_f32_f16 v115, v7, v35, v115
	;;#ASMEND
	s_wait_dscnt 0x1
	;;#ASMSTART
	v_dot2_f32_f16 v116, v4, v36, v116
	;;#ASMEND
	;;#ASMSTART
	v_dot2_f32_f16 v116, v5, v37, v116
	;;#ASMEND
	;;#ASMSTART
	v_dot2_f32_f16 v116, v6, v38, v116
	;;#ASMEND
	;;#ASMSTART
	v_dot2_f32_f16 v116, v7, v39, v116
	;;#ASMEND
	s_wait_dscnt 0x0
	;;#ASMSTART
	v_dot2_f32_f16 v118, v4, v132, v118
	;;#ASMEND
	;;#ASMSTART
	v_dot2_f32_f16 v118, v5, v133, v118
	;;#ASMEND
	;;#ASMSTART
	v_dot2_f32_f16 v118, v6, v134, v118
	;;#ASMEND
	;;#ASMSTART
	v_dot2_f32_f16 v118, v7, v135, v118
	;;#ASMEND
	;;#ASMSTART
	v_dot2_f32_f16 v130, v24, v8, v130
	;;#ASMEND
	;;#ASMSTART
	v_dot2_f32_f16 v130, v25, v9, v130
	;;#ASMEND
	;; [unrolled: 3-line block ×32, first 2 shown]
	ds_load_b128 v[4:7], v81 offset:16
	ds_load_b128 v[8:11], v76 offset:16
	;; [unrolled: 1-line block ×10, first 2 shown]
	s_wait_dscnt 0x8
	;;#ASMSTART
	v_dot2_f32_f16 v128, v4, v8, v128
	;;#ASMEND
	;;#ASMSTART
	v_dot2_f32_f16 v128, v5, v9, v128
	;;#ASMEND
	;;#ASMSTART
	v_dot2_f32_f16 v128, v6, v10, v128
	;;#ASMEND
	;;#ASMSTART
	v_dot2_f32_f16 v128, v7, v11, v128
	;;#ASMEND
	s_wait_dscnt 0x7
	;;#ASMSTART
	v_dot2_f32_f16 v126, v4, v12, v126
	;;#ASMEND
	;;#ASMSTART
	v_dot2_f32_f16 v126, v5, v13, v126
	;;#ASMEND
	;;#ASMSTART
	v_dot2_f32_f16 v126, v6, v14, v126
	;;#ASMEND
	;;#ASMSTART
	v_dot2_f32_f16 v126, v7, v15, v126
	;;#ASMEND
	s_wait_dscnt 0x6
	;;#ASMSTART
	v_dot2_f32_f16 v124, v4, v16, v124
	;;#ASMEND
	;;#ASMSTART
	v_dot2_f32_f16 v124, v5, v17, v124
	;;#ASMEND
	;;#ASMSTART
	v_dot2_f32_f16 v124, v6, v18, v124
	;;#ASMEND
	;;#ASMSTART
	v_dot2_f32_f16 v124, v7, v19, v124
	;;#ASMEND
	s_wait_dscnt 0x5
	;;#ASMSTART
	v_dot2_f32_f16 v123, v4, v20, v123
	;;#ASMEND
	;;#ASMSTART
	v_dot2_f32_f16 v123, v5, v21, v123
	;;#ASMEND
	;;#ASMSTART
	v_dot2_f32_f16 v123, v6, v22, v123
	;;#ASMEND
	;;#ASMSTART
	v_dot2_f32_f16 v123, v7, v23, v123
	;;#ASMEND
	s_wait_dscnt 0x3
	;;#ASMSTART
	v_dot2_f32_f16 v120, v4, v28, v120
	;;#ASMEND
	;;#ASMSTART
	v_dot2_f32_f16 v120, v5, v29, v120
	;;#ASMEND
	;;#ASMSTART
	v_dot2_f32_f16 v120, v6, v30, v120
	;;#ASMEND
	;;#ASMSTART
	v_dot2_f32_f16 v120, v7, v31, v120
	;;#ASMEND
	s_wait_dscnt 0x2
	;;#ASMSTART
	v_dot2_f32_f16 v115, v4, v32, v115
	;;#ASMEND
	;;#ASMSTART
	v_dot2_f32_f16 v115, v5, v33, v115
	;;#ASMEND
	;;#ASMSTART
	v_dot2_f32_f16 v115, v6, v34, v115
	;;#ASMEND
	;;#ASMSTART
	v_dot2_f32_f16 v115, v7, v35, v115
	;;#ASMEND
	s_wait_dscnt 0x1
	;;#ASMSTART
	v_dot2_f32_f16 v116, v4, v36, v116
	;;#ASMEND
	;;#ASMSTART
	v_dot2_f32_f16 v116, v5, v37, v116
	;;#ASMEND
	;;#ASMSTART
	v_dot2_f32_f16 v116, v6, v38, v116
	;;#ASMEND
	;;#ASMSTART
	v_dot2_f32_f16 v116, v7, v39, v116
	;;#ASMEND
	s_wait_dscnt 0x0
	;;#ASMSTART
	v_dot2_f32_f16 v118, v4, v132, v118
	;;#ASMEND
	;;#ASMSTART
	v_dot2_f32_f16 v118, v5, v133, v118
	;;#ASMEND
	;;#ASMSTART
	v_dot2_f32_f16 v118, v6, v134, v118
	;;#ASMEND
	;;#ASMSTART
	v_dot2_f32_f16 v118, v7, v135, v118
	;;#ASMEND
	;;#ASMSTART
	v_dot2_f32_f16 v130, v24, v8, v130
	;;#ASMEND
	;;#ASMSTART
	v_dot2_f32_f16 v130, v25, v9, v130
	;;#ASMEND
	;; [unrolled: 3-line block ×32, first 2 shown]
	ds_load_b128 v[4:7], v81 offset:32
	ds_load_b128 v[8:11], v76 offset:32
	;; [unrolled: 1-line block ×10, first 2 shown]
	s_wait_dscnt 0x8
	;;#ASMSTART
	v_dot2_f32_f16 v128, v4, v8, v128
	;;#ASMEND
	;;#ASMSTART
	v_dot2_f32_f16 v128, v5, v9, v128
	;;#ASMEND
	;;#ASMSTART
	v_dot2_f32_f16 v128, v6, v10, v128
	;;#ASMEND
	;;#ASMSTART
	v_dot2_f32_f16 v128, v7, v11, v128
	;;#ASMEND
	s_wait_dscnt 0x7
	;;#ASMSTART
	v_dot2_f32_f16 v126, v4, v12, v126
	;;#ASMEND
	;;#ASMSTART
	v_dot2_f32_f16 v126, v5, v13, v126
	;;#ASMEND
	;;#ASMSTART
	v_dot2_f32_f16 v126, v6, v14, v126
	;;#ASMEND
	;;#ASMSTART
	v_dot2_f32_f16 v126, v7, v15, v126
	;;#ASMEND
	;; [unrolled: 13-line block ×8, first 2 shown]
	;;#ASMSTART
	v_dot2_f32_f16 v130, v24, v8, v130
	;;#ASMEND
	;;#ASMSTART
	v_dot2_f32_f16 v130, v25, v9, v130
	;;#ASMEND
	;; [unrolled: 3-line block ×32, first 2 shown]
	ds_load_b128 v[4:7], v81 offset:48
	ds_load_b128 v[8:11], v76 offset:48
	;; [unrolled: 1-line block ×10, first 2 shown]
	s_wait_dscnt 0x8
	;;#ASMSTART
	v_dot2_f32_f16 v128, v4, v8, v128
	;;#ASMEND
	;;#ASMSTART
	v_dot2_f32_f16 v128, v5, v9, v128
	;;#ASMEND
	;;#ASMSTART
	v_dot2_f32_f16 v128, v6, v10, v128
	;;#ASMEND
	;;#ASMSTART
	v_dot2_f32_f16 v128, v7, v11, v128
	;;#ASMEND
	s_wait_dscnt 0x7
	;;#ASMSTART
	v_dot2_f32_f16 v126, v4, v12, v126
	;;#ASMEND
	;;#ASMSTART
	v_dot2_f32_f16 v126, v5, v13, v126
	;;#ASMEND
	;;#ASMSTART
	v_dot2_f32_f16 v126, v6, v14, v126
	;;#ASMEND
	;;#ASMSTART
	v_dot2_f32_f16 v126, v7, v15, v126
	;;#ASMEND
	;; [unrolled: 13-line block ×8, first 2 shown]
	;;#ASMSTART
	v_dot2_f32_f16 v130, v24, v8, v130
	;;#ASMEND
	;;#ASMSTART
	v_dot2_f32_f16 v130, v25, v9, v130
	;;#ASMEND
	;; [unrolled: 3-line block ×32, first 2 shown]
	ds_load_b128 v[4:7], v81 offset:64
	ds_load_b128 v[8:11], v76 offset:64
	;; [unrolled: 1-line block ×10, first 2 shown]
	s_wait_dscnt 0x8
	;;#ASMSTART
	v_dot2_f32_f16 v128, v4, v8, v128
	;;#ASMEND
	;;#ASMSTART
	v_dot2_f32_f16 v128, v5, v9, v128
	;;#ASMEND
	;;#ASMSTART
	v_dot2_f32_f16 v128, v6, v10, v128
	;;#ASMEND
	;;#ASMSTART
	v_dot2_f32_f16 v128, v7, v11, v128
	;;#ASMEND
	s_wait_dscnt 0x7
	;;#ASMSTART
	v_dot2_f32_f16 v126, v4, v12, v126
	;;#ASMEND
	;;#ASMSTART
	v_dot2_f32_f16 v126, v5, v13, v126
	;;#ASMEND
	;;#ASMSTART
	v_dot2_f32_f16 v126, v6, v14, v126
	;;#ASMEND
	;;#ASMSTART
	v_dot2_f32_f16 v126, v7, v15, v126
	;;#ASMEND
	;; [unrolled: 13-line block ×8, first 2 shown]
	;;#ASMSTART
	v_dot2_f32_f16 v130, v24, v8, v130
	;;#ASMEND
	;;#ASMSTART
	v_dot2_f32_f16 v130, v25, v9, v130
	;;#ASMEND
	;; [unrolled: 3-line block ×32, first 2 shown]
	ds_load_b128 v[4:7], v81 offset:80
	ds_load_b128 v[8:11], v76 offset:80
	;; [unrolled: 1-line block ×10, first 2 shown]
	s_wait_dscnt 0x8
	;;#ASMSTART
	v_dot2_f32_f16 v128, v4, v8, v128
	;;#ASMEND
	;;#ASMSTART
	v_dot2_f32_f16 v128, v5, v9, v128
	;;#ASMEND
	;;#ASMSTART
	v_dot2_f32_f16 v128, v6, v10, v128
	;;#ASMEND
	;;#ASMSTART
	v_dot2_f32_f16 v128, v7, v11, v128
	;;#ASMEND
	s_wait_dscnt 0x7
	;;#ASMSTART
	v_dot2_f32_f16 v126, v4, v12, v126
	;;#ASMEND
	;;#ASMSTART
	v_dot2_f32_f16 v126, v5, v13, v126
	;;#ASMEND
	;;#ASMSTART
	v_dot2_f32_f16 v126, v6, v14, v126
	;;#ASMEND
	;;#ASMSTART
	v_dot2_f32_f16 v126, v7, v15, v126
	;;#ASMEND
	s_wait_dscnt 0x6
	;;#ASMSTART
	v_dot2_f32_f16 v124, v4, v16, v124
	;;#ASMEND
	;;#ASMSTART
	v_dot2_f32_f16 v124, v5, v17, v124
	;;#ASMEND
	;;#ASMSTART
	v_dot2_f32_f16 v124, v6, v18, v124
	;;#ASMEND
	;;#ASMSTART
	v_dot2_f32_f16 v124, v7, v19, v124
	;;#ASMEND
	s_wait_dscnt 0x5
	;;#ASMSTART
	v_dot2_f32_f16 v123, v4, v20, v123
	;;#ASMEND
	;;#ASMSTART
	v_dot2_f32_f16 v123, v5, v21, v123
	;;#ASMEND
	;;#ASMSTART
	v_dot2_f32_f16 v123, v6, v22, v123
	;;#ASMEND
	;;#ASMSTART
	v_dot2_f32_f16 v123, v7, v23, v123
	;;#ASMEND
	s_wait_dscnt 0x3
	;;#ASMSTART
	v_dot2_f32_f16 v120, v4, v28, v120
	;;#ASMEND
	;;#ASMSTART
	v_dot2_f32_f16 v120, v5, v29, v120
	;;#ASMEND
	;;#ASMSTART
	v_dot2_f32_f16 v120, v6, v30, v120
	;;#ASMEND
	;;#ASMSTART
	v_dot2_f32_f16 v120, v7, v31, v120
	;;#ASMEND
	s_wait_dscnt 0x2
	;;#ASMSTART
	v_dot2_f32_f16 v115, v4, v32, v115
	;;#ASMEND
	;;#ASMSTART
	v_dot2_f32_f16 v115, v5, v33, v115
	;;#ASMEND
	;;#ASMSTART
	v_dot2_f32_f16 v115, v6, v34, v115
	;;#ASMEND
	;;#ASMSTART
	v_dot2_f32_f16 v115, v7, v35, v115
	;;#ASMEND
	s_wait_dscnt 0x1
	;;#ASMSTART
	v_dot2_f32_f16 v116, v4, v36, v116
	;;#ASMEND
	;;#ASMSTART
	v_dot2_f32_f16 v116, v5, v37, v116
	;;#ASMEND
	;;#ASMSTART
	v_dot2_f32_f16 v116, v6, v38, v116
	;;#ASMEND
	;;#ASMSTART
	v_dot2_f32_f16 v116, v7, v39, v116
	;;#ASMEND
	s_wait_dscnt 0x0
	;;#ASMSTART
	v_dot2_f32_f16 v118, v4, v132, v118
	;;#ASMEND
	;;#ASMSTART
	v_dot2_f32_f16 v118, v5, v133, v118
	;;#ASMEND
	;;#ASMSTART
	v_dot2_f32_f16 v118, v6, v134, v118
	;;#ASMEND
	;;#ASMSTART
	v_dot2_f32_f16 v118, v7, v135, v118
	;;#ASMEND
	;;#ASMSTART
	v_dot2_f32_f16 v130, v24, v8, v130
	;;#ASMEND
	;;#ASMSTART
	v_dot2_f32_f16 v130, v25, v9, v130
	;;#ASMEND
	;; [unrolled: 3-line block ×32, first 2 shown]
	ds_load_b128 v[4:7], v81 offset:96
	ds_load_b128 v[8:11], v76 offset:96
	;; [unrolled: 1-line block ×10, first 2 shown]
	s_wait_dscnt 0x8
	;;#ASMSTART
	v_dot2_f32_f16 v128, v4, v8, v128
	;;#ASMEND
	;;#ASMSTART
	v_dot2_f32_f16 v128, v5, v9, v128
	;;#ASMEND
	;;#ASMSTART
	v_dot2_f32_f16 v128, v6, v10, v128
	;;#ASMEND
	;;#ASMSTART
	v_dot2_f32_f16 v128, v7, v11, v128
	;;#ASMEND
	s_wait_dscnt 0x7
	;;#ASMSTART
	v_dot2_f32_f16 v126, v4, v12, v126
	;;#ASMEND
	;;#ASMSTART
	v_dot2_f32_f16 v126, v5, v13, v126
	;;#ASMEND
	;;#ASMSTART
	v_dot2_f32_f16 v126, v6, v14, v126
	;;#ASMEND
	;;#ASMSTART
	v_dot2_f32_f16 v126, v7, v15, v126
	;;#ASMEND
	;; [unrolled: 13-line block ×8, first 2 shown]
	;;#ASMSTART
	v_dot2_f32_f16 v130, v24, v8, v130
	;;#ASMEND
	;;#ASMSTART
	v_dot2_f32_f16 v130, v25, v9, v130
	;;#ASMEND
	;; [unrolled: 3-line block ×32, first 2 shown]
	ds_load_b128 v[4:7], v81 offset:112
	ds_load_b128 v[8:11], v76 offset:112
	;; [unrolled: 1-line block ×10, first 2 shown]
	s_wait_dscnt 0x8
	;;#ASMSTART
	v_dot2_f32_f16 v128, v4, v8, v128
	;;#ASMEND
	;;#ASMSTART
	v_dot2_f32_f16 v128, v5, v9, v128
	;;#ASMEND
	;;#ASMSTART
	v_dot2_f32_f16 v128, v6, v10, v128
	;;#ASMEND
	;;#ASMSTART
	v_dot2_f32_f16 v128, v7, v11, v128
	;;#ASMEND
	s_wait_dscnt 0x7
	;;#ASMSTART
	v_dot2_f32_f16 v126, v4, v12, v126
	;;#ASMEND
	;;#ASMSTART
	v_dot2_f32_f16 v126, v5, v13, v126
	;;#ASMEND
	;;#ASMSTART
	v_dot2_f32_f16 v126, v6, v14, v126
	;;#ASMEND
	;;#ASMSTART
	v_dot2_f32_f16 v126, v7, v15, v126
	;;#ASMEND
	;; [unrolled: 13-line block ×8, first 2 shown]
	;;#ASMSTART
	v_dot2_f32_f16 v130, v24, v8, v130
	;;#ASMEND
	;;#ASMSTART
	v_dot2_f32_f16 v130, v25, v9, v130
	;;#ASMEND
	;; [unrolled: 3-line block ×32, first 2 shown]
	s_barrier_signal -1
	s_barrier_wait -1
	s_clause 0x1
	global_load_b128 v[4:7], v[0:1], off offset:128
	global_load_b128 v[8:11], v[2:3], off offset:128
	s_wait_loadcnt 0x1
	ds_store_b128 v84, v[4:7]
	s_wait_loadcnt 0x0
	ds_store_b128 v85, v[8:11]
	s_wait_dscnt 0x0
	s_barrier_signal -1
	s_barrier_wait -1
	ds_load_b128 v[0:3], v81
	ds_load_b128 v[4:7], v76 offset:128
	ds_load_b128 v[8:11], v76 offset:384
	;; [unrolled: 1-line block ×9, first 2 shown]
	s_wait_dscnt 0x8
	;;#ASMSTART
	v_dot2_f32_f16 v128, v0, v4, v128
	;;#ASMEND
	;;#ASMSTART
	v_dot2_f32_f16 v128, v1, v5, v128
	;;#ASMEND
	;;#ASMSTART
	v_dot2_f32_f16 v128, v2, v6, v128
	;;#ASMEND
	;;#ASMSTART
	v_dot2_f32_f16 v128, v3, v7, v128
	;;#ASMEND
	s_wait_dscnt 0x7
	;;#ASMSTART
	v_dot2_f32_f16 v126, v0, v8, v126
	;;#ASMEND
	;;#ASMSTART
	v_dot2_f32_f16 v126, v1, v9, v126
	;;#ASMEND
	;;#ASMSTART
	v_dot2_f32_f16 v126, v2, v10, v126
	;;#ASMEND
	;;#ASMSTART
	v_dot2_f32_f16 v126, v3, v11, v126
	;;#ASMEND
	;; [unrolled: 13-line block ×8, first 2 shown]
	;;#ASMSTART
	v_dot2_f32_f16 v130, v20, v4, v130
	;;#ASMEND
	;;#ASMSTART
	v_dot2_f32_f16 v130, v21, v5, v130
	;;#ASMEND
	;; [unrolled: 3-line block ×32, first 2 shown]
	ds_load_b128 v[0:3], v81 offset:16
	ds_load_b128 v[4:7], v76 offset:144
	;; [unrolled: 1-line block ×10, first 2 shown]
	s_wait_dscnt 0x8
	;;#ASMSTART
	v_dot2_f32_f16 v128, v0, v4, v128
	;;#ASMEND
	;;#ASMSTART
	v_dot2_f32_f16 v128, v1, v5, v128
	;;#ASMEND
	;;#ASMSTART
	v_dot2_f32_f16 v128, v2, v6, v128
	;;#ASMEND
	;;#ASMSTART
	v_dot2_f32_f16 v128, v3, v7, v128
	;;#ASMEND
	s_wait_dscnt 0x7
	;;#ASMSTART
	v_dot2_f32_f16 v126, v0, v8, v126
	;;#ASMEND
	;;#ASMSTART
	v_dot2_f32_f16 v126, v1, v9, v126
	;;#ASMEND
	;;#ASMSTART
	v_dot2_f32_f16 v126, v2, v10, v126
	;;#ASMEND
	;;#ASMSTART
	v_dot2_f32_f16 v126, v3, v11, v126
	;;#ASMEND
	;; [unrolled: 13-line block ×8, first 2 shown]
	;;#ASMSTART
	v_dot2_f32_f16 v130, v20, v4, v130
	;;#ASMEND
	;;#ASMSTART
	v_dot2_f32_f16 v130, v21, v5, v130
	;;#ASMEND
	;; [unrolled: 3-line block ×32, first 2 shown]
	ds_load_b128 v[0:3], v81 offset:32
	ds_load_b128 v[4:7], v76 offset:160
	;; [unrolled: 1-line block ×10, first 2 shown]
	s_wait_dscnt 0x8
	;;#ASMSTART
	v_dot2_f32_f16 v128, v0, v4, v128
	;;#ASMEND
	;;#ASMSTART
	v_dot2_f32_f16 v128, v1, v5, v128
	;;#ASMEND
	;;#ASMSTART
	v_dot2_f32_f16 v128, v2, v6, v128
	;;#ASMEND
	;;#ASMSTART
	v_dot2_f32_f16 v128, v3, v7, v128
	;;#ASMEND
	s_wait_dscnt 0x7
	;;#ASMSTART
	v_dot2_f32_f16 v126, v0, v8, v126
	;;#ASMEND
	;;#ASMSTART
	v_dot2_f32_f16 v126, v1, v9, v126
	;;#ASMEND
	;;#ASMSTART
	v_dot2_f32_f16 v126, v2, v10, v126
	;;#ASMEND
	;;#ASMSTART
	v_dot2_f32_f16 v126, v3, v11, v126
	;;#ASMEND
	;; [unrolled: 13-line block ×8, first 2 shown]
	;;#ASMSTART
	v_dot2_f32_f16 v130, v20, v4, v130
	;;#ASMEND
	;;#ASMSTART
	v_dot2_f32_f16 v130, v21, v5, v130
	;;#ASMEND
	;; [unrolled: 3-line block ×32, first 2 shown]
	ds_load_b128 v[0:3], v81 offset:48
	ds_load_b128 v[4:7], v76 offset:176
	;; [unrolled: 1-line block ×10, first 2 shown]
	s_wait_dscnt 0x8
	;;#ASMSTART
	v_dot2_f32_f16 v128, v0, v4, v128
	;;#ASMEND
	;;#ASMSTART
	v_dot2_f32_f16 v128, v1, v5, v128
	;;#ASMEND
	;;#ASMSTART
	v_dot2_f32_f16 v128, v2, v6, v128
	;;#ASMEND
	;;#ASMSTART
	v_dot2_f32_f16 v128, v3, v7, v128
	;;#ASMEND
	s_wait_dscnt 0x7
	;;#ASMSTART
	v_dot2_f32_f16 v126, v0, v8, v126
	;;#ASMEND
	;;#ASMSTART
	v_dot2_f32_f16 v126, v1, v9, v126
	;;#ASMEND
	;;#ASMSTART
	v_dot2_f32_f16 v126, v2, v10, v126
	;;#ASMEND
	;;#ASMSTART
	v_dot2_f32_f16 v126, v3, v11, v126
	;;#ASMEND
	;; [unrolled: 13-line block ×8, first 2 shown]
	;;#ASMSTART
	v_dot2_f32_f16 v130, v20, v4, v130
	;;#ASMEND
	;;#ASMSTART
	v_dot2_f32_f16 v130, v21, v5, v130
	;;#ASMEND
	;; [unrolled: 3-line block ×32, first 2 shown]
	ds_load_b128 v[0:3], v81 offset:64
	ds_load_b128 v[4:7], v76 offset:192
	;; [unrolled: 1-line block ×10, first 2 shown]
	s_wait_dscnt 0x8
	;;#ASMSTART
	v_dot2_f32_f16 v128, v0, v4, v128
	;;#ASMEND
	;;#ASMSTART
	v_dot2_f32_f16 v128, v1, v5, v128
	;;#ASMEND
	;;#ASMSTART
	v_dot2_f32_f16 v128, v2, v6, v128
	;;#ASMEND
	;;#ASMSTART
	v_dot2_f32_f16 v128, v3, v7, v128
	;;#ASMEND
	s_wait_dscnt 0x7
	;;#ASMSTART
	v_dot2_f32_f16 v126, v0, v8, v126
	;;#ASMEND
	;;#ASMSTART
	v_dot2_f32_f16 v126, v1, v9, v126
	;;#ASMEND
	;;#ASMSTART
	v_dot2_f32_f16 v126, v2, v10, v126
	;;#ASMEND
	;;#ASMSTART
	v_dot2_f32_f16 v126, v3, v11, v126
	;;#ASMEND
	;; [unrolled: 13-line block ×8, first 2 shown]
	;;#ASMSTART
	v_dot2_f32_f16 v130, v20, v4, v130
	;;#ASMEND
	;;#ASMSTART
	v_dot2_f32_f16 v130, v21, v5, v130
	;;#ASMEND
	;;#ASMSTART
	v_dot2_f32_f16 v130, v22, v6, v130
	;;#ASMEND
	;;#ASMSTART
	v_dot2_f32_f16 v130, v23, v7, v130
	;;#ASMEND
	;;#ASMSTART
	v_dot2_f32_f16 v129, v20, v8, v129
	;;#ASMEND
	;;#ASMSTART
	v_dot2_f32_f16 v129, v21, v9, v129
	;;#ASMEND
	;;#ASMSTART
	v_dot2_f32_f16 v129, v22, v10, v129
	;;#ASMEND
	;;#ASMSTART
	v_dot2_f32_f16 v129, v23, v11, v129
	;;#ASMEND
	;;#ASMSTART
	v_dot2_f32_f16 v127, v20, v12, v127
	;;#ASMEND
	;;#ASMSTART
	v_dot2_f32_f16 v127, v21, v13, v127
	;;#ASMEND
	;;#ASMSTART
	v_dot2_f32_f16 v127, v22, v14, v127
	;;#ASMEND
	;;#ASMSTART
	v_dot2_f32_f16 v127, v23, v15, v127
	;;#ASMEND
	;;#ASMSTART
	v_dot2_f32_f16 v125, v20, v16, v125
	;;#ASMEND
	;;#ASMSTART
	v_dot2_f32_f16 v125, v21, v17, v125
	;;#ASMEND
	;;#ASMSTART
	v_dot2_f32_f16 v125, v22, v18, v125
	;;#ASMEND
	;;#ASMSTART
	v_dot2_f32_f16 v125, v23, v19, v125
	;;#ASMEND
	;;#ASMSTART
	v_dot2_f32_f16 v122, v20, v24, v122
	;;#ASMEND
	;;#ASMSTART
	v_dot2_f32_f16 v122, v21, v25, v122
	;;#ASMEND
	;;#ASMSTART
	v_dot2_f32_f16 v122, v22, v26, v122
	;;#ASMEND
	;;#ASMSTART
	v_dot2_f32_f16 v122, v23, v27, v122
	;;#ASMEND
	;;#ASMSTART
	v_dot2_f32_f16 v121, v20, v28, v121
	;;#ASMEND
	;;#ASMSTART
	v_dot2_f32_f16 v121, v21, v29, v121
	;;#ASMEND
	;;#ASMSTART
	v_dot2_f32_f16 v121, v22, v30, v121
	;;#ASMEND
	;;#ASMSTART
	v_dot2_f32_f16 v121, v23, v31, v121
	;;#ASMEND
	;;#ASMSTART
	v_dot2_f32_f16 v117, v20, v32, v117
	;;#ASMEND
	;;#ASMSTART
	v_dot2_f32_f16 v117, v21, v33, v117
	;;#ASMEND
	;;#ASMSTART
	v_dot2_f32_f16 v117, v22, v34, v117
	;;#ASMEND
	;;#ASMSTART
	v_dot2_f32_f16 v117, v23, v35, v117
	;;#ASMEND
	;;#ASMSTART
	v_dot2_f32_f16 v119, v20, v36, v119
	;;#ASMEND
	;;#ASMSTART
	v_dot2_f32_f16 v119, v21, v37, v119
	;;#ASMEND
	;;#ASMSTART
	v_dot2_f32_f16 v119, v22, v38, v119
	;;#ASMEND
	;;#ASMSTART
	v_dot2_f32_f16 v119, v23, v39, v119
	;;#ASMEND
	ds_load_b128 v[0:3], v81 offset:80
	ds_load_b128 v[4:7], v76 offset:208
	;; [unrolled: 1-line block ×10, first 2 shown]
	s_wait_dscnt 0x8
	;;#ASMSTART
	v_dot2_f32_f16 v128, v0, v4, v128
	;;#ASMEND
	;;#ASMSTART
	v_dot2_f32_f16 v128, v1, v5, v128
	;;#ASMEND
	;;#ASMSTART
	v_dot2_f32_f16 v128, v2, v6, v128
	;;#ASMEND
	;;#ASMSTART
	v_dot2_f32_f16 v128, v3, v7, v128
	;;#ASMEND
	s_wait_dscnt 0x7
	;;#ASMSTART
	v_dot2_f32_f16 v126, v0, v8, v126
	;;#ASMEND
	;;#ASMSTART
	v_dot2_f32_f16 v126, v1, v9, v126
	;;#ASMEND
	;;#ASMSTART
	v_dot2_f32_f16 v126, v2, v10, v126
	;;#ASMEND
	;;#ASMSTART
	v_dot2_f32_f16 v126, v3, v11, v126
	;;#ASMEND
	;; [unrolled: 13-line block ×8, first 2 shown]
	;;#ASMSTART
	v_dot2_f32_f16 v130, v20, v4, v130
	;;#ASMEND
	;;#ASMSTART
	v_dot2_f32_f16 v130, v21, v5, v130
	;;#ASMEND
	;; [unrolled: 3-line block ×32, first 2 shown]
	ds_load_b128 v[0:3], v81 offset:96
	ds_load_b128 v[4:7], v76 offset:224
	;; [unrolled: 1-line block ×10, first 2 shown]
	s_wait_dscnt 0x8
	;;#ASMSTART
	v_dot2_f32_f16 v128, v0, v4, v128
	;;#ASMEND
	;;#ASMSTART
	v_dot2_f32_f16 v128, v1, v5, v128
	;;#ASMEND
	;;#ASMSTART
	v_dot2_f32_f16 v128, v2, v6, v128
	;;#ASMEND
	;;#ASMSTART
	v_dot2_f32_f16 v128, v3, v7, v128
	;;#ASMEND
	s_wait_dscnt 0x7
	;;#ASMSTART
	v_dot2_f32_f16 v126, v0, v8, v126
	;;#ASMEND
	;;#ASMSTART
	v_dot2_f32_f16 v126, v1, v9, v126
	;;#ASMEND
	;;#ASMSTART
	v_dot2_f32_f16 v126, v2, v10, v126
	;;#ASMEND
	;;#ASMSTART
	v_dot2_f32_f16 v126, v3, v11, v126
	;;#ASMEND
	;; [unrolled: 13-line block ×8, first 2 shown]
	;;#ASMSTART
	v_dot2_f32_f16 v130, v20, v4, v130
	;;#ASMEND
	;;#ASMSTART
	v_dot2_f32_f16 v130, v21, v5, v130
	;;#ASMEND
	;; [unrolled: 3-line block ×32, first 2 shown]
	ds_load_b128 v[4:7], v81 offset:112
	ds_load_b128 v[8:11], v76 offset:240
	;; [unrolled: 1-line block ×10, first 2 shown]
	s_wait_dscnt 0x8
	;;#ASMSTART
	v_dot2_f32_f16 v128, v4, v8, v128
	;;#ASMEND
	;;#ASMSTART
	v_dot2_f32_f16 v128, v5, v9, v128
	;;#ASMEND
	;;#ASMSTART
	v_dot2_f32_f16 v128, v6, v10, v128
	;;#ASMEND
	;;#ASMSTART
	v_dot2_f32_f16 v128, v7, v11, v128
	;;#ASMEND
	s_wait_dscnt 0x7
	;;#ASMSTART
	v_dot2_f32_f16 v126, v4, v12, v126
	;;#ASMEND
	;;#ASMSTART
	v_dot2_f32_f16 v126, v5, v13, v126
	;;#ASMEND
	;;#ASMSTART
	v_dot2_f32_f16 v126, v6, v14, v126
	;;#ASMEND
	;;#ASMSTART
	v_dot2_f32_f16 v126, v7, v15, v126
	;;#ASMEND
	;; [unrolled: 13-line block ×8, first 2 shown]
	;;#ASMSTART
	v_dot2_f32_f16 v130, v0, v8, v130
	;;#ASMEND
	;;#ASMSTART
	v_dot2_f32_f16 v130, v1, v9, v130
	;;#ASMEND
	;; [unrolled: 3-line block ×25, first 2 shown]
	v_cmp_ngt_f32_e64 s2, 0x3f200000, |v128|
	;;#ASMSTART
	v_dot2_f32_f16 v117, v1, v33, v117
	;;#ASMEND
	;;#ASMSTART
	v_dot2_f32_f16 v117, v2, v34, v117
	;;#ASMEND
	;;#ASMSTART
	v_dot2_f32_f16 v117, v3, v35, v117
	;;#ASMEND
	;;#ASMSTART
	v_dot2_f32_f16 v119, v0, v36, v119
	;;#ASMEND
	;;#ASMSTART
	v_dot2_f32_f16 v119, v1, v37, v119
	;;#ASMEND
	;;#ASMSTART
	v_dot2_f32_f16 v119, v2, v38, v119
	;;#ASMEND
	;;#ASMSTART
	v_dot2_f32_f16 v119, v3, v39, v119
	;;#ASMEND
                                        ; implicit-def: $vgpr2
	s_and_saveexec_b32 s3, s2
	s_delay_alu instid0(SALU_CYCLE_1)
	s_xor_b32 s2, exec_lo, s3
	s_cbranch_execz .LBB80_11
; %bb.10:                               ;   in Loop: Header=BB80_9 Depth=1
	v_add_f32_e64 v0, |v128|, |v128|
	s_delay_alu instid0(VALU_DEP_1) | instskip(SKIP_1) | instid1(VALU_DEP_2)
	v_mul_f32_e32 v1, 0x3fb8aa3b, v0
	v_cmp_ngt_f32_e32 vcc_lo, 0xc2ce8ed0, v0
	v_rndne_f32_e32 v2, v1
	v_fma_f32 v3, 0x3fb8aa3b, v0, -v1
	s_delay_alu instid0(VALU_DEP_2) | instskip(NEXT) | instid1(VALU_DEP_2)
	v_sub_f32_e32 v1, v1, v2
	v_fmac_f32_e32 v3, 0x32a5705f, v0
	v_cvt_i32_f32_e32 v2, v2
	s_delay_alu instid0(VALU_DEP_2) | instskip(NEXT) | instid1(VALU_DEP_1)
	v_add_f32_e32 v1, v1, v3
	v_exp_f32_e32 v1, v1
	v_nop
	s_delay_alu instid0(TRANS32_DEP_1) | instskip(NEXT) | instid1(VALU_DEP_1)
	v_ldexp_f32 v1, v1, v2
	v_cndmask_b32_e32 v1, 0, v1, vcc_lo
	v_cmp_nlt_f32_e32 vcc_lo, 0x42b17218, v0
	s_delay_alu instid0(VALU_DEP_2) | instskip(NEXT) | instid1(VALU_DEP_1)
	v_cndmask_b32_e32 v0, 0x7f800000, v1, vcc_lo
	v_add_f32_e32 v0, 1.0, v0
	s_delay_alu instid0(VALU_DEP_1) | instskip(SKIP_1) | instid1(TRANS32_DEP_1)
	v_rcp_f32_e32 v0, v0
	v_nop
	v_fma_f32 v2, v0, -2.0, 1.0
.LBB80_11:                              ;   in Loop: Header=BB80_9 Depth=1
	s_and_not1_saveexec_b32 s2, s2
	s_cbranch_execz .LBB80_13
; %bb.12:                               ;   in Loop: Header=BB80_9 Depth=1
	v_mul_f32_e32 v0, v128, v128
	s_delay_alu instid0(VALU_DEP_1) | instskip(NEXT) | instid1(VALU_DEP_1)
	v_fmaak_f32 v1, s44, v0, 0x3ca908c9
	v_fmaak_f32 v1, v0, v1, 0xbd5c1c4e
	s_delay_alu instid0(VALU_DEP_1) | instskip(NEXT) | instid1(VALU_DEP_1)
	v_fmaak_f32 v1, v0, v1, 0x3e088382
	v_fmaak_f32 v1, v0, v1, 0xbeaaaa99
	s_delay_alu instid0(VALU_DEP_1) | instskip(NEXT) | instid1(VALU_DEP_1)
	v_mul_f32_e64 v1, |v128|, v1
	v_fma_f32 v2, v0, v1, |v128|
.LBB80_13:                              ;   in Loop: Header=BB80_9 Depth=1
	s_or_b32 exec_lo, exec_lo, s2
	v_add_nc_u32_e32 v5, s14, v74
	v_cmp_ngt_f32_e64 s2, 0x3f200000, |v130|
                                        ; implicit-def: $vgpr3
	s_delay_alu instid0(VALU_DEP_2) | instskip(SKIP_3) | instid1(SALU_CYCLE_1)
	v_add_nc_u32_e32 v0, v5, v82
	global_load_u16 v6, v0, s[36:37] scale_offset
	s_wait_xcnt 0x0
	s_and_saveexec_b32 s3, s2
	s_xor_b32 s2, exec_lo, s3
	s_cbranch_execz .LBB80_15
; %bb.14:                               ;   in Loop: Header=BB80_9 Depth=1
	v_add_f32_e64 v1, |v130|, |v130|
	s_delay_alu instid0(VALU_DEP_1) | instskip(SKIP_1) | instid1(VALU_DEP_2)
	v_mul_f32_e32 v3, 0x3fb8aa3b, v1
	v_cmp_ngt_f32_e32 vcc_lo, 0xc2ce8ed0, v1
	v_rndne_f32_e32 v4, v3
	v_fma_f32 v7, 0x3fb8aa3b, v1, -v3
	s_delay_alu instid0(VALU_DEP_2) | instskip(NEXT) | instid1(VALU_DEP_2)
	v_sub_f32_e32 v3, v3, v4
	v_fmac_f32_e32 v7, 0x32a5705f, v1
	v_cvt_i32_f32_e32 v4, v4
	s_delay_alu instid0(VALU_DEP_2) | instskip(NEXT) | instid1(VALU_DEP_1)
	v_add_f32_e32 v3, v3, v7
	v_exp_f32_e32 v3, v3
	v_nop
	s_delay_alu instid0(TRANS32_DEP_1) | instskip(NEXT) | instid1(VALU_DEP_1)
	v_ldexp_f32 v3, v3, v4
	v_cndmask_b32_e32 v3, 0, v3, vcc_lo
	v_cmp_nlt_f32_e32 vcc_lo, 0x42b17218, v1
	s_delay_alu instid0(VALU_DEP_2) | instskip(NEXT) | instid1(VALU_DEP_1)
	v_cndmask_b32_e32 v1, 0x7f800000, v3, vcc_lo
	v_add_f32_e32 v1, 1.0, v1
	s_delay_alu instid0(VALU_DEP_1) | instskip(SKIP_1) | instid1(TRANS32_DEP_1)
	v_rcp_f32_e32 v1, v1
	v_nop
	v_fma_f32 v3, v1, -2.0, 1.0
.LBB80_15:                              ;   in Loop: Header=BB80_9 Depth=1
	s_and_not1_saveexec_b32 s2, s2
	s_cbranch_execz .LBB80_17
; %bb.16:                               ;   in Loop: Header=BB80_9 Depth=1
	v_mul_f32_e32 v1, v130, v130
	s_delay_alu instid0(VALU_DEP_1) | instskip(NEXT) | instid1(VALU_DEP_1)
	v_fmaak_f32 v3, s44, v1, 0x3ca908c9
	v_fmaak_f32 v3, v1, v3, 0xbd5c1c4e
	s_delay_alu instid0(VALU_DEP_1) | instskip(NEXT) | instid1(VALU_DEP_1)
	v_fmaak_f32 v3, v1, v3, 0x3e088382
	v_fmaak_f32 v3, v1, v3, 0xbeaaaa99
	s_delay_alu instid0(VALU_DEP_1) | instskip(NEXT) | instid1(VALU_DEP_1)
	v_mul_f32_e64 v3, |v130|, v3
	v_fma_f32 v3, v1, v3, |v130|
.LBB80_17:                              ;   in Loop: Header=BB80_9 Depth=1
	s_or_b32 exec_lo, exec_lo, s2
	v_dual_ashrrev_i32 v1, 31, v0 :: v_dual_bitop2_b32 v30, 16, v78 bitop3:0x14
	v_xor_b32_e32 v29, 8, v78
	v_cmp_ngt_f32_e64 s2, 0x3f200000, |v126|
	v_xor_b32_e32 v28, 4, v78
	s_delay_alu instid0(VALU_DEP_4)
	v_lshl_add_u64 v[0:1], v[0:1], 1, s[36:37]
	v_cmp_gt_i32_e32 vcc_lo, 32, v30
	v_xor_b32_e32 v26, 1, v78
	global_load_u16 v0, v[0:1], off offset:64
	s_wait_xcnt 0x0
	v_bfi_b32 v1, 0x7fffffff, v2, v128
	v_bfi_b32 v2, 0x7fffffff, v3, v130
	s_wait_loadcnt 0x1
	s_delay_alu instid0(VALU_DEP_2) | instskip(NEXT) | instid1(VALU_DEP_1)
	v_fma_mix_f32 v9, s29, v1, v6 op_sel_hi:[0,0,1]
	v_add_f32_e32 v1, 0x40051340, v9
	s_wait_loadcnt 0x0
	v_fma_mix_f32 v10, s29, v2, v0 op_sel_hi:[0,0,1]
	v_cndmask_b32_e32 v2, v78, v30, vcc_lo
	v_cmp_gt_i32_e32 vcc_lo, 32, v29
	s_delay_alu instid0(VALU_DEP_3) | instskip(NEXT) | instid1(VALU_DEP_3)
	v_add_f32_e32 v3, 0x40051340, v10
	v_dual_lshlrev_b32 v2, 2, v2 :: v_dual_cndmask_b32 v4, v78, v29, vcc_lo
	v_cmp_gt_i32_e32 vcc_lo, 32, v28
	s_delay_alu instid0(VALU_DEP_3) | instskip(NEXT) | instid1(VALU_DEP_3)
	v_max3_num_f32 v1, v112, v1, v3
	v_lshlrev_b32_e32 v11, 2, v4
	ds_bpermute_b32 v3, v2, v1
	s_wait_dscnt 0x0
	v_max_num_f32_e32 v3, v3, v3
	s_delay_alu instid0(VALU_DEP_1) | instskip(SKIP_3) | instid1(VALU_DEP_1)
	v_max_num_f32_e32 v1, v1, v3
	ds_bpermute_b32 v3, v11, v1
	s_wait_dscnt 0x0
	v_dual_cndmask_b32 v4, v78, v28 :: v_dual_max_num_f32 v3, v3, v3
	v_dual_max_num_f32 v1, v1, v3 :: v_dual_lshlrev_b32 v8, 2, v4
	ds_bpermute_b32 v3, v8, v1
	s_wait_dscnt 0x0
	v_dual_max_num_f32 v3, v3, v3 :: v_dual_bitop2_b32 v27, 2, v78 bitop3:0x14
	s_delay_alu instid0(VALU_DEP_1) | instskip(NEXT) | instid1(VALU_DEP_2)
	v_cmp_gt_i32_e32 vcc_lo, 32, v27
	v_max_num_f32_e32 v1, v1, v3
	v_cndmask_b32_e32 v4, v78, v27, vcc_lo
	v_cmp_gt_i32_e32 vcc_lo, 32, v26
	s_delay_alu instid0(VALU_DEP_2) | instskip(SKIP_3) | instid1(VALU_DEP_1)
	v_lshlrev_b32_e32 v16, 2, v4
	ds_bpermute_b32 v3, v16, v1
	s_wait_dscnt 0x0
	v_dual_cndmask_b32 v4, v78, v26 :: v_dual_max_num_f32 v3, v3, v3
	v_dual_lshlrev_b32 v7, 2, v4 :: v_dual_max_num_f32 v3, v1, v3
                                        ; implicit-def: $vgpr1
	ds_bpermute_b32 v4, v7, v3
	s_and_saveexec_b32 s3, s2
	s_delay_alu instid0(SALU_CYCLE_1)
	s_xor_b32 s2, exec_lo, s3
	s_cbranch_execz .LBB80_19
; %bb.18:                               ;   in Loop: Header=BB80_9 Depth=1
	v_add_f32_e64 v1, |v126|, |v126|
	s_delay_alu instid0(VALU_DEP_1) | instskip(SKIP_1) | instid1(VALU_DEP_2)
	v_mul_f32_e32 v12, 0x3fb8aa3b, v1
	v_cmp_ngt_f32_e32 vcc_lo, 0xc2ce8ed0, v1
	v_rndne_f32_e32 v13, v12
	v_fma_f32 v14, 0x3fb8aa3b, v1, -v12
	s_delay_alu instid0(VALU_DEP_2) | instskip(NEXT) | instid1(VALU_DEP_2)
	v_sub_f32_e32 v12, v12, v13
	v_fmac_f32_e32 v14, 0x32a5705f, v1
	v_cvt_i32_f32_e32 v13, v13
	s_delay_alu instid0(VALU_DEP_2) | instskip(NEXT) | instid1(VALU_DEP_1)
	v_add_f32_e32 v12, v12, v14
	v_exp_f32_e32 v12, v12
	v_nop
	s_delay_alu instid0(TRANS32_DEP_1) | instskip(NEXT) | instid1(VALU_DEP_1)
	v_ldexp_f32 v12, v12, v13
	v_cndmask_b32_e32 v12, 0, v12, vcc_lo
	v_cmp_nlt_f32_e32 vcc_lo, 0x42b17218, v1
	s_delay_alu instid0(VALU_DEP_2) | instskip(NEXT) | instid1(VALU_DEP_1)
	v_cndmask_b32_e32 v1, 0x7f800000, v12, vcc_lo
	v_add_f32_e32 v1, 1.0, v1
	s_delay_alu instid0(VALU_DEP_1) | instskip(SKIP_1) | instid1(TRANS32_DEP_1)
	v_rcp_f32_e32 v1, v1
	v_nop
	v_fma_f32 v1, v1, -2.0, 1.0
.LBB80_19:                              ;   in Loop: Header=BB80_9 Depth=1
	s_and_not1_saveexec_b32 s2, s2
	s_cbranch_execz .LBB80_21
; %bb.20:                               ;   in Loop: Header=BB80_9 Depth=1
	v_mul_f32_e32 v1, v126, v126
	s_delay_alu instid0(VALU_DEP_1) | instskip(NEXT) | instid1(VALU_DEP_1)
	v_fmaak_f32 v12, s44, v1, 0x3ca908c9
	v_fmaak_f32 v12, v1, v12, 0xbd5c1c4e
	s_delay_alu instid0(VALU_DEP_1) | instskip(NEXT) | instid1(VALU_DEP_1)
	v_fmaak_f32 v12, v1, v12, 0x3e088382
	v_fmaak_f32 v12, v1, v12, 0xbeaaaa99
	s_delay_alu instid0(VALU_DEP_1) | instskip(NEXT) | instid1(VALU_DEP_1)
	v_mul_f32_e64 v12, |v126|, v12
	v_fma_f32 v1, v1, v12, |v126|
.LBB80_21:                              ;   in Loop: Header=BB80_9 Depth=1
	s_or_b32 exec_lo, exec_lo, s2
	v_cmp_ngt_f32_e64 s2, 0x3f200000, |v129|
                                        ; implicit-def: $vgpr14
	s_and_saveexec_b32 s3, s2
	s_delay_alu instid0(SALU_CYCLE_1)
	s_xor_b32 s2, exec_lo, s3
	s_cbranch_execz .LBB80_23
; %bb.22:                               ;   in Loop: Header=BB80_9 Depth=1
	v_add_f32_e64 v12, |v129|, |v129|
	s_delay_alu instid0(VALU_DEP_1) | instskip(SKIP_1) | instid1(VALU_DEP_2)
	v_mul_f32_e32 v13, 0x3fb8aa3b, v12
	v_cmp_ngt_f32_e32 vcc_lo, 0xc2ce8ed0, v12
	v_rndne_f32_e32 v14, v13
	v_fma_f32 v15, 0x3fb8aa3b, v12, -v13
	s_delay_alu instid0(VALU_DEP_2) | instskip(NEXT) | instid1(VALU_DEP_2)
	v_sub_f32_e32 v13, v13, v14
	v_fmac_f32_e32 v15, 0x32a5705f, v12
	v_cvt_i32_f32_e32 v14, v14
	s_delay_alu instid0(VALU_DEP_2) | instskip(NEXT) | instid1(VALU_DEP_1)
	v_add_f32_e32 v13, v13, v15
	v_exp_f32_e32 v13, v13
	v_nop
	s_delay_alu instid0(TRANS32_DEP_1) | instskip(NEXT) | instid1(VALU_DEP_1)
	v_ldexp_f32 v13, v13, v14
	v_cndmask_b32_e32 v13, 0, v13, vcc_lo
	v_cmp_nlt_f32_e32 vcc_lo, 0x42b17218, v12
	s_delay_alu instid0(VALU_DEP_2) | instskip(NEXT) | instid1(VALU_DEP_1)
	v_cndmask_b32_e32 v12, 0x7f800000, v13, vcc_lo
	v_add_f32_e32 v12, 1.0, v12
	s_delay_alu instid0(VALU_DEP_1) | instskip(SKIP_1) | instid1(TRANS32_DEP_1)
	v_rcp_f32_e32 v12, v12
	v_nop
	v_fma_f32 v14, v12, -2.0, 1.0
.LBB80_23:                              ;   in Loop: Header=BB80_9 Depth=1
	s_and_not1_saveexec_b32 s2, s2
	s_cbranch_execz .LBB80_25
; %bb.24:                               ;   in Loop: Header=BB80_9 Depth=1
	v_mul_f32_e32 v12, v129, v129
	s_delay_alu instid0(VALU_DEP_1) | instskip(NEXT) | instid1(VALU_DEP_1)
	v_fmaak_f32 v13, s44, v12, 0x3ca908c9
	v_fmaak_f32 v13, v12, v13, 0xbd5c1c4e
	s_delay_alu instid0(VALU_DEP_1) | instskip(NEXT) | instid1(VALU_DEP_1)
	v_fmaak_f32 v13, v12, v13, 0x3e088382
	v_fmaak_f32 v13, v12, v13, 0xbeaaaa99
	s_delay_alu instid0(VALU_DEP_1) | instskip(NEXT) | instid1(VALU_DEP_1)
	v_mul_f32_e64 v13, |v129|, v13
	v_fma_f32 v14, v12, v13, |v129|
.LBB80_25:                              ;   in Loop: Header=BB80_9 Depth=1
	s_or_b32 exec_lo, exec_lo, s2
	v_cvt_f32_f16_e32 v12, v6
	v_cvt_f32_f16_e32 v13, v0
	v_bfi_b32 v0, 0x7fffffff, v1, v126
	v_bfi_b32 v1, 0x7fffffff, v14, v129
	v_cmp_ngt_f32_e64 s2, 0x3f200000, |v124|
                                        ; implicit-def: $vgpr14
	s_delay_alu instid0(VALU_DEP_2) | instskip(NEXT) | instid1(VALU_DEP_1)
	v_dual_fmac_f32 v12, s29, v0 :: v_dual_fmac_f32 v13, s29, v1
	v_dual_add_f32 v0, 0x40051340, v12 :: v_dual_add_f32 v1, 0x40051340, v13
	s_delay_alu instid0(VALU_DEP_1) | instskip(SKIP_3) | instid1(VALU_DEP_1)
	v_max3_num_f32 v0, v114, v0, v1
	ds_bpermute_b32 v1, v2, v0
	s_wait_dscnt 0x0
	v_max_num_f32_e32 v1, v1, v1
	v_max_num_f32_e32 v0, v0, v1
	ds_bpermute_b32 v1, v11, v0
	s_wait_dscnt 0x0
	v_max_num_f32_e32 v1, v1, v1
	s_delay_alu instid0(VALU_DEP_1) | instskip(SKIP_3) | instid1(VALU_DEP_1)
	v_max_num_f32_e32 v0, v0, v1
	ds_bpermute_b32 v1, v8, v0
	s_wait_dscnt 0x0
	v_max_num_f32_e32 v1, v1, v1
	v_max_num_f32_e32 v0, v0, v1
	ds_bpermute_b32 v1, v16, v0
	s_wait_dscnt 0x0
	v_max_num_f32_e32 v1, v1, v1
	s_delay_alu instid0(VALU_DEP_1) | instskip(SKIP_2) | instid1(SALU_CYCLE_1)
	v_max_num_f32_e32 v6, v0, v1
	ds_bpermute_b32 v17, v7, v6
	s_and_saveexec_b32 s3, s2
	s_xor_b32 s2, exec_lo, s3
	s_cbranch_execz .LBB80_27
; %bb.26:                               ;   in Loop: Header=BB80_9 Depth=1
	v_add_f32_e64 v0, |v124|, |v124|
	s_delay_alu instid0(VALU_DEP_1) | instskip(SKIP_1) | instid1(VALU_DEP_2)
	v_mul_f32_e32 v1, 0x3fb8aa3b, v0
	v_cmp_ngt_f32_e32 vcc_lo, 0xc2ce8ed0, v0
	v_rndne_f32_e32 v14, v1
	v_fma_f32 v15, 0x3fb8aa3b, v0, -v1
	s_delay_alu instid0(VALU_DEP_2) | instskip(NEXT) | instid1(VALU_DEP_2)
	v_sub_f32_e32 v1, v1, v14
	v_fmac_f32_e32 v15, 0x32a5705f, v0
	v_cvt_i32_f32_e32 v14, v14
	s_delay_alu instid0(VALU_DEP_2) | instskip(NEXT) | instid1(VALU_DEP_1)
	v_add_f32_e32 v1, v1, v15
	v_exp_f32_e32 v1, v1
	v_nop
	s_delay_alu instid0(TRANS32_DEP_1) | instskip(NEXT) | instid1(VALU_DEP_1)
	v_ldexp_f32 v1, v1, v14
	v_cndmask_b32_e32 v1, 0, v1, vcc_lo
	v_cmp_nlt_f32_e32 vcc_lo, 0x42b17218, v0
	s_delay_alu instid0(VALU_DEP_2) | instskip(NEXT) | instid1(VALU_DEP_1)
	v_cndmask_b32_e32 v0, 0x7f800000, v1, vcc_lo
	v_add_f32_e32 v0, 1.0, v0
	s_delay_alu instid0(VALU_DEP_1) | instskip(SKIP_1) | instid1(TRANS32_DEP_1)
	v_rcp_f32_e32 v0, v0
	v_nop
	v_fma_f32 v14, v0, -2.0, 1.0
.LBB80_27:                              ;   in Loop: Header=BB80_9 Depth=1
	s_and_not1_saveexec_b32 s2, s2
	s_cbranch_execz .LBB80_29
; %bb.28:                               ;   in Loop: Header=BB80_9 Depth=1
	v_mul_f32_e32 v0, v124, v124
	s_delay_alu instid0(VALU_DEP_1) | instskip(NEXT) | instid1(VALU_DEP_1)
	v_fmaak_f32 v1, s44, v0, 0x3ca908c9
	v_fmaak_f32 v1, v0, v1, 0xbd5c1c4e
	s_delay_alu instid0(VALU_DEP_1) | instskip(NEXT) | instid1(VALU_DEP_1)
	v_fmaak_f32 v1, v0, v1, 0x3e088382
	v_fmaak_f32 v1, v0, v1, 0xbeaaaa99
	s_delay_alu instid0(VALU_DEP_1) | instskip(NEXT) | instid1(VALU_DEP_1)
	v_mul_f32_e64 v1, |v124|, v1
	v_fma_f32 v14, v0, v1, |v124|
.LBB80_29:                              ;   in Loop: Header=BB80_9 Depth=1
	s_or_b32 exec_lo, exec_lo, s2
	v_add_nc_u32_e32 v0, v5, v88
	v_cmp_ngt_f32_e64 s2, 0x3f200000, |v127|
                                        ; implicit-def: $vgpr15
	global_load_u16 v20, v0, s[36:37] scale_offset
	s_wait_xcnt 0x0
	s_and_saveexec_b32 s3, s2
	s_delay_alu instid0(SALU_CYCLE_1)
	s_xor_b32 s2, exec_lo, s3
	s_cbranch_execz .LBB80_31
; %bb.30:                               ;   in Loop: Header=BB80_9 Depth=1
	v_add_f32_e64 v1, |v127|, |v127|
	s_delay_alu instid0(VALU_DEP_1) | instskip(SKIP_1) | instid1(VALU_DEP_2)
	v_mul_f32_e32 v15, 0x3fb8aa3b, v1
	v_cmp_ngt_f32_e32 vcc_lo, 0xc2ce8ed0, v1
	v_rndne_f32_e32 v18, v15
	v_fma_f32 v19, 0x3fb8aa3b, v1, -v15
	s_delay_alu instid0(VALU_DEP_2) | instskip(NEXT) | instid1(VALU_DEP_2)
	v_sub_f32_e32 v15, v15, v18
	v_fmac_f32_e32 v19, 0x32a5705f, v1
	v_cvt_i32_f32_e32 v18, v18
	s_delay_alu instid0(VALU_DEP_2) | instskip(NEXT) | instid1(VALU_DEP_1)
	v_add_f32_e32 v15, v15, v19
	v_exp_f32_e32 v15, v15
	v_nop
	s_delay_alu instid0(TRANS32_DEP_1) | instskip(NEXT) | instid1(VALU_DEP_1)
	v_ldexp_f32 v15, v15, v18
	v_cndmask_b32_e32 v15, 0, v15, vcc_lo
	v_cmp_nlt_f32_e32 vcc_lo, 0x42b17218, v1
	s_delay_alu instid0(VALU_DEP_2) | instskip(NEXT) | instid1(VALU_DEP_1)
	v_cndmask_b32_e32 v1, 0x7f800000, v15, vcc_lo
	v_add_f32_e32 v1, 1.0, v1
	s_delay_alu instid0(VALU_DEP_1) | instskip(SKIP_1) | instid1(TRANS32_DEP_1)
	v_rcp_f32_e32 v1, v1
	v_nop
	v_fma_f32 v15, v1, -2.0, 1.0
.LBB80_31:                              ;   in Loop: Header=BB80_9 Depth=1
	s_and_not1_saveexec_b32 s2, s2
	s_cbranch_execz .LBB80_33
; %bb.32:                               ;   in Loop: Header=BB80_9 Depth=1
	v_mul_f32_e32 v1, v127, v127
	s_delay_alu instid0(VALU_DEP_1) | instskip(NEXT) | instid1(VALU_DEP_1)
	v_fmaak_f32 v15, s44, v1, 0x3ca908c9
	v_fmaak_f32 v15, v1, v15, 0xbd5c1c4e
	s_delay_alu instid0(VALU_DEP_1) | instskip(NEXT) | instid1(VALU_DEP_1)
	v_fmaak_f32 v15, v1, v15, 0x3e088382
	v_fmaak_f32 v15, v1, v15, 0xbeaaaa99
	s_delay_alu instid0(VALU_DEP_1) | instskip(NEXT) | instid1(VALU_DEP_1)
	v_mul_f32_e64 v15, |v127|, v15
	v_fma_f32 v15, v1, v15, |v127|
.LBB80_33:                              ;   in Loop: Header=BB80_9 Depth=1
	s_or_b32 exec_lo, exec_lo, s2
	v_ashrrev_i32_e32 v1, 31, v0
	v_cmp_ngt_f32_e64 s2, 0x3f200000, |v123|
	s_delay_alu instid0(VALU_DEP_2)
	v_lshl_add_u64 v[0:1], v[0:1], 1, s[36:37]
	global_load_u16 v0, v[0:1], off offset:64
	s_wait_xcnt 0x0
	v_bfi_b32 v1, 0x7fffffff, v14, v124
	v_bfi_b32 v14, 0x7fffffff, v15, v127
	s_wait_loadcnt 0x1
	s_delay_alu instid0(VALU_DEP_2) | instskip(NEXT) | instid1(VALU_DEP_1)
	v_fma_mix_f32 v15, s29, v1, v20 op_sel_hi:[0,0,1]
	v_add_f32_e32 v1, 0x40051340, v15
	s_wait_loadcnt 0x0
	v_fma_mix_f32 v14, s29, v14, v0 op_sel_hi:[0,0,1]
	s_delay_alu instid0(VALU_DEP_1) | instskip(NEXT) | instid1(VALU_DEP_1)
	v_add_f32_e32 v18, 0x40051340, v14
	v_max3_num_f32 v1, v113, v1, v18
	ds_bpermute_b32 v18, v2, v1
	s_wait_dscnt 0x0
	v_max_num_f32_e32 v18, v18, v18
	s_delay_alu instid0(VALU_DEP_1) | instskip(SKIP_3) | instid1(VALU_DEP_1)
	v_max_num_f32_e32 v1, v1, v18
	ds_bpermute_b32 v18, v11, v1
	s_wait_dscnt 0x0
	v_max_num_f32_e32 v18, v18, v18
	v_max_num_f32_e32 v1, v1, v18
	ds_bpermute_b32 v18, v8, v1
	s_wait_dscnt 0x0
	v_max_num_f32_e32 v18, v18, v18
	s_delay_alu instid0(VALU_DEP_1) | instskip(SKIP_3) | instid1(VALU_DEP_1)
	v_max_num_f32_e32 v1, v1, v18
	ds_bpermute_b32 v18, v16, v1
	s_wait_dscnt 0x0
	v_max_num_f32_e32 v18, v18, v18
	v_max_num_f32_e32 v18, v1, v18
                                        ; implicit-def: $vgpr1
	ds_bpermute_b32 v19, v7, v18
	s_and_saveexec_b32 s3, s2
	s_delay_alu instid0(SALU_CYCLE_1)
	s_xor_b32 s2, exec_lo, s3
	s_cbranch_execz .LBB80_35
; %bb.34:                               ;   in Loop: Header=BB80_9 Depth=1
	v_add_f32_e64 v1, |v123|, |v123|
	s_delay_alu instid0(VALU_DEP_1) | instskip(SKIP_1) | instid1(VALU_DEP_2)
	v_mul_f32_e32 v21, 0x3fb8aa3b, v1
	v_cmp_ngt_f32_e32 vcc_lo, 0xc2ce8ed0, v1
	v_rndne_f32_e32 v22, v21
	v_fma_f32 v23, 0x3fb8aa3b, v1, -v21
	s_delay_alu instid0(VALU_DEP_2) | instskip(NEXT) | instid1(VALU_DEP_2)
	v_sub_f32_e32 v21, v21, v22
	v_fmac_f32_e32 v23, 0x32a5705f, v1
	v_cvt_i32_f32_e32 v22, v22
	s_delay_alu instid0(VALU_DEP_2) | instskip(NEXT) | instid1(VALU_DEP_1)
	v_add_f32_e32 v21, v21, v23
	v_exp_f32_e32 v21, v21
	v_nop
	s_delay_alu instid0(TRANS32_DEP_1) | instskip(NEXT) | instid1(VALU_DEP_1)
	v_ldexp_f32 v21, v21, v22
	v_cndmask_b32_e32 v21, 0, v21, vcc_lo
	v_cmp_nlt_f32_e32 vcc_lo, 0x42b17218, v1
	s_delay_alu instid0(VALU_DEP_2) | instskip(NEXT) | instid1(VALU_DEP_1)
	v_cndmask_b32_e32 v1, 0x7f800000, v21, vcc_lo
	v_add_f32_e32 v1, 1.0, v1
	s_delay_alu instid0(VALU_DEP_1) | instskip(SKIP_1) | instid1(TRANS32_DEP_1)
	v_rcp_f32_e32 v1, v1
	v_nop
	v_fma_f32 v1, v1, -2.0, 1.0
.LBB80_35:                              ;   in Loop: Header=BB80_9 Depth=1
	s_and_not1_saveexec_b32 s2, s2
	s_cbranch_execz .LBB80_37
; %bb.36:                               ;   in Loop: Header=BB80_9 Depth=1
	v_mul_f32_e32 v1, v123, v123
	s_delay_alu instid0(VALU_DEP_1) | instskip(NEXT) | instid1(VALU_DEP_1)
	v_fmaak_f32 v21, s44, v1, 0x3ca908c9
	v_fmaak_f32 v21, v1, v21, 0xbd5c1c4e
	s_delay_alu instid0(VALU_DEP_1) | instskip(NEXT) | instid1(VALU_DEP_1)
	v_fmaak_f32 v21, v1, v21, 0x3e088382
	v_fmaak_f32 v21, v1, v21, 0xbeaaaa99
	s_delay_alu instid0(VALU_DEP_1) | instskip(NEXT) | instid1(VALU_DEP_1)
	v_mul_f32_e64 v21, |v123|, v21
	v_fma_f32 v1, v1, v21, |v123|
.LBB80_37:                              ;   in Loop: Header=BB80_9 Depth=1
	s_or_b32 exec_lo, exec_lo, s2
	v_cmp_ngt_f32_e64 s2, 0x3f200000, |v125|
                                        ; implicit-def: $vgpr21
	s_and_saveexec_b32 s3, s2
	s_delay_alu instid0(SALU_CYCLE_1)
	s_xor_b32 s2, exec_lo, s3
	s_cbranch_execz .LBB80_39
; %bb.38:                               ;   in Loop: Header=BB80_9 Depth=1
	v_add_f32_e64 v21, |v125|, |v125|
	s_delay_alu instid0(VALU_DEP_1) | instskip(SKIP_1) | instid1(VALU_DEP_2)
	v_mul_f32_e32 v22, 0x3fb8aa3b, v21
	v_cmp_ngt_f32_e32 vcc_lo, 0xc2ce8ed0, v21
	v_rndne_f32_e32 v23, v22
	v_fma_f32 v24, 0x3fb8aa3b, v21, -v22
	s_delay_alu instid0(VALU_DEP_2) | instskip(NEXT) | instid1(VALU_DEP_2)
	v_sub_f32_e32 v22, v22, v23
	v_fmac_f32_e32 v24, 0x32a5705f, v21
	v_cvt_i32_f32_e32 v23, v23
	s_delay_alu instid0(VALU_DEP_2) | instskip(NEXT) | instid1(VALU_DEP_1)
	v_add_f32_e32 v22, v22, v24
	v_exp_f32_e32 v22, v22
	v_nop
	s_delay_alu instid0(TRANS32_DEP_1) | instskip(NEXT) | instid1(VALU_DEP_1)
	v_ldexp_f32 v22, v22, v23
	v_cndmask_b32_e32 v22, 0, v22, vcc_lo
	v_cmp_nlt_f32_e32 vcc_lo, 0x42b17218, v21
	s_delay_alu instid0(VALU_DEP_2) | instskip(NEXT) | instid1(VALU_DEP_1)
	v_cndmask_b32_e32 v21, 0x7f800000, v22, vcc_lo
	v_add_f32_e32 v21, 1.0, v21
	s_delay_alu instid0(VALU_DEP_1) | instskip(SKIP_1) | instid1(TRANS32_DEP_1)
	v_rcp_f32_e32 v21, v21
	v_nop
	v_fma_f32 v21, v21, -2.0, 1.0
.LBB80_39:                              ;   in Loop: Header=BB80_9 Depth=1
	s_and_not1_saveexec_b32 s2, s2
	s_cbranch_execz .LBB80_41
; %bb.40:                               ;   in Loop: Header=BB80_9 Depth=1
	v_mul_f32_e32 v21, v125, v125
	s_delay_alu instid0(VALU_DEP_1) | instskip(NEXT) | instid1(VALU_DEP_1)
	v_fmaak_f32 v22, s44, v21, 0x3ca908c9
	v_fmaak_f32 v22, v21, v22, 0xbd5c1c4e
	s_delay_alu instid0(VALU_DEP_1) | instskip(NEXT) | instid1(VALU_DEP_1)
	v_fmaak_f32 v22, v21, v22, 0x3e088382
	v_fmaak_f32 v22, v21, v22, 0xbeaaaa99
	s_delay_alu instid0(VALU_DEP_1) | instskip(NEXT) | instid1(VALU_DEP_1)
	v_mul_f32_e64 v22, |v125|, v22
	v_fma_f32 v21, v21, v22, |v125|
.LBB80_41:                              ;   in Loop: Header=BB80_9 Depth=1
	s_or_b32 exec_lo, exec_lo, s2
	v_cvt_f32_f16_e32 v22, v20
	v_cvt_f32_f16_e32 v23, v0
	v_bfi_b32 v0, 0x7fffffff, v1, v123
	v_bfi_b32 v1, 0x7fffffff, v21, v125
	v_cmp_ngt_f32_e64 s2, 0x3f200000, |v120|
                                        ; implicit-def: $vgpr24
	s_delay_alu instid0(VALU_DEP_2) | instskip(NEXT) | instid1(VALU_DEP_1)
	v_dual_fmac_f32 v22, s29, v0 :: v_dual_fmac_f32 v23, s29, v1
	v_dual_add_f32 v0, 0x40051340, v22 :: v_dual_add_f32 v1, 0x40051340, v23
	s_delay_alu instid0(VALU_DEP_1) | instskip(SKIP_3) | instid1(VALU_DEP_1)
	v_max3_num_f32 v0, v111, v0, v1
	ds_bpermute_b32 v1, v2, v0
	s_wait_dscnt 0x0
	v_max_num_f32_e32 v1, v1, v1
	v_max_num_f32_e32 v0, v0, v1
	ds_bpermute_b32 v1, v11, v0
	s_wait_dscnt 0x0
	v_max_num_f32_e32 v1, v1, v1
	s_delay_alu instid0(VALU_DEP_1) | instskip(SKIP_3) | instid1(VALU_DEP_1)
	v_max_num_f32_e32 v0, v0, v1
	ds_bpermute_b32 v1, v8, v0
	s_wait_dscnt 0x0
	v_max_num_f32_e32 v1, v1, v1
	v_max_num_f32_e32 v0, v0, v1
	ds_bpermute_b32 v1, v16, v0
	s_wait_dscnt 0x0
	v_max_num_f32_e32 v1, v1, v1
	s_delay_alu instid0(VALU_DEP_1) | instskip(SKIP_2) | instid1(SALU_CYCLE_1)
	v_max_num_f32_e32 v20, v0, v1
	ds_bpermute_b32 v21, v7, v20
	s_and_saveexec_b32 s3, s2
	s_xor_b32 s2, exec_lo, s3
	s_cbranch_execz .LBB80_43
; %bb.42:                               ;   in Loop: Header=BB80_9 Depth=1
	v_add_f32_e64 v0, |v120|, |v120|
	s_delay_alu instid0(VALU_DEP_1) | instskip(SKIP_1) | instid1(VALU_DEP_2)
	v_mul_f32_e32 v1, 0x3fb8aa3b, v0
	v_cmp_ngt_f32_e32 vcc_lo, 0xc2ce8ed0, v0
	v_rndne_f32_e32 v24, v1
	v_fma_f32 v25, 0x3fb8aa3b, v0, -v1
	s_delay_alu instid0(VALU_DEP_2) | instskip(NEXT) | instid1(VALU_DEP_2)
	v_sub_f32_e32 v1, v1, v24
	v_fmac_f32_e32 v25, 0x32a5705f, v0
	v_cvt_i32_f32_e32 v24, v24
	s_delay_alu instid0(VALU_DEP_2) | instskip(NEXT) | instid1(VALU_DEP_1)
	v_add_f32_e32 v1, v1, v25
	v_exp_f32_e32 v1, v1
	v_nop
	s_delay_alu instid0(TRANS32_DEP_1) | instskip(NEXT) | instid1(VALU_DEP_1)
	v_ldexp_f32 v1, v1, v24
	v_cndmask_b32_e32 v1, 0, v1, vcc_lo
	v_cmp_nlt_f32_e32 vcc_lo, 0x42b17218, v0
	s_delay_alu instid0(VALU_DEP_2) | instskip(NEXT) | instid1(VALU_DEP_1)
	v_cndmask_b32_e32 v0, 0x7f800000, v1, vcc_lo
	v_add_f32_e32 v0, 1.0, v0
	s_delay_alu instid0(VALU_DEP_1) | instskip(SKIP_1) | instid1(TRANS32_DEP_1)
	v_rcp_f32_e32 v0, v0
	v_nop
	v_fma_f32 v24, v0, -2.0, 1.0
.LBB80_43:                              ;   in Loop: Header=BB80_9 Depth=1
	s_and_not1_saveexec_b32 s2, s2
	s_cbranch_execz .LBB80_45
; %bb.44:                               ;   in Loop: Header=BB80_9 Depth=1
	v_mul_f32_e32 v0, v120, v120
	s_delay_alu instid0(VALU_DEP_1) | instskip(NEXT) | instid1(VALU_DEP_1)
	v_fmaak_f32 v1, s44, v0, 0x3ca908c9
	v_fmaak_f32 v1, v0, v1, 0xbd5c1c4e
	s_delay_alu instid0(VALU_DEP_1) | instskip(NEXT) | instid1(VALU_DEP_1)
	v_fmaak_f32 v1, v0, v1, 0x3e088382
	v_fmaak_f32 v1, v0, v1, 0xbeaaaa99
	s_delay_alu instid0(VALU_DEP_1) | instskip(NEXT) | instid1(VALU_DEP_1)
	v_mul_f32_e64 v1, |v120|, v1
	v_fma_f32 v24, v0, v1, |v120|
.LBB80_45:                              ;   in Loop: Header=BB80_9 Depth=1
	s_or_b32 exec_lo, exec_lo, s2
	v_add_nc_u32_e32 v0, v5, v89
	v_cmp_ngt_f32_e64 s2, 0x3f200000, |v122|
                                        ; implicit-def: $vgpr25
	global_load_u16 v32, v0, s[36:37] scale_offset
	s_wait_xcnt 0x0
	s_and_saveexec_b32 s3, s2
	s_delay_alu instid0(SALU_CYCLE_1)
	s_xor_b32 s2, exec_lo, s3
	s_cbranch_execz .LBB80_47
; %bb.46:                               ;   in Loop: Header=BB80_9 Depth=1
	v_add_f32_e64 v1, |v122|, |v122|
	s_delay_alu instid0(VALU_DEP_1) | instskip(SKIP_1) | instid1(VALU_DEP_2)
	v_mul_f32_e32 v25, 0x3fb8aa3b, v1
	v_cmp_ngt_f32_e32 vcc_lo, 0xc2ce8ed0, v1
	v_rndne_f32_e32 v31, v25
	v_fma_f32 v33, 0x3fb8aa3b, v1, -v25
	s_delay_alu instid0(VALU_DEP_2) | instskip(NEXT) | instid1(VALU_DEP_2)
	v_sub_f32_e32 v25, v25, v31
	v_fmac_f32_e32 v33, 0x32a5705f, v1
	v_cvt_i32_f32_e32 v31, v31
	s_delay_alu instid0(VALU_DEP_2) | instskip(NEXT) | instid1(VALU_DEP_1)
	v_add_f32_e32 v25, v25, v33
	v_exp_f32_e32 v25, v25
	v_nop
	s_delay_alu instid0(TRANS32_DEP_1) | instskip(NEXT) | instid1(VALU_DEP_1)
	v_ldexp_f32 v25, v25, v31
	v_cndmask_b32_e32 v25, 0, v25, vcc_lo
	v_cmp_nlt_f32_e32 vcc_lo, 0x42b17218, v1
	s_delay_alu instid0(VALU_DEP_2) | instskip(NEXT) | instid1(VALU_DEP_1)
	v_cndmask_b32_e32 v1, 0x7f800000, v25, vcc_lo
	v_add_f32_e32 v1, 1.0, v1
	s_delay_alu instid0(VALU_DEP_1) | instskip(SKIP_1) | instid1(TRANS32_DEP_1)
	v_rcp_f32_e32 v1, v1
	v_nop
	v_fma_f32 v25, v1, -2.0, 1.0
.LBB80_47:                              ;   in Loop: Header=BB80_9 Depth=1
	s_and_not1_saveexec_b32 s2, s2
	s_cbranch_execz .LBB80_49
; %bb.48:                               ;   in Loop: Header=BB80_9 Depth=1
	v_mul_f32_e32 v1, v122, v122
	s_delay_alu instid0(VALU_DEP_1) | instskip(NEXT) | instid1(VALU_DEP_1)
	v_fmaak_f32 v25, s44, v1, 0x3ca908c9
	v_fmaak_f32 v25, v1, v25, 0xbd5c1c4e
	s_delay_alu instid0(VALU_DEP_1) | instskip(NEXT) | instid1(VALU_DEP_1)
	v_fmaak_f32 v25, v1, v25, 0x3e088382
	v_fmaak_f32 v25, v1, v25, 0xbeaaaa99
	s_delay_alu instid0(VALU_DEP_1) | instskip(NEXT) | instid1(VALU_DEP_1)
	v_mul_f32_e64 v25, |v122|, v25
	v_fma_f32 v25, v1, v25, |v122|
.LBB80_49:                              ;   in Loop: Header=BB80_9 Depth=1
	s_or_b32 exec_lo, exec_lo, s2
	v_ashrrev_i32_e32 v1, 31, v0
	v_cmp_ngt_f32_e64 s2, 0x3f200000, |v115|
	s_delay_alu instid0(VALU_DEP_2)
	v_lshl_add_u64 v[0:1], v[0:1], 1, s[36:37]
	global_load_u16 v0, v[0:1], off offset:64
	s_wait_xcnt 0x0
	v_bfi_b32 v1, 0x7fffffff, v24, v120
	v_bfi_b32 v24, 0x7fffffff, v25, v122
	s_wait_loadcnt 0x1
	s_delay_alu instid0(VALU_DEP_2) | instskip(NEXT) | instid1(VALU_DEP_1)
	v_fma_mix_f32 v25, s29, v1, v32 op_sel_hi:[0,0,1]
	v_add_f32_e32 v1, 0x40051340, v25
	s_wait_loadcnt 0x0
	v_fma_mix_f32 v31, s29, v24, v0 op_sel_hi:[0,0,1]
	s_delay_alu instid0(VALU_DEP_1) | instskip(NEXT) | instid1(VALU_DEP_1)
	v_add_f32_e32 v24, 0x40051340, v31
	v_max3_num_f32 v1, v110, v1, v24
	ds_bpermute_b32 v24, v2, v1
	s_wait_dscnt 0x0
	v_max_num_f32_e32 v24, v24, v24
	s_delay_alu instid0(VALU_DEP_1) | instskip(SKIP_3) | instid1(VALU_DEP_1)
	v_max_num_f32_e32 v1, v1, v24
	ds_bpermute_b32 v24, v11, v1
	s_wait_dscnt 0x0
	v_max_num_f32_e32 v24, v24, v24
	v_max_num_f32_e32 v1, v1, v24
	ds_bpermute_b32 v24, v8, v1
	s_wait_dscnt 0x0
	v_max_num_f32_e32 v24, v24, v24
	s_delay_alu instid0(VALU_DEP_1) | instskip(SKIP_3) | instid1(VALU_DEP_1)
	v_max_num_f32_e32 v1, v1, v24
	ds_bpermute_b32 v24, v16, v1
	s_wait_dscnt 0x0
	v_max_num_f32_e32 v24, v24, v24
	v_max_num_f32_e32 v24, v1, v24
                                        ; implicit-def: $vgpr1
	ds_bpermute_b32 v38, v7, v24
	s_and_saveexec_b32 s3, s2
	s_delay_alu instid0(SALU_CYCLE_1)
	s_xor_b32 s2, exec_lo, s3
	s_cbranch_execz .LBB80_51
; %bb.50:                               ;   in Loop: Header=BB80_9 Depth=1
	v_add_f32_e64 v1, |v115|, |v115|
	s_delay_alu instid0(VALU_DEP_1) | instskip(SKIP_1) | instid1(VALU_DEP_2)
	v_mul_f32_e32 v33, 0x3fb8aa3b, v1
	v_cmp_ngt_f32_e32 vcc_lo, 0xc2ce8ed0, v1
	v_rndne_f32_e32 v34, v33
	v_fma_f32 v35, 0x3fb8aa3b, v1, -v33
	s_delay_alu instid0(VALU_DEP_2) | instskip(NEXT) | instid1(VALU_DEP_2)
	v_sub_f32_e32 v33, v33, v34
	v_fmac_f32_e32 v35, 0x32a5705f, v1
	v_cvt_i32_f32_e32 v34, v34
	s_delay_alu instid0(VALU_DEP_2) | instskip(NEXT) | instid1(VALU_DEP_1)
	v_add_f32_e32 v33, v33, v35
	v_exp_f32_e32 v33, v33
	v_nop
	s_delay_alu instid0(TRANS32_DEP_1) | instskip(NEXT) | instid1(VALU_DEP_1)
	v_ldexp_f32 v33, v33, v34
	v_cndmask_b32_e32 v33, 0, v33, vcc_lo
	v_cmp_nlt_f32_e32 vcc_lo, 0x42b17218, v1
	s_delay_alu instid0(VALU_DEP_2) | instskip(NEXT) | instid1(VALU_DEP_1)
	v_cndmask_b32_e32 v1, 0x7f800000, v33, vcc_lo
	v_add_f32_e32 v1, 1.0, v1
	s_delay_alu instid0(VALU_DEP_1) | instskip(SKIP_1) | instid1(TRANS32_DEP_1)
	v_rcp_f32_e32 v1, v1
	v_nop
	v_fma_f32 v1, v1, -2.0, 1.0
.LBB80_51:                              ;   in Loop: Header=BB80_9 Depth=1
	s_and_not1_saveexec_b32 s2, s2
	s_cbranch_execz .LBB80_53
; %bb.52:                               ;   in Loop: Header=BB80_9 Depth=1
	v_mul_f32_e32 v1, v115, v115
	s_delay_alu instid0(VALU_DEP_1) | instskip(NEXT) | instid1(VALU_DEP_1)
	v_fmaak_f32 v33, s44, v1, 0x3ca908c9
	v_fmaak_f32 v33, v1, v33, 0xbd5c1c4e
	s_delay_alu instid0(VALU_DEP_1) | instskip(NEXT) | instid1(VALU_DEP_1)
	v_fmaak_f32 v33, v1, v33, 0x3e088382
	v_fmaak_f32 v33, v1, v33, 0xbeaaaa99
	s_delay_alu instid0(VALU_DEP_1) | instskip(NEXT) | instid1(VALU_DEP_1)
	v_mul_f32_e64 v33, |v115|, v33
	v_fma_f32 v1, v1, v33, |v115|
.LBB80_53:                              ;   in Loop: Header=BB80_9 Depth=1
	s_or_b32 exec_lo, exec_lo, s2
	v_cmp_ngt_f32_e64 s2, 0x3f200000, |v121|
                                        ; implicit-def: $vgpr34
	s_and_saveexec_b32 s3, s2
	s_delay_alu instid0(SALU_CYCLE_1)
	s_xor_b32 s2, exec_lo, s3
	s_cbranch_execz .LBB80_55
; %bb.54:                               ;   in Loop: Header=BB80_9 Depth=1
	v_add_f32_e64 v33, |v121|, |v121|
	s_delay_alu instid0(VALU_DEP_1) | instskip(SKIP_1) | instid1(VALU_DEP_2)
	v_mul_f32_e32 v34, 0x3fb8aa3b, v33
	v_cmp_ngt_f32_e32 vcc_lo, 0xc2ce8ed0, v33
	v_rndne_f32_e32 v35, v34
	v_fma_f32 v36, 0x3fb8aa3b, v33, -v34
	s_delay_alu instid0(VALU_DEP_2) | instskip(NEXT) | instid1(VALU_DEP_2)
	v_sub_f32_e32 v34, v34, v35
	v_fmac_f32_e32 v36, 0x32a5705f, v33
	v_cvt_i32_f32_e32 v35, v35
	s_delay_alu instid0(VALU_DEP_2) | instskip(NEXT) | instid1(VALU_DEP_1)
	v_add_f32_e32 v34, v34, v36
	v_exp_f32_e32 v34, v34
	v_nop
	s_delay_alu instid0(TRANS32_DEP_1) | instskip(NEXT) | instid1(VALU_DEP_1)
	v_ldexp_f32 v34, v34, v35
	v_cndmask_b32_e32 v34, 0, v34, vcc_lo
	v_cmp_nlt_f32_e32 vcc_lo, 0x42b17218, v33
	s_delay_alu instid0(VALU_DEP_2) | instskip(NEXT) | instid1(VALU_DEP_1)
	v_cndmask_b32_e32 v33, 0x7f800000, v34, vcc_lo
	v_add_f32_e32 v33, 1.0, v33
	s_delay_alu instid0(VALU_DEP_1) | instskip(SKIP_1) | instid1(TRANS32_DEP_1)
	v_rcp_f32_e32 v33, v33
	v_nop
	v_fma_f32 v34, v33, -2.0, 1.0
.LBB80_55:                              ;   in Loop: Header=BB80_9 Depth=1
	s_and_not1_saveexec_b32 s2, s2
	s_cbranch_execz .LBB80_57
; %bb.56:                               ;   in Loop: Header=BB80_9 Depth=1
	v_mul_f32_e32 v33, v121, v121
	s_delay_alu instid0(VALU_DEP_1) | instskip(NEXT) | instid1(VALU_DEP_1)
	v_fmaak_f32 v34, s44, v33, 0x3ca908c9
	v_fmaak_f32 v34, v33, v34, 0xbd5c1c4e
	s_delay_alu instid0(VALU_DEP_1) | instskip(NEXT) | instid1(VALU_DEP_1)
	v_fmaak_f32 v34, v33, v34, 0x3e088382
	v_fmaak_f32 v34, v33, v34, 0xbeaaaa99
	s_delay_alu instid0(VALU_DEP_1) | instskip(NEXT) | instid1(VALU_DEP_1)
	v_mul_f32_e64 v34, |v121|, v34
	v_fma_f32 v34, v33, v34, |v121|
.LBB80_57:                              ;   in Loop: Header=BB80_9 Depth=1
	s_or_b32 exec_lo, exec_lo, s2
	v_cvt_f32_f16_e32 v33, v32
	v_cvt_f32_f16_e32 v32, v0
	v_bfi_b32 v0, 0x7fffffff, v1, v115
	v_bfi_b32 v1, 0x7fffffff, v34, v121
	v_cmp_ngt_f32_e64 s2, 0x3f200000, |v116|
                                        ; implicit-def: $vgpr34
	s_delay_alu instid0(VALU_DEP_2) | instskip(NEXT) | instid1(VALU_DEP_1)
	v_dual_fmac_f32 v33, s29, v0 :: v_dual_fmac_f32 v32, s29, v1
	v_dual_add_f32 v0, 0x40051340, v33 :: v_dual_add_f32 v1, 0x40051340, v32
	s_delay_alu instid0(VALU_DEP_1) | instskip(SKIP_3) | instid1(VALU_DEP_1)
	v_max3_num_f32 v0, v108, v0, v1
	ds_bpermute_b32 v1, v2, v0
	s_wait_dscnt 0x0
	v_max_num_f32_e32 v1, v1, v1
	v_max_num_f32_e32 v0, v0, v1
	ds_bpermute_b32 v1, v11, v0
	s_wait_dscnt 0x0
	v_max_num_f32_e32 v1, v1, v1
	s_delay_alu instid0(VALU_DEP_1) | instskip(SKIP_3) | instid1(VALU_DEP_1)
	v_max_num_f32_e32 v0, v0, v1
	ds_bpermute_b32 v1, v8, v0
	s_wait_dscnt 0x0
	v_max_num_f32_e32 v1, v1, v1
	v_max_num_f32_e32 v0, v0, v1
	ds_bpermute_b32 v1, v16, v0
	s_wait_dscnt 0x0
	v_max_num_f32_e32 v1, v1, v1
	s_delay_alu instid0(VALU_DEP_1) | instskip(SKIP_2) | instid1(SALU_CYCLE_1)
	v_max_num_f32_e32 v39, v0, v1
	ds_bpermute_b32 v115, v7, v39
	s_and_saveexec_b32 s3, s2
	s_xor_b32 s2, exec_lo, s3
	s_cbranch_execz .LBB80_59
; %bb.58:                               ;   in Loop: Header=BB80_9 Depth=1
	v_add_f32_e64 v0, |v116|, |v116|
	s_delay_alu instid0(VALU_DEP_1) | instskip(SKIP_1) | instid1(VALU_DEP_2)
	v_mul_f32_e32 v1, 0x3fb8aa3b, v0
	v_cmp_ngt_f32_e32 vcc_lo, 0xc2ce8ed0, v0
	v_rndne_f32_e32 v34, v1
	v_fma_f32 v35, 0x3fb8aa3b, v0, -v1
	s_delay_alu instid0(VALU_DEP_2) | instskip(NEXT) | instid1(VALU_DEP_2)
	v_sub_f32_e32 v1, v1, v34
	v_fmac_f32_e32 v35, 0x32a5705f, v0
	v_cvt_i32_f32_e32 v34, v34
	s_delay_alu instid0(VALU_DEP_2) | instskip(NEXT) | instid1(VALU_DEP_1)
	v_add_f32_e32 v1, v1, v35
	v_exp_f32_e32 v1, v1
	v_nop
	s_delay_alu instid0(TRANS32_DEP_1) | instskip(NEXT) | instid1(VALU_DEP_1)
	v_ldexp_f32 v1, v1, v34
	v_cndmask_b32_e32 v1, 0, v1, vcc_lo
	v_cmp_nlt_f32_e32 vcc_lo, 0x42b17218, v0
	s_delay_alu instid0(VALU_DEP_2) | instskip(NEXT) | instid1(VALU_DEP_1)
	v_cndmask_b32_e32 v0, 0x7f800000, v1, vcc_lo
	v_add_f32_e32 v0, 1.0, v0
	s_delay_alu instid0(VALU_DEP_1) | instskip(SKIP_1) | instid1(TRANS32_DEP_1)
	v_rcp_f32_e32 v0, v0
	v_nop
	v_fma_f32 v34, v0, -2.0, 1.0
.LBB80_59:                              ;   in Loop: Header=BB80_9 Depth=1
	s_and_not1_saveexec_b32 s2, s2
	s_cbranch_execz .LBB80_61
; %bb.60:                               ;   in Loop: Header=BB80_9 Depth=1
	v_mul_f32_e32 v0, v116, v116
	s_delay_alu instid0(VALU_DEP_1) | instskip(NEXT) | instid1(VALU_DEP_1)
	v_fmaak_f32 v1, s44, v0, 0x3ca908c9
	v_fmaak_f32 v1, v0, v1, 0xbd5c1c4e
	s_delay_alu instid0(VALU_DEP_1) | instskip(NEXT) | instid1(VALU_DEP_1)
	v_fmaak_f32 v1, v0, v1, 0x3e088382
	v_fmaak_f32 v1, v0, v1, 0xbeaaaa99
	s_delay_alu instid0(VALU_DEP_1) | instskip(NEXT) | instid1(VALU_DEP_1)
	v_mul_f32_e64 v1, |v116|, v1
	v_fma_f32 v34, v0, v1, |v116|
.LBB80_61:                              ;   in Loop: Header=BB80_9 Depth=1
	s_or_b32 exec_lo, exec_lo, s2
	v_add_nc_u32_e32 v0, v5, v90
	v_cmp_ngt_f32_e64 s2, 0x3f200000, |v117|
                                        ; implicit-def: $vgpr35
	global_load_u16 v5, v0, s[36:37] scale_offset
	s_wait_xcnt 0x0
	s_and_saveexec_b32 s3, s2
	s_delay_alu instid0(SALU_CYCLE_1)
	s_xor_b32 s2, exec_lo, s3
	s_cbranch_execz .LBB80_63
; %bb.62:                               ;   in Loop: Header=BB80_9 Depth=1
	v_add_f32_e64 v1, |v117|, |v117|
	s_delay_alu instid0(VALU_DEP_1) | instskip(SKIP_1) | instid1(VALU_DEP_2)
	v_mul_f32_e32 v35, 0x3fb8aa3b, v1
	v_cmp_ngt_f32_e32 vcc_lo, 0xc2ce8ed0, v1
	v_rndne_f32_e32 v36, v35
	v_fma_f32 v37, 0x3fb8aa3b, v1, -v35
	s_delay_alu instid0(VALU_DEP_2) | instskip(NEXT) | instid1(VALU_DEP_2)
	v_sub_f32_e32 v35, v35, v36
	v_fmac_f32_e32 v37, 0x32a5705f, v1
	v_cvt_i32_f32_e32 v36, v36
	s_delay_alu instid0(VALU_DEP_2) | instskip(NEXT) | instid1(VALU_DEP_1)
	v_add_f32_e32 v35, v35, v37
	v_exp_f32_e32 v35, v35
	v_nop
	s_delay_alu instid0(TRANS32_DEP_1) | instskip(NEXT) | instid1(VALU_DEP_1)
	v_ldexp_f32 v35, v35, v36
	v_cndmask_b32_e32 v35, 0, v35, vcc_lo
	v_cmp_nlt_f32_e32 vcc_lo, 0x42b17218, v1
	s_delay_alu instid0(VALU_DEP_2) | instskip(NEXT) | instid1(VALU_DEP_1)
	v_cndmask_b32_e32 v1, 0x7f800000, v35, vcc_lo
	v_add_f32_e32 v1, 1.0, v1
	s_delay_alu instid0(VALU_DEP_1) | instskip(SKIP_1) | instid1(TRANS32_DEP_1)
	v_rcp_f32_e32 v1, v1
	v_nop
	v_fma_f32 v35, v1, -2.0, 1.0
.LBB80_63:                              ;   in Loop: Header=BB80_9 Depth=1
	s_and_not1_saveexec_b32 s2, s2
	s_cbranch_execz .LBB80_65
; %bb.64:                               ;   in Loop: Header=BB80_9 Depth=1
	v_mul_f32_e32 v1, v117, v117
	s_delay_alu instid0(VALU_DEP_1) | instskip(NEXT) | instid1(VALU_DEP_1)
	v_fmaak_f32 v35, s44, v1, 0x3ca908c9
	v_fmaak_f32 v35, v1, v35, 0xbd5c1c4e
	s_delay_alu instid0(VALU_DEP_1) | instskip(NEXT) | instid1(VALU_DEP_1)
	v_fmaak_f32 v35, v1, v35, 0x3e088382
	v_fmaak_f32 v35, v1, v35, 0xbeaaaa99
	s_delay_alu instid0(VALU_DEP_1) | instskip(NEXT) | instid1(VALU_DEP_1)
	v_mul_f32_e64 v35, |v117|, v35
	v_fma_f32 v35, v1, v35, |v117|
.LBB80_65:                              ;   in Loop: Header=BB80_9 Depth=1
	s_or_b32 exec_lo, exec_lo, s2
	v_ashrrev_i32_e32 v1, 31, v0
	v_cmp_ngt_f32_e64 s2, 0x3f200000, |v118|
	s_delay_alu instid0(VALU_DEP_2)
	v_lshl_add_u64 v[0:1], v[0:1], 1, s[36:37]
	global_load_u16 v36, v[0:1], off offset:64
	s_wait_xcnt 0x0
	v_bfi_b32 v0, 0x7fffffff, v34, v116
	v_bfi_b32 v1, 0x7fffffff, v35, v117
                                        ; implicit-def: $vgpr116
	s_wait_loadcnt 0x1
	s_delay_alu instid0(VALU_DEP_2) | instskip(NEXT) | instid1(VALU_DEP_1)
	v_fma_mix_f32 v35, s29, v0, v5 op_sel_hi:[0,0,1]
	v_add_f32_e32 v0, 0x40051340, v35
	s_wait_loadcnt 0x0
	v_fma_mix_f32 v34, s29, v1, v36 op_sel_hi:[0,0,1]
	s_delay_alu instid0(VALU_DEP_1) | instskip(NEXT) | instid1(VALU_DEP_1)
	v_add_f32_e32 v1, 0x40051340, v34
	v_max3_num_f32 v0, v107, v0, v1
	ds_bpermute_b32 v1, v2, v0
	s_wait_dscnt 0x0
	v_max_num_f32_e32 v1, v1, v1
	s_delay_alu instid0(VALU_DEP_1) | instskip(SKIP_3) | instid1(VALU_DEP_1)
	v_max_num_f32_e32 v0, v0, v1
	ds_bpermute_b32 v1, v11, v0
	s_wait_dscnt 0x0
	v_max_num_f32_e32 v1, v1, v1
	v_max_num_f32_e32 v0, v0, v1
	ds_bpermute_b32 v1, v8, v0
	s_wait_dscnt 0x0
	v_max_num_f32_e32 v1, v1, v1
	s_delay_alu instid0(VALU_DEP_1) | instskip(SKIP_3) | instid1(VALU_DEP_1)
	v_max_num_f32_e32 v0, v0, v1
	ds_bpermute_b32 v1, v16, v0
	s_wait_dscnt 0x0
	v_max_num_f32_e32 v1, v1, v1
	v_max_num_f32_e32 v0, v0, v1
	ds_bpermute_b32 v1, v7, v0
	s_and_saveexec_b32 s3, s2
	s_delay_alu instid0(SALU_CYCLE_1)
	s_xor_b32 s2, exec_lo, s3
	s_cbranch_execz .LBB80_67
; %bb.66:                               ;   in Loop: Header=BB80_9 Depth=1
	v_add_f32_e64 v37, |v118|, |v118|
	s_delay_alu instid0(VALU_DEP_1) | instskip(SKIP_1) | instid1(VALU_DEP_2)
	v_mul_f32_e32 v116, 0x3fb8aa3b, v37
	v_cmp_ngt_f32_e32 vcc_lo, 0xc2ce8ed0, v37
	v_rndne_f32_e32 v117, v116
	v_fma_f32 v120, 0x3fb8aa3b, v37, -v116
	s_delay_alu instid0(VALU_DEP_2) | instskip(NEXT) | instid1(VALU_DEP_2)
	v_sub_f32_e32 v116, v116, v117
	v_fmac_f32_e32 v120, 0x32a5705f, v37
	v_cvt_i32_f32_e32 v117, v117
	s_delay_alu instid0(VALU_DEP_2) | instskip(NEXT) | instid1(VALU_DEP_1)
	v_add_f32_e32 v116, v116, v120
	v_exp_f32_e32 v116, v116
	v_nop
	s_delay_alu instid0(TRANS32_DEP_1) | instskip(NEXT) | instid1(VALU_DEP_1)
	v_ldexp_f32 v116, v116, v117
	v_cndmask_b32_e32 v116, 0, v116, vcc_lo
	v_cmp_nlt_f32_e32 vcc_lo, 0x42b17218, v37
	s_delay_alu instid0(VALU_DEP_2) | instskip(NEXT) | instid1(VALU_DEP_1)
	v_cndmask_b32_e32 v37, 0x7f800000, v116, vcc_lo
	v_add_f32_e32 v37, 1.0, v37
	s_delay_alu instid0(VALU_DEP_1) | instskip(SKIP_1) | instid1(TRANS32_DEP_1)
	v_rcp_f32_e32 v37, v37
	v_nop
	v_fma_f32 v116, v37, -2.0, 1.0
.LBB80_67:                              ;   in Loop: Header=BB80_9 Depth=1
	s_and_not1_saveexec_b32 s2, s2
	s_cbranch_execz .LBB80_69
; %bb.68:                               ;   in Loop: Header=BB80_9 Depth=1
	v_mul_f32_e32 v37, v118, v118
	s_delay_alu instid0(VALU_DEP_1) | instskip(NEXT) | instid1(VALU_DEP_1)
	v_fmaak_f32 v116, s44, v37, 0x3ca908c9
	v_fmaak_f32 v116, v37, v116, 0xbd5c1c4e
	s_delay_alu instid0(VALU_DEP_1) | instskip(NEXT) | instid1(VALU_DEP_1)
	v_fmaak_f32 v116, v37, v116, 0x3e088382
	v_fmaak_f32 v116, v37, v116, 0xbeaaaa99
	s_delay_alu instid0(VALU_DEP_1) | instskip(NEXT) | instid1(VALU_DEP_1)
	v_mul_f32_e64 v116, |v118|, v116
	v_fma_f32 v116, v37, v116, |v118|
.LBB80_69:                              ;   in Loop: Header=BB80_9 Depth=1
	s_or_b32 exec_lo, exec_lo, s2
	v_cmp_ngt_f32_e64 s2, 0x3f200000, |v119|
                                        ; implicit-def: $vgpr117
	s_and_saveexec_b32 s3, s2
	s_delay_alu instid0(SALU_CYCLE_1)
	s_xor_b32 s2, exec_lo, s3
	s_cbranch_execz .LBB80_71
; %bb.70:                               ;   in Loop: Header=BB80_9 Depth=1
	v_add_f32_e64 v37, |v119|, |v119|
	s_delay_alu instid0(VALU_DEP_1) | instskip(SKIP_1) | instid1(VALU_DEP_2)
	v_mul_f32_e32 v117, 0x3fb8aa3b, v37
	v_cmp_ngt_f32_e32 vcc_lo, 0xc2ce8ed0, v37
	v_rndne_f32_e32 v120, v117
	v_fma_f32 v121, 0x3fb8aa3b, v37, -v117
	s_delay_alu instid0(VALU_DEP_2) | instskip(NEXT) | instid1(VALU_DEP_2)
	v_sub_f32_e32 v117, v117, v120
	v_fmac_f32_e32 v121, 0x32a5705f, v37
	v_cvt_i32_f32_e32 v120, v120
	s_delay_alu instid0(VALU_DEP_2) | instskip(NEXT) | instid1(VALU_DEP_1)
	v_add_f32_e32 v117, v117, v121
	v_exp_f32_e32 v117, v117
	v_nop
	s_delay_alu instid0(TRANS32_DEP_1) | instskip(NEXT) | instid1(VALU_DEP_1)
	v_ldexp_f32 v117, v117, v120
	v_cndmask_b32_e32 v117, 0, v117, vcc_lo
	v_cmp_nlt_f32_e32 vcc_lo, 0x42b17218, v37
	s_delay_alu instid0(VALU_DEP_2) | instskip(NEXT) | instid1(VALU_DEP_1)
	v_cndmask_b32_e32 v37, 0x7f800000, v117, vcc_lo
	v_add_f32_e32 v37, 1.0, v37
	s_delay_alu instid0(VALU_DEP_1) | instskip(SKIP_1) | instid1(TRANS32_DEP_1)
	v_rcp_f32_e32 v37, v37
	v_nop
	v_fma_f32 v117, v37, -2.0, 1.0
.LBB80_71:                              ;   in Loop: Header=BB80_9 Depth=1
	s_and_not1_saveexec_b32 s2, s2
	s_cbranch_execz .LBB80_73
; %bb.72:                               ;   in Loop: Header=BB80_9 Depth=1
	v_mul_f32_e32 v37, v119, v119
	s_delay_alu instid0(VALU_DEP_1) | instskip(NEXT) | instid1(VALU_DEP_1)
	v_fmaak_f32 v117, s44, v37, 0x3ca908c9
	v_fmaak_f32 v117, v37, v117, 0xbd5c1c4e
	s_delay_alu instid0(VALU_DEP_1) | instskip(NEXT) | instid1(VALU_DEP_1)
	v_fmaak_f32 v117, v37, v117, 0x3e088382
	v_fmaak_f32 v117, v37, v117, 0xbeaaaa99
	s_delay_alu instid0(VALU_DEP_1) | instskip(NEXT) | instid1(VALU_DEP_1)
	v_mul_f32_e64 v117, |v119|, v117
	v_fma_f32 v117, v37, v117, |v119|
.LBB80_73:                              ;   in Loop: Header=BB80_9 Depth=1
	s_or_b32 exec_lo, exec_lo, s2
	v_cvt_f32_f16_e32 v37, v5
	v_cvt_f32_f16_e32 v36, v36
	v_bfi_b32 v5, 0x7fffffff, v116, v118
	v_bfi_b32 v116, 0x7fffffff, v117, v119
	s_wait_dscnt 0x0
	v_dual_max_num_f32 v1, v1, v1 :: v_dual_max_num_f32 v0, v0, v0
	v_dual_max_num_f32 v21, v21, v21 :: v_dual_max_num_f32 v20, v20, v20
	s_delay_alu instid0(VALU_DEP_3) | instskip(SKIP_2) | instid1(VALU_DEP_3)
	v_dual_fmac_f32 v37, s29, v5 :: v_dual_fmac_f32 v36, s29, v116
	v_dual_max_num_f32 v5, v115, v115 :: v_dual_max_num_f32 v38, v38, v38
	v_dual_max_num_f32 v17, v17, v17 :: v_dual_max_num_f32 v117, v6, v6
	v_dual_add_f32 v115, 0x40051340, v37 :: v_dual_add_f32 v116, 0x40051340, v36
	v_dual_max_num_f32 v118, v4, v4 :: v_dual_max_num_f32 v119, v3, v3
	v_dual_max_num_f32 v39, v39, v39 :: v_dual_max_num_f32 v24, v24, v24
	s_delay_alu instid0(VALU_DEP_3)
	v_max3_num_f32 v115, v109, v115, v116
	v_dual_max_num_f32 v19, v19, v19 :: v_dual_max_num_f32 v18, v18, v18
	v_max_num_f32_e32 v6, v0, v1
	v_dual_max_num_f32 v3, v20, v21 :: v_dual_max_num_f32 v0, v119, v118
	ds_bpermute_b32 v116, v2, v115
	v_max_num_f32_e32 v1, v117, v17
	v_dual_max_num_f32 v5, v39, v5 :: v_dual_max_num_f32 v4, v24, v38
	v_dual_sub_f32 v24, v112, v0 :: v_dual_sub_f32 v38, v9, v0
	v_max_num_f32_e32 v2, v18, v19
	s_mul_u64 s[2:3], s[14:15], s[20:21]
	s_wait_dscnt 0x0
	s_lshl_b64 s[2:3], s[2:3], 2
	s_barrier_signal -1
	v_sub_f32_e32 v113, v113, v2
	s_add_nc_u64 s[2:3], s[26:27], s[2:3]
	s_barrier_wait -1
	v_add_nc_u64_e32 v[18:19], s[2:3], v[56:57]
	v_add_nc_u64_e32 v[20:21], s[2:3], v[58:59]
	v_cmp_ngt_f32_e64 s2, 0xc2ce8ed0, v24
	v_cmp_nlt_f32_e64 s4, 0x42b17218, v24
	v_cmp_ngt_f32_e32 vcc_lo, 0xc2ce8ed0, v38
	v_max_num_f32_e32 v17, v116, v116
	v_sub_f32_e32 v39, v10, v0
	v_sub_f32_e32 v116, v14, v2
	v_add_nc_u64_e32 v[18:19], v[18:19], v[42:43]
	v_add_nc_u64_e32 v[20:21], v[20:21], v[42:43]
	v_max_num_f32_e32 v9, v115, v17
	v_dual_sub_f32 v112, v114, v1 :: v_dual_sub_f32 v17, v12, v1
	v_dual_sub_f32 v114, v13, v1 :: v_dual_sub_f32 v115, v15, v2
	ds_bpermute_b32 v10, v11, v9
	v_mul_f32_e32 v125, 0x3fb8aa3b, v113
	v_dual_mul_f32 v117, 0x3fb8aa3b, v38 :: v_dual_mul_f32 v118, 0x3fb8aa3b, v39
	v_dual_mul_f32 v119, 0x3fb8aa3b, v24 :: v_dual_mul_f32 v120, 0x3fb8aa3b, v17
	;; [unrolled: 1-line block ×4, first 2 shown]
	s_delay_alu instid0(VALU_DEP_4) | instskip(NEXT) | instid1(VALU_DEP_4)
	v_rndne_f32_e32 v130, v118
	v_fma_f32 v134, 0x3fb8aa3b, v17, -v120
	v_rndne_f32_e32 v135, v120
	v_fma_f32 v136, 0x3fb8aa3b, v114, -v121
	;; [unrolled: 2-line block ×5, first 2 shown]
	s_wait_dscnt 0x0
	v_max_num_f32_e32 v10, v10, v10
	v_fma_f32 v132, 0x3fb8aa3b, v24, -v119
	v_rndne_f32_e32 v133, v119
	v_cmp_ngt_f32_e64 s7, 0xc2ce8ed0, v17
	v_cmp_nlt_f32_e64 s11, 0x42b17218, v17
	v_max_num_f32_e32 v126, v9, v10
	v_rndne_f32_e32 v139, v122
	v_fmac_f32_e32 v136, 0x32a5705f, v114
	v_fmac_f32_e32 v140, 0x32a5705f, v115
	v_fma_f32 v138, 0x3fb8aa3b, v112, -v122
	ds_bpermute_b32 v131, v8, v126
	s_clause 0x1
	global_load_b128 v[8:11], v[18:19], off
	global_load_b128 v[12:15], v[20:21], off
	s_wait_xcnt 0x0
	v_dual_sub_f32 v21, v118, v130 :: v_dual_sub_f32 v118, v121, v137
	v_sub_f32_e32 v121, v123, v141
	v_dual_fmac_f32 v134, 0x32a5705f, v17 :: v_dual_fmac_f32 v127, 0x32a5705f, v38
	v_dual_sub_f32 v18, v117, v128 :: v_dual_fmac_f32 v129, 0x32a5705f, v39
	v_fmac_f32_e32 v132, 0x32a5705f, v24
	v_sub_f32_e32 v24, v119, v133
	v_cmp_ngt_f32_e64 s3, 0xc2ce8ed0, v112
	v_cmp_nlt_f32_e64 s6, 0x42b17218, v112
	v_rndne_f32_e32 v145, v125
	v_dual_fmac_f32 v138, 0x32a5705f, v112 :: v_dual_add_f32 v21, v21, v129
	v_dual_sub_f32 v112, v122, v139 :: v_dual_add_f32 v24, v24, v132
	s_delay_alu instid0(VALU_DEP_3) | instskip(SKIP_2) | instid1(VALU_DEP_3)
	v_dual_sub_f32 v122, v125, v145 :: v_dual_sub_f32 v17, v120, v135
	s_wait_dscnt 0x0
	v_max_num_f32_e32 v20, v131, v131
	v_dual_add_f32 v18, v18, v127 :: v_dual_add_f32 v112, v112, v138
	v_exp_f32_e32 v24, v24
	v_cmp_ngt_f32_e64 s5, 0xc2ce8ed0, v39
	s_delay_alu instid0(VALU_DEP_3) | instskip(NEXT) | instid1(VALU_DEP_3)
	v_max_num_f32_e32 v20, v126, v20
	v_exp_f32_e32 v18, v18
	v_cmp_nlt_f32_e64 s10, 0x42b17218, v39
	v_cvt_i32_f32_e32 v19, v128
	v_cvt_i32_f32_e32 v39, v133
	ds_bpermute_b32 v16, v16, v20
	v_fma_f32 v144, 0x3fb8aa3b, v113, -v125
	v_cmp_ngt_f32_e64 s8, 0xc2ce8ed0, v114
	v_ldexp_f32 v18, v18, v19
	v_add_f32_e32 v118, v118, v136
	v_ldexp_f32 v24, v24, v39
	v_exp_f32_e32 v112, v112
	v_cvt_i32_f32_e32 v119, v137
	v_cndmask_b32_e32 v18, 0, v18, vcc_lo
	v_cvt_i32_f32_e32 v120, v139
	v_add_f32_e32 v121, v121, v140
	v_add_f32_e32 v17, v17, v134
	v_rndne_f32_e32 v143, v124
	v_cmp_nlt_f32_e64 s9, 0x42b17218, v38
	v_cvt_i32_f32_e32 v38, v130
	v_cvt_i32_f32_e32 v117, v135
	v_exp_f32_e32 v17, v17
	v_cmp_nlt_f32_e32 vcc_lo, 0x42b17218, v114
	v_fma_f32 v142, 0x3fb8aa3b, v116, -v124
	s_wait_dscnt 0x0
	v_dual_sub_f32 v33, v33, v5 :: v_dual_max_num_f32 v16, v16, v16
	v_dual_fmac_f32 v144, 0x32a5705f, v113 :: v_dual_sub_f32 v35, v35, v6
	s_delay_alu instid0(VALU_DEP_3) | instskip(SKIP_1) | instid1(VALU_DEP_4)
	v_fmac_f32_e32 v142, 0x32a5705f, v116
	v_sub_f32_e32 v114, v124, v143
	v_max_num_f32_e32 v39, v20, v16
	v_exp_f32_e32 v20, v21
	v_nop
	v_cndmask_b32_e64 v21, 0, v24, s2
	v_exp_f32_e32 v24, v118
	v_ldexp_f32 v16, v112, v120
	ds_bpermute_b32 v7, v7, v39
	v_add_f32_e32 v122, v122, v144
	v_cmp_ngt_f32_e64 s2, 0xc2ce8ed0, v113
	v_ldexp_f32 v19, v20, v38
	v_cndmask_b32_e64 v112, 0, v16, s3
	v_ldexp_f32 v24, v24, v119
	v_ldexp_f32 v20, v17, v117
	v_cmp_ngt_f32_e64 s3, 0xc2ce8ed0, v116
	v_cndmask_b32_e64 v19, 0, v19, s5
	v_cndmask_b32_e64 v17, 0x7f800000, v112, s6
	v_cndmask_b32_e64 v24, 0, v24, s8
	v_cndmask_b32_e64 v16, 0x7f800000, v21, s4
	v_cndmask_b32_e64 v18, 0x7f800000, v18, s9
	v_sub_f32_e32 v31, v31, v4
	v_cvt_f16_f32_e32 v38, v17
	v_sub_f32_e32 v32, v32, v5
	v_cvt_f16_f32_e32 v21, v16
	s_delay_alu instid0(VALU_DEP_3) | instskip(SKIP_2) | instid1(VALU_DEP_3)
	v_and_b32_e32 v38, 0xffff, v38
	s_wait_dscnt 0x0
	v_max_num_f32_e32 v7, v7, v7
	v_and_b32_e32 v21, 0xffff, v21
	v_cndmask_b32_e64 v112, 0, v20, s7
	v_exp_f32_e32 v118, v122
	v_cndmask_b32_e64 v20, 0x7f800000, v19, s10
	v_max_num_f32_e32 v7, v39, v7
	v_mul_u32_u24_e32 v21, 0x10001, v21
	v_cvt_i32_f32_e32 v39, v145
	v_cndmask_b32_e64 v19, 0x7f800000, v112, s11
	v_mul_u32_u24_e32 v38, 0x10001, v38
	v_sub_f32_e32 v37, v37, v7
	v_pk_mul_f16 v112, v105, v21
	v_exp_f32_e32 v105, v121
	v_pk_mul_f16 v117, v106, v21
	v_cvt_i32_f32_e32 v106, v141
	v_ldexp_f32 v39, v118, v39
	v_cndmask_b32_e32 v21, 0x7f800000, v24, vcc_lo
	v_cmp_ngt_f32_e32 vcc_lo, 0xc2ce8ed0, v115
	v_sub_f32_e32 v36, v36, v7
	v_ldexp_f32 v24, v105, v106
	v_cndmask_b32_e64 v39, 0, v39, s2
	v_cmp_nlt_f32_e64 s2, 0x42b17218, v113
	v_pk_mul_f16 v113, v103, v38
	v_dual_sub_f32 v103, v111, v3 :: v_dual_add_f32 v105, v114, v142
	v_cndmask_b32_e32 v24, 0, v24, vcc_lo
	v_pk_mul_f16 v114, v104, v38
	v_sub_f32_e32 v106, v22, v3
	v_cmp_nlt_f32_e32 vcc_lo, 0x42b17218, v115
	v_exp_f32_e32 v104, v105
	v_nop
	v_cvt_i32_f32_e32 v105, v143
	v_cndmask_b32_e64 v22, 0x7f800000, v39, s2
	v_dual_mul_f32 v38, 0x3fb8aa3b, v106 :: v_dual_mul_f32 v115, 0x3fb8aa3b, v103
	v_cndmask_b32_e32 v24, 0x7f800000, v24, vcc_lo
	v_cmp_nlt_f32_e32 vcc_lo, 0x42b17218, v116
	v_ldexp_f32 v104, v104, v105
	v_sub_f32_e32 v105, v23, v3
	v_rndne_f32_e32 v111, v38
	v_fma_f32 v119, 0x3fb8aa3b, v103, -v115
	v_rndne_f32_e32 v120, v115
	v_cndmask_b32_e64 v39, 0, v104, s3
	v_fma_f32 v104, 0x3fb8aa3b, v106, -v38
	v_mul_f32_e32 v118, 0x3fb8aa3b, v105
	v_sub_f32_e32 v38, v38, v111
	v_cvt_f16_f32_e32 v23, v22
	s_delay_alu instid0(VALU_DEP_4) | instskip(NEXT) | instid1(VALU_DEP_4)
	v_dual_fmac_f32 v119, 0x32a5705f, v103 :: v_dual_fmac_f32 v104, 0x32a5705f, v106
	v_fma_f32 v121, 0x3fb8aa3b, v105, -v118
	v_rndne_f32_e32 v122, v118
	s_delay_alu instid0(VALU_DEP_4)
	v_and_b32_e32 v23, 0xffff, v23
	v_cvt_i32_f32_e32 v111, v111
	v_add_f32_e32 v38, v38, v104
	v_dual_sub_f32 v104, v115, v120 :: v_dual_fmac_f32 v121, 0x32a5705f, v105
	v_sub_f32_e32 v115, v118, v122
	v_mul_u32_u24_e32 v23, 0x10001, v23
	s_delay_alu instid0(VALU_DEP_4) | instskip(NEXT) | instid1(VALU_DEP_3)
	v_exp_f32_e32 v38, v38
	v_add_f32_e32 v116, v104, v119
	s_delay_alu instid0(VALU_DEP_3) | instskip(SKIP_2) | instid1(VALU_DEP_4)
	v_dual_cndmask_b32 v104, 0x7f800000, v39 :: v_dual_add_f32 v115, v115, v121
	v_cmp_ngt_f32_e32 vcc_lo, 0xc2ce8ed0, v106
	v_cmp_ngt_f32_e64 s2, 0xc2ce8ed0, v103
	v_exp_f32_e32 v39, v116
	s_delay_alu instid0(TRANS32_DEP_2)
	v_ldexp_f32 v38, v38, v111
	v_exp_f32_e32 v111, v115
	v_pk_mul_f16 v116, v102, v23
	v_cvt_i32_f32_e32 v102, v120
	v_cvt_i32_f32_e32 v115, v122
	v_pk_mul_f16 v118, v101, v23
	v_cmp_ngt_f32_e64 s3, 0xc2ce8ed0, v105
	v_mul_f32_e32 v119, 0x3fb8aa3b, v31
	v_ldexp_f32 v39, v39, v102
	v_cndmask_b32_e32 v38, 0, v38, vcc_lo
	v_cmp_nlt_f32_e32 vcc_lo, 0x42b17218, v106
	v_ldexp_f32 v101, v111, v115
	v_rndne_f32_e32 v121, v119
	v_dual_cndmask_b32 v23, 0, v39, s2 :: v_dual_sub_f32 v39, v25, v4
	v_dual_sub_f32 v102, v110, v4 :: v_dual_cndmask_b32 v25, 0x7f800000, v38
	s_delay_alu instid0(VALU_DEP_4) | instskip(SKIP_1) | instid1(VALU_DEP_4)
	v_cndmask_b32_e64 v38, 0, v101, s3
	v_fma_f32 v120, 0x3fb8aa3b, v31, -v119
	v_mul_f32_e32 v101, 0x3fb8aa3b, v39
	v_cmp_nlt_f32_e64 s2, 0x42b17218, v103
	v_cmp_nlt_f32_e32 vcc_lo, 0x42b17218, v105
	v_cmp_ngt_f32_e64 s3, 0xc2ce8ed0, v31
	v_fmac_f32_e32 v120, 0x32a5705f, v31
	v_fma_f32 v106, 0x3fb8aa3b, v39, -v101
	v_rndne_f32_e32 v115, v101
	v_cndmask_b32_e64 v23, 0x7f800000, v23, s2
	v_cmp_ngt_f32_e64 s2, 0xc2ce8ed0, v39
	s_delay_alu instid0(VALU_DEP_4) | instskip(NEXT) | instid1(VALU_DEP_4)
	v_fmac_f32_e32 v106, 0x32a5705f, v39
	v_sub_f32_e32 v101, v101, v115
	s_delay_alu instid0(VALU_DEP_4) | instskip(SKIP_1) | instid1(VALU_DEP_3)
	v_cvt_f16_f32_e32 v105, v23
	v_cvt_i32_f32_e32 v115, v115
	v_dual_add_f32 v101, v101, v106 :: v_dual_sub_f32 v106, v119, v121
	v_mul_f32_e32 v103, 0x3fb8aa3b, v102
	s_delay_alu instid0(VALU_DEP_4) | instskip(NEXT) | instid1(VALU_DEP_3)
	v_and_b32_e32 v105, 0xffff, v105
	v_exp_f32_e32 v101, v101
	s_delay_alu instid0(VALU_DEP_2) | instskip(SKIP_1) | instid1(VALU_DEP_1)
	v_fma_f32 v110, 0x3fb8aa3b, v102, -v103
	v_rndne_f32_e32 v111, v103
	v_dual_fmac_f32 v110, 0x32a5705f, v102 :: v_dual_sub_f32 v103, v103, v111
	v_cvt_i32_f32_e32 v111, v111
	s_delay_alu instid0(TRANS32_DEP_1) | instskip(NEXT) | instid1(VALU_DEP_3)
	v_ldexp_f32 v101, v101, v115
	v_add_f32_e32 v103, v103, v110
	v_mul_u32_u24_e32 v110, 0x10001, v105
	v_dual_cndmask_b32 v105, 0x7f800000, v38 :: v_dual_add_f32 v38, v106, v120
	v_cmp_ngt_f32_e32 vcc_lo, 0xc2ce8ed0, v102
	s_delay_alu instid0(VALU_DEP_4) | instskip(NEXT) | instid1(VALU_DEP_3)
	v_exp_f32_e32 v103, v103
	v_pk_mul_f16 v119, v100, v110
	v_pk_mul_f16 v115, v99, v110
	v_exp_f32_e32 v38, v38
	v_cvt_i32_f32_e32 v99, v121
	s_delay_alu instid0(TRANS32_DEP_2)
	v_ldexp_f32 v100, v103, v111
	s_delay_alu instid0(TRANS32_DEP_1) | instid1(VALU_DEP_2)
	v_ldexp_f32 v38, v38, v99
	s_delay_alu instid0(VALU_DEP_2)
	v_dual_cndmask_b32 v101, 0, v101, s2 :: v_dual_cndmask_b32 v100, 0, v100, vcc_lo
	v_cmp_nlt_f32_e32 vcc_lo, 0x42b17218, v102
	v_cmp_nlt_f32_e64 s2, 0x42b17218, v39
	v_sub_f32_e32 v99, v108, v5
	v_mul_f32_e32 v39, 0x3fb8aa3b, v33
	v_cndmask_b32_e64 v38, 0, v38, s3
	v_cndmask_b32_e32 v100, 0x7f800000, v100, vcc_lo
	v_cndmask_b32_e64 v102, 0x7f800000, v101, s2
	v_mul_f32_e32 v108, 0x3fb8aa3b, v99
	v_fma_f32 v101, 0x3fb8aa3b, v33, -v39
	v_rndne_f32_e32 v103, v39
	v_cvt_f16_f32_e32 v106, v100
	v_cmp_nlt_f32_e32 vcc_lo, 0x42b17218, v31
	v_fma_f32 v110, 0x3fb8aa3b, v99, -v108
	v_fmac_f32_e32 v101, 0x32a5705f, v33
	v_sub_f32_e32 v31, v39, v103
	v_and_b32_e32 v39, 0xffff, v106
	v_rndne_f32_e32 v111, v108
	v_fmac_f32_e32 v110, 0x32a5705f, v99
	s_delay_alu instid0(VALU_DEP_4) | instskip(NEXT) | instid1(VALU_DEP_4)
	v_dual_cndmask_b32 v106, 0x7f800000, v38 :: v_dual_add_f32 v31, v31, v101
	v_mul_u32_u24_e32 v39, 0x10001, v39
	s_delay_alu instid0(VALU_DEP_4) | instskip(SKIP_1) | instid1(VALU_DEP_4)
	v_dual_sub_f32 v101, v108, v111 :: v_dual_mul_f32 v108, 0x3fb8aa3b, v32
	v_cvt_i32_f32_e32 v38, v103
	v_exp_f32_e32 v31, v31
	s_delay_alu instid0(VALU_DEP_3)
	v_pk_mul_f16 v120, v98, v39
	v_cmp_ngt_f32_e32 vcc_lo, 0xc2ce8ed0, v33
	v_fma_f32 v98, 0x3fb8aa3b, v32, -v108
	v_add_f32_e32 v101, v101, v110
	v_rndne_f32_e32 v110, v108
	v_cmp_ngt_f32_e64 s2, 0xc2ce8ed0, v99
	v_ldexp_f32 v31, v31, v38
	v_fmac_f32_e32 v98, 0x32a5705f, v32
	v_exp_f32_e32 v38, v101
	v_nop
	v_cvt_i32_f32_e32 v101, v111
	v_dual_sub_f32 v103, v108, v110 :: v_dual_cndmask_b32 v31, 0, v31, vcc_lo
	v_cmp_nlt_f32_e32 vcc_lo, 0x42b17218, v33
	v_mul_f32_e32 v33, 0x3fb8aa3b, v35
	v_pk_mul_f16 v97, v97, v39
	v_ldexp_f32 v38, v38, v101
	v_add_f32_e32 v39, v103, v98
	v_cndmask_b32_e32 v103, 0x7f800000, v31, vcc_lo
	v_cmp_nlt_f32_e32 vcc_lo, 0x42b17218, v99
	v_rndne_f32_e32 v98, v33
	v_cndmask_b32_e64 v31, 0, v38, s2
	v_fma_f32 v38, 0x3fb8aa3b, v35, -v33
	v_cvt_i32_f32_e32 v99, v110
	s_delay_alu instid0(VALU_DEP_3) | instskip(SKIP_1) | instid1(VALU_DEP_4)
	v_cndmask_b32_e32 v101, 0x7f800000, v31, vcc_lo
	v_sub_f32_e32 v31, v33, v98
	v_dual_sub_f32 v33, v34, v6 :: v_dual_fmac_f32 v38, 0x32a5705f, v35
	v_exp_f32_e32 v39, v39
	v_sub_f32_e32 v34, v107, v6
	v_cmp_ngt_f32_e32 vcc_lo, 0xc2ce8ed0, v32
	v_cvt_i32_f32_e32 v98, v98
	v_dual_add_f32 v31, v31, v38 :: v_dual_mul_f32 v38, 0x3fb8aa3b, v33
	v_cmp_ngt_f32_e64 s2, 0xc2ce8ed0, v35
	s_delay_alu instid0(TRANS32_DEP_1) | instskip(SKIP_1) | instid1(VALU_DEP_4)
	v_ldexp_f32 v39, v39, v99
	v_cmp_nlt_f32_e64 s4, 0x42b17218, v33
	v_exp_f32_e32 v31, v31
	v_fma_f32 v108, 0x3fb8aa3b, v33, -v38
	v_rndne_f32_e32 v121, v38
	v_cndmask_b32_e32 v39, 0, v39, vcc_lo
	v_cmp_nlt_f32_e32 vcc_lo, 0x42b17218, v32
	s_delay_alu instid0(VALU_DEP_4) | instskip(NEXT) | instid1(VALU_DEP_4)
	v_fmac_f32_e32 v108, 0x32a5705f, v33
	v_dual_sub_f32 v32, v38, v121 :: v_dual_mul_f32 v107, 0x3fb8aa3b, v34
	v_ldexp_f32 v31, v31, v98
	s_delay_alu instid0(VALU_DEP_2) | instskip(NEXT) | instid1(VALU_DEP_3)
	v_add_f32_e32 v32, v32, v108
	v_fma_f32 v110, 0x3fb8aa3b, v34, -v107
	v_rndne_f32_e32 v111, v107
	s_delay_alu instid0(VALU_DEP_4) | instskip(NEXT) | instid1(VALU_DEP_4)
	v_cndmask_b32_e64 v31, 0, v31, s2
	v_exp_f32_e32 v32, v32
	s_delay_alu instid0(VALU_DEP_2) | instskip(NEXT) | instid1(VALU_DEP_1)
	v_dual_fmac_f32 v110, 0x32a5705f, v34 :: v_dual_sub_f32 v107, v107, v111
	v_add_f32_e32 v38, v107, v110
	v_cvt_f16_f32_e32 v99, v101
	v_cndmask_b32_e32 v107, 0x7f800000, v39, vcc_lo
	v_cmp_nlt_f32_e32 vcc_lo, 0x42b17218, v35
	v_cvt_i32_f32_e32 v35, v111
	v_exp_f32_e32 v38, v38
	v_and_b32_e32 v99, 0xffff, v99
	v_cvt_i32_f32_e32 v39, v121
	s_delay_alu instid0(VALU_DEP_2) | instskip(SKIP_1) | instid1(VALU_DEP_3)
	v_mul_u32_u24_e32 v122, 0x10001, v99
	v_mul_f32_e32 v99, 0x3fb8aa3b, v36
	v_ldexp_f32 v32, v32, v39
	s_delay_alu instid0(VALU_DEP_2) | instskip(SKIP_4) | instid1(VALU_DEP_2)
	v_rndne_f32_e32 v110, v99
	v_cndmask_b32_e32 v98, 0x7f800000, v31, vcc_lo
	v_ldexp_f32 v31, v38, v35
	v_dual_mul_f32 v35, 0x3fb8aa3b, v37 :: v_dual_sub_f32 v38, v109, v7
	v_cmp_ngt_f32_e32 vcc_lo, 0xc2ce8ed0, v34
	v_fma_f32 v39, 0x3fb8aa3b, v37, -v35
	v_rndne_f32_e32 v109, v35
	s_delay_alu instid0(VALU_DEP_4) | instskip(SKIP_1) | instid1(VALU_DEP_4)
	v_dual_cndmask_b32 v31, 0, v31 :: v_dual_mul_f32 v108, 0x3fb8aa3b, v38
	v_cmp_nlt_f32_e32 vcc_lo, 0x42b17218, v34
	v_fmac_f32_e32 v39, 0x32a5705f, v37
	v_fma_f32 v34, 0x3fb8aa3b, v36, -v99
	v_sub_f32_e32 v35, v35, v109
	v_fma_f32 v111, 0x3fb8aa3b, v38, -v108
	v_rndne_f32_e32 v121, v108
	s_delay_alu instid0(VALU_DEP_4) | instskip(NEXT) | instid1(VALU_DEP_4)
	v_dual_sub_f32 v99, v99, v110 :: v_dual_fmac_f32 v34, 0x32a5705f, v36
	v_add_f32_e32 v35, v35, v39
	s_delay_alu instid0(VALU_DEP_4) | instskip(NEXT) | instid1(VALU_DEP_4)
	v_fmac_f32_e32 v111, 0x32a5705f, v38
	v_dual_sub_f32 v123, v108, v121 :: v_dual_cndmask_b32 v108, 0x7f800000, v31
	s_delay_alu instid0(VALU_DEP_4) | instskip(NEXT) | instid1(VALU_DEP_4)
	v_add_f32_e32 v31, v99, v34
	v_exp_f32_e32 v35, v35
	v_cmp_ngt_f32_e32 vcc_lo, 0xc2ce8ed0, v33
	s_delay_alu instid0(VALU_DEP_3)
	v_add_f32_e32 v34, v123, v111
	v_cvt_i32_f32_e32 v39, v109
	v_exp_f32_e32 v31, v31
	v_cvt_i32_f32_e32 v99, v110
	v_cvt_i32_f32_e32 v109, v121
	v_exp_f32_e32 v34, v34
	v_ldexp_f32 v35, v35, v39
	v_cndmask_b32_e32 v32, 0, v32, vcc_lo
	v_cmp_ngt_f32_e32 vcc_lo, 0xc2ce8ed0, v37
	v_ldexp_f32 v31, v31, v99
	v_cmp_ngt_f32_e64 s2, 0xc2ce8ed0, v36
	v_cmp_ngt_f32_e64 s3, 0xc2ce8ed0, v38
	v_ldexp_f32 v34, v34, v109
	v_cndmask_b32_e32 v33, 0, v35, vcc_lo
	v_cmp_nlt_f32_e32 vcc_lo, 0x42b17218, v37
	v_cvt_f16_f32_e32 v111, v108
	s_delay_alu instid0(VALU_DEP_4)
	v_dual_cndmask_b32 v31, 0, v31, s2 :: v_dual_cndmask_b32 v34, 0, v34, s3
	v_cmp_nlt_f32_e64 s2, 0x42b17218, v36
	v_cmp_nlt_f32_e64 s3, 0x42b17218, v38
	v_cndmask_b32_e32 v99, 0x7f800000, v33, vcc_lo
	v_cndmask_b32_e64 v110, 0x7f800000, v32, s4
	v_and_b32_e32 v121, 0xffff, v111
	v_cndmask_b32_e64 v111, 0x7f800000, v31, s2
	v_cndmask_b32_e64 v109, 0x7f800000, v34, s3
	v_cvt_pk_f16_f32 v35, v98, v99
	v_cvt_pk_f16_f32 v34, v102, v103
	;; [unrolled: 1-line block ×8, first 2 shown]
	ds_store_b128 v83, v[32:35]
	ds_store_b128 v83, v[36:39] offset:512
	s_wait_loadcnt 0x1
	ds_store_b128 v86, v[8:11]
	s_wait_loadcnt 0x0
	ds_store_b128 v87, v[12:15]
	s_wait_dscnt 0x0
	s_barrier_signal -1
	s_barrier_wait -1
	ds_load_b128 v[8:11], v79
	v_pk_mul_f16 v31, v96, v122
	v_mul_u32_u24_e32 v96, 0x10001, v121
	v_cvt_f16_f32_e32 v121, v109
	v_pk_add_f32 v[24:25], v[24:25], v[104:105]
	v_pk_add_f32 v[18:19], v[18:19], v[20:21]
	;; [unrolled: 1-line block ×3, first 2 shown]
	v_pk_mul_f16 v37, v93, v96
	v_and_b32_e32 v32, 0xffff, v121
	v_pk_fma_f32 v[48:49], v[48:49], v[22:23], v[24:25]
	v_pk_fma_f32 v[40:41], v[40:41], v[16:17], v[18:19]
	;; [unrolled: 1-line block ×3, first 2 shown]
	v_pk_mul_f16 v38, v94, v96
	v_mul_u32_u24_e32 v20, 0x10001, v32
	v_pk_mul_f16 v36, v95, v122
	s_or_b32 s2, s14, 32
	s_delay_alu instid0(SALU_CYCLE_1) | instskip(NEXT) | instid1(VALU_DEP_2)
	s_ashr_i32 s3, s2, 31
	v_pk_mul_f16 v25, v92, v20
	v_pk_mul_f16 v24, v91, v20
	s_wait_dscnt 0x0
	v_lshrrev_b32_e32 v92, 16, v10
	v_pk_add_f32 v[14:15], v[102:103], v[106:107]
	v_dual_lshrrev_b32 v39, 16, v8 :: v_dual_lshrrev_b32 v91, 16, v9
	v_and_b32_e32 v8, 0xffff, v8
	v_and_b32_e32 v9, 0xffff, v9
	s_delay_alu instid0(VALU_DEP_4)
	v_pk_fma_f32 v[46:47], v[46:47], v[100:101], v[14:15]
	ds_load_2addr_b64 v[12:15], v80 offset1:32
	ds_load_b128 v[16:19], v79 offset:16
	ds_load_b128 v[20:23], v79 offset:32
	;; [unrolled: 1-line block ×3, first 2 shown]
	v_lshrrev_b32_e32 v93, 16, v11
	v_and_b32_e32 v11, 0xffff, v11
	v_and_b32_e32 v10, 0xffff, v10
	v_mul_u32_u24_e32 v8, 0x10001, v8
	v_mul_u32_u24_e32 v39, 0x10001, v39
	;; [unrolled: 1-line block ×7, first 2 shown]
	s_mul_u64 s[2:3], s[2:3], s[20:21]
	s_delay_alu instid0(SALU_CYCLE_1) | instskip(NEXT) | instid1(SALU_CYCLE_1)
	s_lshl_b64 s[2:3], s[2:3], 2
	s_add_nc_u64 s[2:3], s[26:27], s[2:3]
	s_wait_dscnt 0x3
	v_pk_fma_f16 v37, v12, v11, v37
	v_pk_fma_f16 v38, v13, v11, v38
	s_wait_dscnt 0x2
	v_lshrrev_b32_e32 v11, 16, v16
	v_mul_u32_u24_e32 v93, 0x10001, v93
	v_pk_fma_f16 v94, v12, v8, v112
	v_pk_fma_f16 v95, v12, v39, v114
	;; [unrolled: 1-line block ×14, first 2 shown]
	v_and_b32_e32 v16, 0xffff, v16
	v_dual_lshrrev_b32 v25, 16, v17 :: v_dual_lshrrev_b32 v91, 16, v18
	v_lshrrev_b32_e32 v92, 16, v19
	v_and_b32_e32 v17, 0xffff, v17
	v_and_b32_e32 v18, 0xffff, v18
	;; [unrolled: 1-line block ×3, first 2 shown]
	v_mul_u32_u24_e32 v16, 0x10001, v16
	v_mul_u32_u24_e32 v11, 0x10001, v11
	;; [unrolled: 1-line block ×8, first 2 shown]
	v_pk_fma_f16 v93, v14, v16, v94
	v_pk_fma_f16 v94, v14, v11, v95
	;; [unrolled: 1-line block ×12, first 2 shown]
	ds_load_2addr_b64 v[8:11], v80 offset0:64 offset1:96
	v_pk_fma_f16 v24, v15, v25, v39
	v_pk_fma_f16 v25, v15, v91, v36
	;; [unrolled: 1-line block ×4, first 2 shown]
	s_wait_dscnt 0x2
	v_dual_lshrrev_b32 v15, 16, v20 :: v_dual_lshrrev_b32 v36, 16, v21
	v_and_b32_e32 v20, 0xffff, v20
	v_dual_lshrrev_b32 v38, 16, v22 :: v_dual_lshrrev_b32 v39, 16, v23
	v_and_b32_e32 v21, 0xffff, v21
	v_and_b32_e32 v22, 0xffff, v22
	;; [unrolled: 1-line block ×3, first 2 shown]
	v_mul_u32_u24_e32 v20, 0x10001, v20
	v_mul_u32_u24_e32 v15, 0x10001, v15
	;; [unrolled: 1-line block ×8, first 2 shown]
	s_wait_dscnt 0x0
	v_pk_fma_f16 v91, v8, v20, v93
	v_pk_fma_f16 v92, v8, v15, v94
	;; [unrolled: 1-line block ×16, first 2 shown]
	v_dual_lshrrev_b32 v12, 16, v32 :: v_dual_lshrrev_b32 v14, 16, v33
	v_and_b32_e32 v13, 0xffff, v32
	v_dual_lshrrev_b32 v15, 16, v34 :: v_dual_lshrrev_b32 v19, 16, v35
	s_delay_alu instid0(VALU_DEP_3) | instskip(SKIP_1) | instid1(VALU_DEP_4)
	v_mul_u32_u24_e32 v32, 0x10001, v12
	v_and_b32_e32 v12, 0xffff, v35
	v_mul_u32_u24_e32 v25, 0x10001, v13
	v_and_b32_e32 v13, 0xffff, v34
	v_and_b32_e32 v24, 0xffff, v33
	v_mul_u32_u24_e32 v33, 0x10001, v14
	v_mul_u32_u24_e32 v35, 0x10001, v15
	;; [unrolled: 1-line block ×4, first 2 shown]
	ds_load_b128 v[12:15], v79 offset:64
	v_mul_u32_u24_e32 v24, 0x10001, v24
	v_mul_u32_u24_e32 v38, 0x10001, v19
	v_pk_fma_f16 v39, v10, v25, v91
	v_pk_fma_f16 v91, v10, v32, v92
	;; [unrolled: 1-line block ×14, first 2 shown]
	ds_load_2addr_b64 v[16:19], v80 offset0:128 offset1:160
	v_pk_fma_f16 v23, v11, v36, v23
	v_pk_fma_f16 v33, v11, v38, v9
	ds_load_b128 v[8:11], v79 offset:80
	s_wait_dscnt 0x2
	v_dual_lshrrev_b32 v36, 16, v14 :: v_dual_lshrrev_b32 v38, 16, v15
	v_and_b32_e32 v15, 0xffff, v15
	v_dual_lshrrev_b32 v34, 16, v12 :: v_dual_lshrrev_b32 v35, 16, v13
	v_and_b32_e32 v12, 0xffff, v12
	v_and_b32_e32 v13, 0xffff, v13
	;; [unrolled: 1-line block ×3, first 2 shown]
	v_mul_u32_u24_e32 v15, 0x10001, v15
	v_mul_u32_u24_e32 v34, 0x10001, v34
	;; [unrolled: 1-line block ×8, first 2 shown]
	s_wait_dscnt 0x1
	v_pk_fma_f16 v37, v16, v15, v37
	v_pk_fma_f16 v23, v17, v15, v23
	;; [unrolled: 1-line block ×3, first 2 shown]
	s_wait_dscnt 0x0
	v_lshrrev_b32_e32 v15, 16, v8
	v_and_b32_e32 v8, 0xffff, v8
	v_pk_fma_f16 v92, v16, v13, v92
	v_pk_fma_f16 v94, v16, v14, v94
	;; [unrolled: 1-line block ×9, first 2 shown]
	v_dual_lshrrev_b32 v24, 16, v9 :: v_dual_lshrrev_b32 v25, 16, v10
	v_lshrrev_b32_e32 v32, 16, v11
	v_and_b32_e32 v9, 0xffff, v9
	v_mul_u32_u24_e32 v33, 0x10001, v8
	v_and_b32_e32 v8, 0xffff, v10
	v_and_b32_e32 v10, 0xffff, v11
	v_pk_fma_f16 v91, v16, v34, v91
	v_pk_fma_f16 v93, v16, v35, v93
	;; [unrolled: 1-line block ×3, first 2 shown]
	v_mul_u32_u24_e32 v34, 0x10001, v9
	v_mul_u32_u24_e32 v35, 0x10001, v8
	;; [unrolled: 1-line block ×3, first 2 shown]
	ds_load_b128 v[8:11], v79 offset:96
	v_pk_fma_f16 v16, v16, v38, v95
	v_mul_u32_u24_e32 v15, 0x10001, v15
	v_mul_u32_u24_e32 v24, 0x10001, v24
	;; [unrolled: 1-line block ×4, first 2 shown]
	v_pk_fma_f16 v38, v18, v33, v39
	v_pk_fma_f16 v39, v18, v15, v91
	;; [unrolled: 1-line block ×14, first 2 shown]
	ds_load_2addr_b64 v[12:15], v80 offset0:192 offset1:224
	v_pk_fma_f16 v23, v19, v36, v23
	v_pk_fma_f16 v25, v19, v32, v17
	ds_load_b128 v[16:19], v79 offset:112
	s_wait_dscnt 0x2
	v_dual_lshrrev_b32 v32, 16, v8 :: v_dual_lshrrev_b32 v35, 16, v9
	v_and_b32_e32 v8, 0xffff, v8
	v_and_b32_e32 v9, 0xffff, v9
	v_dual_lshrrev_b32 v36, 16, v10 :: v_dual_lshrrev_b32 v95, 16, v11
	v_and_b32_e32 v10, 0xffff, v10
	s_delay_alu instid0(VALU_DEP_4)
	v_mul_u32_u24_e32 v8, 0x10001, v8
	v_mul_u32_u24_e32 v32, 0x10001, v32
	v_and_b32_e32 v11, 0xffff, v11
	v_mul_u32_u24_e32 v9, 0x10001, v9
	v_mul_u32_u24_e32 v35, 0x10001, v35
	v_mul_u32_u24_e32 v10, 0x10001, v10
	v_mul_u32_u24_e32 v36, 0x10001, v36
	v_mul_u32_u24_e32 v11, 0x10001, v11
	v_mul_u32_u24_e32 v95, 0x10001, v95
	s_wait_dscnt 0x1
	v_pk_fma_f16 v38, v12, v8, v38
	v_pk_fma_f16 v39, v12, v32, v39
	;; [unrolled: 1-line block ×6, first 2 shown]
	s_wait_dscnt 0x0
	v_lshrrev_b32_e32 v8, 16, v16
	v_and_b32_e32 v9, 0xffff, v16
	v_pk_fma_f16 v93, v12, v10, v93
	v_pk_fma_f16 v37, v12, v11, v37
	;; [unrolled: 1-line block ×7, first 2 shown]
	v_dual_lshrrev_b32 v10, 16, v17 :: v_dual_lshrrev_b32 v11, 16, v18
	v_lshrrev_b32_e32 v16, 16, v19
	v_mul_u32_u24_e32 v25, 0x10001, v9
	v_and_b32_e32 v9, 0xffff, v18
	v_mul_u32_u24_e32 v18, 0x10001, v8
	v_and_b32_e32 v8, 0xffff, v19
	v_pk_fma_f16 v92, v12, v35, v92
	v_pk_fma_f16 v31, v12, v36, v31
	v_and_b32_e32 v17, 0xffff, v17
	v_mul_u32_u24_e32 v19, 0x10001, v10
	v_mul_u32_u24_e32 v34, 0x10001, v9
	;; [unrolled: 1-line block ×4, first 2 shown]
	ds_load_b128 v[8:11], v79 offset:128
	v_pk_fma_f16 v12, v12, v95, v94
	v_mul_u32_u24_e32 v17, 0x10001, v17
	v_mul_u32_u24_e32 v94, 0x10001, v16
	v_pk_fma_f16 v38, v14, v25, v38
	v_pk_fma_f16 v25, v15, v25, v33
	;; [unrolled: 1-line block ×3, first 2 shown]
	v_add_nc_u32_e32 v20, 0x800, v80
	v_pk_fma_f16 v39, v14, v18, v39
	v_pk_fma_f16 v91, v14, v17, v91
	;; [unrolled: 1-line block ×11, first 2 shown]
	ds_load_2addr_b64 v[16:19], v20 offset1:32
	v_pk_fma_f16 v23, v15, v36, v23
	v_pk_fma_f16 v34, v15, v94, v13
	ds_load_b128 v[12:15], v79 offset:144
	s_wait_dscnt 0x2
	v_dual_lshrrev_b32 v35, 16, v8 :: v_dual_lshrrev_b32 v36, 16, v9
	v_and_b32_e32 v8, 0xffff, v8
	v_and_b32_e32 v9, 0xffff, v9
	v_dual_lshrrev_b32 v94, 16, v10 :: v_dual_lshrrev_b32 v96, 16, v11
	v_and_b32_e32 v10, 0xffff, v10
	s_delay_alu instid0(VALU_DEP_4)
	v_mul_u32_u24_e32 v8, 0x10001, v8
	v_and_b32_e32 v11, 0xffff, v11
	v_mul_u32_u24_e32 v9, 0x10001, v9
	v_mul_u32_u24_e32 v35, 0x10001, v35
	;; [unrolled: 1-line block ×7, first 2 shown]
	s_wait_dscnt 0x1
	v_pk_fma_f16 v38, v16, v8, v38
	v_pk_fma_f16 v91, v16, v9, v91
	;; [unrolled: 1-line block ×4, first 2 shown]
	s_wait_dscnt 0x0
	v_lshrrev_b32_e32 v8, 16, v12
	v_and_b32_e32 v9, 0xffff, v12
	v_pk_fma_f16 v93, v16, v10, v93
	v_pk_fma_f16 v37, v16, v11, v37
	;; [unrolled: 1-line block ×8, first 2 shown]
	v_dual_lshrrev_b32 v10, 16, v13 :: v_dual_lshrrev_b32 v11, 16, v14
	v_lshrrev_b32_e32 v12, 16, v15
	v_mul_u32_u24_e32 v34, 0x10001, v9
	v_and_b32_e32 v9, 0xffff, v14
	v_mul_u32_u24_e32 v14, 0x10001, v8
	v_and_b32_e32 v8, 0xffff, v15
	v_pk_fma_f16 v39, v16, v35, v39
	v_pk_fma_f16 v92, v16, v36, v92
	;; [unrolled: 1-line block ×3, first 2 shown]
	v_and_b32_e32 v13, 0xffff, v13
	v_mul_u32_u24_e32 v15, 0x10001, v10
	v_mul_u32_u24_e32 v35, 0x10001, v9
	;; [unrolled: 1-line block ×4, first 2 shown]
	ds_load_b128 v[8:11], v79 offset:160
	v_pk_fma_f16 v16, v16, v96, v95
	v_mul_u32_u24_e32 v13, 0x10001, v13
	v_mul_u32_u24_e32 v95, 0x10001, v12
	v_pk_fma_f16 v38, v18, v34, v38
	v_pk_fma_f16 v39, v18, v14, v39
	;; [unrolled: 1-line block ×14, first 2 shown]
	ds_load_2addr_b64 v[12:15], v20 offset0:64 offset1:96
	v_pk_fma_f16 v23, v19, v94, v23
	v_pk_fma_f16 v34, v19, v95, v17
	ds_load_b128 v[16:19], v79 offset:176
	s_wait_dscnt 0x2
	v_dual_lshrrev_b32 v35, 16, v8 :: v_dual_lshrrev_b32 v36, 16, v9
	v_and_b32_e32 v8, 0xffff, v8
	v_and_b32_e32 v9, 0xffff, v9
	v_dual_lshrrev_b32 v94, 16, v10 :: v_dual_lshrrev_b32 v95, 16, v11
	v_and_b32_e32 v10, 0xffff, v10
	s_delay_alu instid0(VALU_DEP_4)
	v_mul_u32_u24_e32 v8, 0x10001, v8
	v_and_b32_e32 v11, 0xffff, v11
	v_mul_u32_u24_e32 v9, 0x10001, v9
	v_mul_u32_u24_e32 v35, 0x10001, v35
	;; [unrolled: 1-line block ×7, first 2 shown]
	s_wait_dscnt 0x1
	v_pk_fma_f16 v38, v12, v8, v38
	v_pk_fma_f16 v91, v12, v9, v91
	;; [unrolled: 1-line block ×4, first 2 shown]
	s_wait_dscnt 0x0
	v_lshrrev_b32_e32 v8, 16, v16
	v_and_b32_e32 v9, 0xffff, v16
	v_pk_fma_f16 v93, v12, v10, v93
	v_pk_fma_f16 v37, v12, v11, v37
	;; [unrolled: 1-line block ×8, first 2 shown]
	v_dual_lshrrev_b32 v10, 16, v17 :: v_dual_lshrrev_b32 v11, 16, v18
	v_lshrrev_b32_e32 v16, 16, v19
	v_mul_u32_u24_e32 v34, 0x10001, v9
	v_and_b32_e32 v9, 0xffff, v18
	v_mul_u32_u24_e32 v18, 0x10001, v8
	v_and_b32_e32 v8, 0xffff, v19
	v_pk_fma_f16 v39, v12, v35, v39
	v_pk_fma_f16 v92, v12, v36, v92
	;; [unrolled: 1-line block ×3, first 2 shown]
	v_and_b32_e32 v17, 0xffff, v17
	v_mul_u32_u24_e32 v19, 0x10001, v10
	v_mul_u32_u24_e32 v35, 0x10001, v9
	v_mul_u32_u24_e32 v36, 0x10001, v11
	v_mul_u32_u24_e32 v94, 0x10001, v8
	ds_load_b128 v[8:11], v79 offset:192
	v_pk_fma_f16 v12, v12, v95, v96
	v_mul_u32_u24_e32 v17, 0x10001, v17
	v_mul_u32_u24_e32 v95, 0x10001, v16
	v_pk_fma_f16 v38, v14, v34, v38
	v_pk_fma_f16 v39, v14, v18, v39
	;; [unrolled: 1-line block ×14, first 2 shown]
	ds_load_2addr_b64 v[16:19], v20 offset0:128 offset1:160
	v_pk_fma_f16 v23, v15, v94, v23
	v_pk_fma_f16 v34, v15, v95, v13
	ds_load_b128 v[12:15], v79 offset:208
	s_wait_dscnt 0x2
	v_dual_lshrrev_b32 v35, 16, v8 :: v_dual_lshrrev_b32 v36, 16, v9
	v_and_b32_e32 v8, 0xffff, v8
	v_and_b32_e32 v9, 0xffff, v9
	v_dual_lshrrev_b32 v94, 16, v10 :: v_dual_lshrrev_b32 v95, 16, v11
	v_and_b32_e32 v10, 0xffff, v10
	s_delay_alu instid0(VALU_DEP_4)
	v_mul_u32_u24_e32 v8, 0x10001, v8
	v_and_b32_e32 v11, 0xffff, v11
	v_mul_u32_u24_e32 v9, 0x10001, v9
	v_mul_u32_u24_e32 v35, 0x10001, v35
	;; [unrolled: 1-line block ×7, first 2 shown]
	s_wait_dscnt 0x1
	v_pk_fma_f16 v38, v16, v8, v38
	v_pk_fma_f16 v91, v16, v9, v91
	;; [unrolled: 1-line block ×4, first 2 shown]
	s_wait_dscnt 0x0
	v_lshrrev_b32_e32 v8, 16, v12
	v_and_b32_e32 v9, 0xffff, v12
	v_pk_fma_f16 v93, v16, v10, v93
	v_pk_fma_f16 v37, v16, v11, v37
	;; [unrolled: 1-line block ×8, first 2 shown]
	v_dual_lshrrev_b32 v10, 16, v13 :: v_dual_lshrrev_b32 v11, 16, v14
	v_lshrrev_b32_e32 v12, 16, v15
	v_mul_u32_u24_e32 v34, 0x10001, v9
	v_and_b32_e32 v9, 0xffff, v14
	v_mul_u32_u24_e32 v14, 0x10001, v8
	v_and_b32_e32 v8, 0xffff, v15
	v_pk_fma_f16 v39, v16, v35, v39
	v_pk_fma_f16 v92, v16, v36, v92
	;; [unrolled: 1-line block ×3, first 2 shown]
	v_and_b32_e32 v13, 0xffff, v13
	v_mul_u32_u24_e32 v15, 0x10001, v10
	v_mul_u32_u24_e32 v35, 0x10001, v9
	v_mul_u32_u24_e32 v36, 0x10001, v11
	v_mul_u32_u24_e32 v94, 0x10001, v8
	ds_load_b128 v[8:11], v79 offset:224
	v_pk_fma_f16 v16, v16, v95, v96
	v_mul_u32_u24_e32 v13, 0x10001, v13
	v_mul_u32_u24_e32 v95, 0x10001, v12
	v_pk_fma_f16 v38, v18, v34, v38
	v_pk_fma_f16 v39, v18, v14, v39
	;; [unrolled: 1-line block ×14, first 2 shown]
	ds_load_2addr_b64 v[12:15], v20 offset0:192 offset1:224
	v_pk_fma_f16 v23, v19, v94, v23
	v_pk_fma_f16 v34, v19, v95, v17
	ds_load_b128 v[16:19], v79 offset:240
	s_wait_dscnt 0x2
	v_dual_lshrrev_b32 v35, 16, v8 :: v_dual_lshrrev_b32 v36, 16, v9
	v_and_b32_e32 v8, 0xffff, v8
	v_and_b32_e32 v9, 0xffff, v9
	v_dual_lshrrev_b32 v94, 16, v10 :: v_dual_lshrrev_b32 v95, 16, v11
	v_and_b32_e32 v10, 0xffff, v10
	s_delay_alu instid0(VALU_DEP_4)
	v_mul_u32_u24_e32 v8, 0x10001, v8
	v_and_b32_e32 v11, 0xffff, v11
	v_mul_u32_u24_e32 v9, 0x10001, v9
	v_mul_u32_u24_e32 v35, 0x10001, v35
	;; [unrolled: 1-line block ×7, first 2 shown]
	s_wait_dscnt 0x1
	v_pk_fma_f16 v38, v12, v8, v38
	v_pk_fma_f16 v91, v12, v9, v91
	;; [unrolled: 1-line block ×4, first 2 shown]
	s_wait_dscnt 0x0
	v_lshrrev_b32_e32 v8, 16, v16
	v_and_b32_e32 v9, 0xffff, v16
	v_pk_fma_f16 v39, v12, v35, v39
	v_pk_fma_f16 v93, v12, v10, v93
	;; [unrolled: 1-line block ×7, first 2 shown]
	v_dual_lshrrev_b32 v10, 16, v17 :: v_dual_lshrrev_b32 v11, 16, v18
	v_lshrrev_b32_e32 v16, 16, v19
	v_mul_u32_u24_e32 v21, 0x10001, v9
	v_and_b32_e32 v9, 0xffff, v18
	v_mul_u32_u24_e32 v18, 0x10001, v8
	v_and_b32_e32 v8, 0xffff, v19
	v_pk_fma_f16 v92, v12, v36, v92
	v_pk_fma_f16 v31, v12, v94, v31
	;; [unrolled: 1-line block ×4, first 2 shown]
	v_and_b32_e32 v17, 0xffff, v17
	v_mul_u32_u24_e32 v19, 0x10001, v10
	v_mul_u32_u24_e32 v34, 0x10001, v9
	;; [unrolled: 1-line block ×4, first 2 shown]
	ds_load_b128 v[8:11], v79 offset:256
	v_pk_fma_f16 v12, v12, v95, v96
	v_mul_u32_u24_e32 v17, 0x10001, v17
	v_mul_u32_u24_e32 v95, 0x10001, v16
	v_pk_fma_f16 v38, v14, v21, v38
	v_pk_fma_f16 v25, v15, v21, v25
	v_add_nc_u32_e32 v21, 0x1000, v80
	v_pk_fma_f16 v39, v14, v18, v39
	v_pk_fma_f16 v91, v14, v17, v91
	;; [unrolled: 1-line block ×12, first 2 shown]
	ds_load_2addr_b64 v[16:19], v21 offset1:32
	v_pk_fma_f16 v23, v15, v94, v23
	v_pk_fma_f16 v34, v15, v95, v13
	ds_load_b128 v[12:15], v79 offset:272
	s_wait_dscnt 0x2
	v_dual_lshrrev_b32 v36, 16, v8 :: v_dual_lshrrev_b32 v94, 16, v9
	v_and_b32_e32 v8, 0xffff, v8
	v_and_b32_e32 v9, 0xffff, v9
	v_dual_lshrrev_b32 v95, 16, v10 :: v_dual_lshrrev_b32 v97, 16, v11
	v_and_b32_e32 v10, 0xffff, v10
	s_delay_alu instid0(VALU_DEP_4)
	v_mul_u32_u24_e32 v8, 0x10001, v8
	v_and_b32_e32 v11, 0xffff, v11
	v_mul_u32_u24_e32 v9, 0x10001, v9
	v_mul_u32_u24_e32 v36, 0x10001, v36
	;; [unrolled: 1-line block ×7, first 2 shown]
	s_wait_dscnt 0x1
	v_pk_fma_f16 v38, v16, v8, v38
	v_pk_fma_f16 v91, v16, v9, v91
	;; [unrolled: 1-line block ×4, first 2 shown]
	s_wait_dscnt 0x0
	v_lshrrev_b32_e32 v8, 16, v12
	v_and_b32_e32 v9, 0xffff, v12
	v_pk_fma_f16 v93, v16, v10, v93
	v_pk_fma_f16 v37, v16, v11, v37
	;; [unrolled: 1-line block ×8, first 2 shown]
	v_dual_lshrrev_b32 v10, 16, v13 :: v_dual_lshrrev_b32 v11, 16, v14
	v_lshrrev_b32_e32 v12, 16, v15
	v_mul_u32_u24_e32 v34, 0x10001, v9
	v_and_b32_e32 v9, 0xffff, v14
	v_mul_u32_u24_e32 v14, 0x10001, v8
	v_and_b32_e32 v8, 0xffff, v15
	v_pk_fma_f16 v39, v16, v36, v39
	v_pk_fma_f16 v92, v16, v94, v92
	;; [unrolled: 1-line block ×3, first 2 shown]
	v_and_b32_e32 v13, 0xffff, v13
	v_mul_u32_u24_e32 v15, 0x10001, v10
	v_mul_u32_u24_e32 v36, 0x10001, v9
	;; [unrolled: 1-line block ×4, first 2 shown]
	ds_load_b128 v[8:11], v79 offset:288
	v_pk_fma_f16 v16, v16, v97, v96
	v_mul_u32_u24_e32 v13, 0x10001, v13
	v_mul_u32_u24_e32 v96, 0x10001, v12
	v_pk_fma_f16 v38, v18, v34, v38
	v_pk_fma_f16 v39, v18, v14, v39
	;; [unrolled: 1-line block ×14, first 2 shown]
	ds_load_2addr_b64 v[12:15], v21 offset0:64 offset1:96
	v_pk_fma_f16 v23, v19, v95, v23
	v_pk_fma_f16 v35, v19, v96, v17
	ds_load_b128 v[16:19], v79 offset:304
	s_wait_dscnt 0x2
	v_dual_lshrrev_b32 v95, 16, v10 :: v_dual_lshrrev_b32 v96, 16, v11
	v_and_b32_e32 v11, 0xffff, v11
	v_dual_lshrrev_b32 v36, 16, v8 :: v_dual_lshrrev_b32 v94, 16, v9
	v_and_b32_e32 v8, 0xffff, v8
	v_and_b32_e32 v9, 0xffff, v9
	;; [unrolled: 1-line block ×3, first 2 shown]
	v_mul_u32_u24_e32 v11, 0x10001, v11
	v_mul_u32_u24_e32 v36, 0x10001, v36
	;; [unrolled: 1-line block ×8, first 2 shown]
	s_wait_dscnt 0x1
	v_pk_fma_f16 v37, v12, v11, v37
	v_pk_fma_f16 v23, v13, v11, v23
	;; [unrolled: 1-line block ×3, first 2 shown]
	s_wait_dscnt 0x0
	v_lshrrev_b32_e32 v11, 16, v16
	v_and_b32_e32 v16, 0xffff, v16
	v_pk_fma_f16 v91, v12, v9, v91
	v_pk_fma_f16 v93, v12, v10, v93
	;; [unrolled: 1-line block ×9, first 2 shown]
	v_dual_lshrrev_b32 v24, 16, v17 :: v_dual_lshrrev_b32 v33, 16, v18
	v_lshrrev_b32_e32 v34, 16, v19
	v_and_b32_e32 v17, 0xffff, v17
	v_mul_u32_u24_e32 v35, 0x10001, v16
	v_and_b32_e32 v16, 0xffff, v18
	v_and_b32_e32 v18, 0xffff, v19
	v_pk_fma_f16 v39, v12, v36, v39
	v_pk_fma_f16 v92, v12, v94, v92
	;; [unrolled: 1-line block ×3, first 2 shown]
	v_mul_u32_u24_e32 v36, 0x10001, v17
	v_mul_u32_u24_e32 v94, 0x10001, v16
	;; [unrolled: 1-line block ×3, first 2 shown]
	ds_load_b128 v[16:19], v79 offset:320
	v_pk_fma_f16 v12, v12, v96, v97
	v_mul_u32_u24_e32 v11, 0x10001, v11
	v_mul_u32_u24_e32 v24, 0x10001, v24
	;; [unrolled: 1-line block ×4, first 2 shown]
	v_pk_fma_f16 v38, v14, v35, v38
	v_pk_fma_f16 v39, v14, v11, v39
	v_pk_fma_f16 v91, v14, v36, v91
	v_pk_fma_f16 v92, v14, v24, v92
	v_pk_fma_f16 v93, v14, v94, v93
	v_pk_fma_f16 v31, v14, v33, v31
	v_pk_fma_f16 v37, v14, v95, v37
	v_pk_fma_f16 v96, v14, v34, v12
	v_pk_fma_f16 v35, v15, v35, v8
	v_pk_fma_f16 v25, v15, v11, v25
	v_pk_fma_f16 v36, v15, v36, v9
	v_pk_fma_f16 v24, v15, v24, v32
	v_pk_fma_f16 v32, v15, v94, v10
	v_pk_fma_f16 v22, v15, v33, v22
	ds_load_2addr_b64 v[8:11], v21 offset0:128 offset1:160
	v_pk_fma_f16 v23, v15, v95, v23
	v_pk_fma_f16 v33, v15, v34, v13
	ds_load_b128 v[12:15], v79 offset:336
	s_wait_dscnt 0x2
	v_dual_lshrrev_b32 v34, 16, v16 :: v_dual_lshrrev_b32 v94, 16, v17
	v_and_b32_e32 v16, 0xffff, v16
	v_dual_lshrrev_b32 v95, 16, v18 :: v_dual_lshrrev_b32 v97, 16, v19
	v_and_b32_e32 v17, 0xffff, v17
	v_and_b32_e32 v18, 0xffff, v18
	;; [unrolled: 1-line block ×3, first 2 shown]
	v_mul_u32_u24_e32 v16, 0x10001, v16
	v_mul_u32_u24_e32 v34, 0x10001, v34
	;; [unrolled: 1-line block ×8, first 2 shown]
	s_wait_dscnt 0x1
	v_pk_fma_f16 v38, v8, v16, v38
	v_pk_fma_f16 v39, v8, v34, v39
	;; [unrolled: 1-line block ×8, first 2 shown]
	s_wait_dscnt 0x0
	v_lshrrev_b32_e32 v8, 16, v12
	v_add_nc_u64_e32 v[124:125], s[2:3], v[56:57]
	v_add_nc_u64_e32 v[126:127], s[2:3], v[58:59]
	v_pk_fma_f16 v148, v9, v16, v35
	v_and_b32_e32 v12, 0xffff, v12
	v_lshrrev_b32_e32 v16, 16, v13
	v_mul_u32_u24_e32 v156, 0x10001, v8
	v_and_b32_e32 v8, 0xffff, v15
	v_add_nc_u64_e32 v[140:141], v[124:125], v[42:43]
	v_add_nc_u64_e32 v[142:143], v[126:127], v[42:43]
	v_pk_fma_f16 v150, v9, v17, v36
	v_pk_fma_f16 v152, v9, v18, v32
	v_dual_lshrrev_b32 v17, 16, v14 :: v_dual_lshrrev_b32 v18, 16, v15
	v_and_b32_e32 v13, 0xffff, v13
	v_mul_u32_u24_e32 v155, 0x10001, v12
	v_and_b32_e32 v12, 0xffff, v14
	v_mul_u32_u24_e32 v161, 0x10001, v8
	v_add_nc_u32_e32 v8, 0x1800, v80
	v_pk_fma_f16 v149, v9, v34, v25
	v_pk_fma_f16 v151, v9, v94, v24
	;; [unrolled: 1-line block ×5, first 2 shown]
	v_mul_u32_u24_e32 v157, 0x10001, v13
	v_mul_u32_u24_e32 v158, 0x10001, v16
	;; [unrolled: 1-line block ×5, first 2 shown]
	v_pk_fma_f16 v163, v10, v155, v38
	v_pk_fma_f16 v164, v10, v156, v39
	ds_load_2addr_b64 v[12:15], v21 offset0:192 offset1:224
	ds_load_b128 v[22:25], v79 offset:352
	ds_load_b128 v[32:35], v79 offset:368
	ds_load_2addr_b64 v[36:39], v8 offset1:32
	ds_load_b128 v[92:95], v79 offset:384
	ds_load_b128 v[96:99], v79 offset:400
	ds_load_2addr_b64 v[100:103], v8 offset0:64 offset1:96
	ds_load_b128 v[104:107], v79 offset:416
	ds_load_b128 v[108:111], v79 offset:432
	ds_load_2addr_b64 v[112:115], v8 offset0:128 offset1:160
	;; [unrolled: 3-line block ×3, first 2 shown]
	ds_load_b128 v[124:127], v79 offset:480
	ds_load_b128 v[128:131], v79 offset:496
	s_wait_dscnt 0x0
	s_barrier_signal -1
	s_barrier_wait -1
	s_clause 0x1
	global_load_b128 v[132:135], v[140:141], off
	global_load_b128 v[136:139], v[142:143], off
	v_pk_fma_f16 v91, v10, v157, v91
	s_wait_xcnt 0x1
	v_pk_fma_f16 v140, v10, v158, v144
	v_pk_fma_f16 v141, v10, v159, v145
	;; [unrolled: 1-line block ×3, first 2 shown]
	s_wait_xcnt 0x0
	v_pk_fma_f16 v142, v10, v161, v146
	v_pk_fma_f16 v10, v10, v162, v147
	v_pk_fma_f16 v143, v11, v155, v148
	v_pk_fma_f16 v144, v11, v156, v149
	v_pk_fma_f16 v145, v11, v157, v150
	v_pk_fma_f16 v146, v11, v158, v151
	v_pk_fma_f16 v147, v11, v159, v152
	v_pk_fma_f16 v148, v11, v160, v153
	v_pk_fma_f16 v149, v11, v161, v154
	v_pk_fma_f16 v9, v11, v162, v9
	v_dual_lshrrev_b32 v11, 16, v22 :: v_dual_lshrrev_b32 v150, 16, v23
	v_and_b32_e32 v22, 0xffff, v22
	v_dual_lshrrev_b32 v151, 16, v24 :: v_dual_lshrrev_b32 v152, 16, v25
	v_and_b32_e32 v23, 0xffff, v23
	v_and_b32_e32 v24, 0xffff, v24
	v_and_b32_e32 v25, 0xffff, v25
	v_mul_u32_u24_e32 v22, 0x10001, v22
	v_mul_u32_u24_e32 v11, 0x10001, v11
	v_mul_u32_u24_e32 v23, 0x10001, v23
	v_mul_u32_u24_e32 v150, 0x10001, v150
	v_mul_u32_u24_e32 v24, 0x10001, v24
	v_mul_u32_u24_e32 v151, 0x10001, v151
	v_mul_u32_u24_e32 v25, 0x10001, v25
	v_mul_u32_u24_e32 v152, 0x10001, v152
	v_pk_fma_f16 v153, v12, v22, v163
	v_pk_fma_f16 v154, v12, v11, v164
	v_pk_fma_f16 v91, v12, v23, v91
	v_pk_fma_f16 v140, v12, v150, v140
	v_pk_fma_f16 v141, v12, v24, v141
	v_pk_fma_f16 v31, v12, v151, v31
	v_pk_fma_f16 v142, v12, v25, v142
	v_pk_fma_f16 v10, v12, v152, v10
	v_pk_fma_f16 v12, v13, v22, v143
	v_pk_fma_f16 v11, v13, v11, v144
	v_pk_fma_f16 v22, v13, v23, v145
	v_pk_fma_f16 v23, v13, v150, v146
	v_pk_fma_f16 v24, v13, v24, v147
	v_pk_fma_f16 v143, v13, v151, v148
	v_pk_fma_f16 v25, v13, v25, v149
	v_pk_fma_f16 v9, v13, v152, v9
	v_dual_lshrrev_b32 v13, 16, v32 :: v_dual_lshrrev_b32 v144, 16, v33
	v_and_b32_e32 v32, 0xffff, v32
	v_dual_lshrrev_b32 v145, 16, v34 :: v_dual_lshrrev_b32 v146, 16, v35
	v_and_b32_e32 v33, 0xffff, v33
	v_and_b32_e32 v34, 0xffff, v34
	v_and_b32_e32 v35, 0xffff, v35
	v_mul_u32_u24_e32 v32, 0x10001, v32
	v_mul_u32_u24_e32 v13, 0x10001, v13
	v_mul_u32_u24_e32 v33, 0x10001, v33
	v_mul_u32_u24_e32 v144, 0x10001, v144
	v_mul_u32_u24_e32 v34, 0x10001, v34
	v_mul_u32_u24_e32 v145, 0x10001, v145
	v_mul_u32_u24_e32 v35, 0x10001, v35
	v_mul_u32_u24_e32 v146, 0x10001, v146
	v_pk_fma_f16 v147, v14, v32, v153
	v_pk_fma_f16 v148, v14, v13, v154
	v_pk_fma_f16 v91, v14, v33, v91
	v_pk_fma_f16 v140, v14, v144, v140
	v_pk_fma_f16 v141, v14, v34, v141
	v_pk_fma_f16 v31, v14, v145, v31
	;; [unrolled: 30-line block ×9, first 2 shown]
	v_pk_fma_f16 v94, v16, v37, v94
	v_pk_fma_f16 v16, v16, v34, v10
	;; [unrolled: 1-line block ×3, first 2 shown]
	v_lshrrev_b32_e32 v10, 16, v128
	v_and_b32_e32 v11, 0xffff, v128
	v_pk_fma_f16 v25, v17, v25, v12
	v_pk_fma_f16 v35, v17, v35, v13
	;; [unrolled: 1-line block ×4, first 2 shown]
	v_dual_lshrrev_b32 v12, 16, v129 :: v_dual_lshrrev_b32 v13, 16, v130
	v_mul_u32_u24_e32 v33, 0x10001, v11
	v_and_b32_e32 v11, 0xffff, v130
	v_mul_u32_u24_e32 v34, 0x10001, v10
	v_and_b32_e32 v10, 0xffff, v131
	v_pk_fma_f16 v14, v17, v32, v14
	v_pk_fma_f16 v15, v17, v36, v15
	;; [unrolled: 1-line block ×3, first 2 shown]
	v_lshrrev_b32_e32 v17, 16, v131
	v_mul_u32_u24_e32 v36, 0x10001, v12
	v_mul_u32_u24_e32 v37, 0x10001, v11
	;; [unrolled: 1-line block ×4, first 2 shown]
	s_wait_loadcnt 0x1
	ds_store_b128 v86, v[132:135]
	s_wait_loadcnt 0x0
	ds_store_b128 v87, v[136:139]
	s_wait_dscnt 0x0
	s_barrier_signal -1
	s_barrier_wait -1
	ds_load_b128 v[10:13], v79 offset:512
	v_and_b32_e32 v32, 0xffff, v129
	v_mul_u32_u24_e32 v17, 0x10001, v17
	v_pk_fma_f16 v97, v18, v33, v38
	v_pk_fma_f16 v98, v18, v34, v39
	;; [unrolled: 1-line block ×3, first 2 shown]
	v_mul_u32_u24_e32 v32, 0x10001, v32
	v_pk_fma_f16 v93, v18, v37, v93
	v_pk_fma_f16 v31, v18, v95, v31
	;; [unrolled: 1-line block ×13, first 2 shown]
	ds_load_2addr_b64 v[14:17], v80 offset1:32
	ds_load_b128 v[22:25], v79 offset:528
	ds_load_b128 v[32:35], v79 offset:544
	;; [unrolled: 1-line block ×3, first 2 shown]
	s_wait_dscnt 0x4
	v_dual_lshrrev_b32 v19, 16, v10 :: v_dual_lshrrev_b32 v104, 16, v11
	v_and_b32_e32 v10, 0xffff, v10
	v_dual_lshrrev_b32 v105, 16, v12 :: v_dual_lshrrev_b32 v106, 16, v13
	v_and_b32_e32 v11, 0xffff, v11
	v_and_b32_e32 v12, 0xffff, v12
	;; [unrolled: 1-line block ×3, first 2 shown]
	v_mul_u32_u24_e32 v10, 0x10001, v10
	v_mul_u32_u24_e32 v19, 0x10001, v19
	;; [unrolled: 1-line block ×8, first 2 shown]
	s_wait_dscnt 0x3
	v_pk_fma_f16 v97, v14, v10, v97
	v_pk_fma_f16 v98, v14, v19, v98
	;; [unrolled: 1-line block ×16, first 2 shown]
	s_wait_dscnt 0x2
	v_lshrrev_b32_e32 v13, 16, v22
	v_and_b32_e32 v15, 0xffff, v22
	v_dual_lshrrev_b32 v22, 16, v23 :: v_dual_lshrrev_b32 v99, 16, v24
	v_lshrrev_b32_e32 v100, 16, v25
	v_and_b32_e32 v23, 0xffff, v23
	v_and_b32_e32 v24, 0xffff, v24
	;; [unrolled: 1-line block ×3, first 2 shown]
	v_mul_u32_u24_e32 v15, 0x10001, v15
	v_mul_u32_u24_e32 v13, 0x10001, v13
	;; [unrolled: 1-line block ×8, first 2 shown]
	v_pk_fma_f16 v97, v16, v15, v97
	v_pk_fma_f16 v98, v16, v13, v98
	;; [unrolled: 1-line block ×13, first 2 shown]
	ds_load_2addr_b64 v[10:13], v80 offset0:64 offset1:96
	v_pk_fma_f16 v23, v17, v99, v95
	v_pk_fma_f16 v24, v17, v25, v96
	;; [unrolled: 1-line block ×3, first 2 shown]
	s_wait_dscnt 0x2
	v_lshrrev_b32_e32 v17, 16, v32
	v_and_b32_e32 v25, 0xffff, v32
	v_dual_lshrrev_b32 v32, 16, v33 :: v_dual_lshrrev_b32 v95, 16, v34
	v_lshrrev_b32_e32 v96, 16, v35
	v_and_b32_e32 v33, 0xffff, v33
	v_and_b32_e32 v34, 0xffff, v34
	;; [unrolled: 1-line block ×3, first 2 shown]
	v_mul_u32_u24_e32 v25, 0x10001, v25
	v_mul_u32_u24_e32 v17, 0x10001, v17
	;; [unrolled: 1-line block ×8, first 2 shown]
	s_wait_dscnt 0x0
	v_pk_fma_f16 v97, v10, v25, v97
	v_pk_fma_f16 v98, v10, v17, v98
	;; [unrolled: 1-line block ×8, first 2 shown]
	v_and_b32_e32 v14, 0xffff, v36
	v_pk_fma_f16 v25, v11, v25, v15
	v_pk_fma_f16 v99, v11, v17, v16
	;; [unrolled: 1-line block ×8, first 2 shown]
	v_dual_lshrrev_b32 v11, 16, v36 :: v_dual_lshrrev_b32 v15, 16, v37
	v_dual_lshrrev_b32 v16, 16, v38 :: v_dual_lshrrev_b32 v24, 16, v39
	v_and_b32_e32 v17, 0xffff, v37
	v_mul_u32_u24_e32 v33, 0x10001, v14
	v_and_b32_e32 v14, 0xffff, v38
	v_and_b32_e32 v34, 0xffff, v39
	v_mul_u32_u24_e32 v36, 0x10001, v15
	v_mul_u32_u24_e32 v35, 0x10001, v17
	v_mul_u32_u24_e32 v38, 0x10001, v16
	v_mul_u32_u24_e32 v37, 0x10001, v14
	ds_load_b128 v[14:17], v79 offset:576
	v_mul_u32_u24_e32 v11, 0x10001, v11
	v_mul_u32_u24_e32 v34, 0x10001, v34
	;; [unrolled: 1-line block ×3, first 2 shown]
	v_pk_fma_f16 v95, v12, v33, v97
	v_pk_fma_f16 v91, v12, v35, v91
	;; [unrolled: 1-line block ×14, first 2 shown]
	ds_load_2addr_b64 v[22:25], v80 offset0:128 offset1:160
	v_pk_fma_f16 v32, v13, v34, v32
	v_pk_fma_f16 v9, v13, v39, v9
	ds_load_b128 v[10:13], v79 offset:592
	s_wait_dscnt 0x2
	v_dual_lshrrev_b32 v38, 16, v16 :: v_dual_lshrrev_b32 v39, 16, v17
	v_and_b32_e32 v17, 0xffff, v17
	v_dual_lshrrev_b32 v34, 16, v14 :: v_dual_lshrrev_b32 v37, 16, v15
	v_and_b32_e32 v14, 0xffff, v14
	v_and_b32_e32 v15, 0xffff, v15
	;; [unrolled: 1-line block ×3, first 2 shown]
	v_mul_u32_u24_e32 v17, 0x10001, v17
	v_mul_u32_u24_e32 v34, 0x10001, v34
	;; [unrolled: 1-line block ×8, first 2 shown]
	s_wait_dscnt 0x1
	v_pk_fma_f16 v94, v22, v17, v94
	v_pk_fma_f16 v32, v23, v17, v32
	;; [unrolled: 1-line block ×3, first 2 shown]
	s_wait_dscnt 0x0
	v_lshrrev_b32_e32 v17, 16, v10
	v_and_b32_e32 v10, 0xffff, v10
	v_pk_fma_f16 v96, v22, v34, v96
	v_pk_fma_f16 v91, v22, v15, v91
	;; [unrolled: 1-line block ×10, first 2 shown]
	v_dual_lshrrev_b32 v23, 16, v11 :: v_dual_lshrrev_b32 v34, 16, v12
	v_lshrrev_b32_e32 v35, 16, v13
	v_and_b32_e32 v11, 0xffff, v11
	v_mul_u32_u24_e32 v36, 0x10001, v10
	v_and_b32_e32 v10, 0xffff, v12
	v_and_b32_e32 v12, 0xffff, v13
	v_pk_fma_f16 v92, v22, v37, v92
	v_pk_fma_f16 v31, v22, v38, v31
	;; [unrolled: 1-line block ×3, first 2 shown]
	v_mul_u32_u24_e32 v37, 0x10001, v11
	v_mul_u32_u24_e32 v38, 0x10001, v10
	;; [unrolled: 1-line block ×3, first 2 shown]
	ds_load_b128 v[10:13], v79 offset:608
	v_mul_u32_u24_e32 v17, 0x10001, v17
	v_mul_u32_u24_e32 v23, 0x10001, v23
	;; [unrolled: 1-line block ×4, first 2 shown]
	v_pk_fma_f16 v95, v24, v36, v95
	v_pk_fma_f16 v96, v24, v17, v96
	;; [unrolled: 1-line block ×14, first 2 shown]
	ds_load_2addr_b64 v[14:17], v80 offset0:192 offset1:224
	v_pk_fma_f16 v32, v25, v39, v32
	v_pk_fma_f16 v9, v25, v35, v9
	ds_load_b128 v[22:25], v79 offset:624
	s_wait_dscnt 0x2
	v_dual_lshrrev_b32 v34, 16, v10 :: v_dual_lshrrev_b32 v35, 16, v11
	v_and_b32_e32 v10, 0xffff, v10
	v_and_b32_e32 v11, 0xffff, v11
	v_dual_lshrrev_b32 v39, 16, v12 :: v_dual_lshrrev_b32 v98, 16, v13
	v_and_b32_e32 v12, 0xffff, v12
	s_delay_alu instid0(VALU_DEP_4)
	v_mul_u32_u24_e32 v10, 0x10001, v10
	v_mul_u32_u24_e32 v34, 0x10001, v34
	v_and_b32_e32 v13, 0xffff, v13
	v_mul_u32_u24_e32 v11, 0x10001, v11
	v_mul_u32_u24_e32 v35, 0x10001, v35
	v_mul_u32_u24_e32 v12, 0x10001, v12
	v_mul_u32_u24_e32 v39, 0x10001, v39
	v_mul_u32_u24_e32 v13, 0x10001, v13
	v_mul_u32_u24_e32 v98, 0x10001, v98
	s_wait_dscnt 0x1
	v_pk_fma_f16 v95, v14, v10, v95
	v_pk_fma_f16 v96, v14, v34, v96
	;; [unrolled: 1-line block ×6, first 2 shown]
	s_wait_dscnt 0x0
	v_lshrrev_b32_e32 v10, 16, v22
	v_and_b32_e32 v11, 0xffff, v22
	v_pk_fma_f16 v92, v14, v35, v92
	v_pk_fma_f16 v93, v14, v12, v93
	;; [unrolled: 1-line block ×6, first 2 shown]
	v_dual_lshrrev_b32 v12, 16, v23 :: v_dual_lshrrev_b32 v13, 16, v24
	v_and_b32_e32 v22, 0xffff, v23
	v_mul_u32_u24_e32 v23, 0x10001, v11
	v_and_b32_e32 v11, 0xffff, v24
	v_mul_u32_u24_e32 v24, 0x10001, v10
	v_and_b32_e32 v10, 0xffff, v25
	v_pk_fma_f16 v31, v14, v39, v31
	v_pk_fma_f16 v19, v15, v39, v19
	;; [unrolled: 1-line block ×3, first 2 shown]
	v_lshrrev_b32_e32 v15, 16, v25
	v_mul_u32_u24_e32 v25, 0x10001, v12
	v_mul_u32_u24_e32 v37, 0x10001, v11
	;; [unrolled: 1-line block ×4, first 2 shown]
	ds_load_b128 v[10:13], v79 offset:640
	v_pk_fma_f16 v14, v14, v98, v97
	v_mul_u32_u24_e32 v22, 0x10001, v22
	v_mul_u32_u24_e32 v15, 0x10001, v15
	v_pk_fma_f16 v95, v16, v23, v95
	v_pk_fma_f16 v96, v16, v24, v96
	;; [unrolled: 1-line block ×14, first 2 shown]
	ds_load_2addr_b64 v[22:25], v20 offset1:32
	v_pk_fma_f16 v32, v17, v39, v32
	v_pk_fma_f16 v9, v17, v15, v9
	ds_load_b128 v[14:17], v79 offset:656
	s_wait_dscnt 0x2
	v_dual_lshrrev_b32 v37, 16, v10 :: v_dual_lshrrev_b32 v38, 16, v11
	v_and_b32_e32 v10, 0xffff, v10
	v_and_b32_e32 v11, 0xffff, v11
	v_dual_lshrrev_b32 v39, 16, v12 :: v_dual_lshrrev_b32 v98, 16, v13
	v_and_b32_e32 v12, 0xffff, v12
	s_delay_alu instid0(VALU_DEP_4)
	v_mul_u32_u24_e32 v10, 0x10001, v10
	v_and_b32_e32 v13, 0xffff, v13
	v_mul_u32_u24_e32 v11, 0x10001, v11
	v_mul_u32_u24_e32 v37, 0x10001, v37
	;; [unrolled: 1-line block ×7, first 2 shown]
	s_wait_dscnt 0x1
	v_pk_fma_f16 v95, v22, v10, v95
	v_pk_fma_f16 v91, v22, v11, v91
	;; [unrolled: 1-line block ×4, first 2 shown]
	s_wait_dscnt 0x0
	v_lshrrev_b32_e32 v10, 16, v14
	v_and_b32_e32 v11, 0xffff, v14
	v_pk_fma_f16 v93, v22, v12, v93
	v_pk_fma_f16 v94, v22, v13, v94
	;; [unrolled: 1-line block ×8, first 2 shown]
	v_dual_lshrrev_b32 v12, 16, v15 :: v_dual_lshrrev_b32 v13, 16, v16
	v_lshrrev_b32_e32 v14, 16, v17
	v_mul_u32_u24_e32 v23, 0x10001, v11
	v_and_b32_e32 v11, 0xffff, v16
	v_mul_u32_u24_e32 v16, 0x10001, v10
	v_and_b32_e32 v10, 0xffff, v17
	v_pk_fma_f16 v96, v22, v37, v96
	v_pk_fma_f16 v92, v22, v38, v92
	;; [unrolled: 1-line block ×3, first 2 shown]
	v_and_b32_e32 v15, 0xffff, v15
	v_mul_u32_u24_e32 v17, 0x10001, v12
	v_mul_u32_u24_e32 v37, 0x10001, v11
	;; [unrolled: 1-line block ×4, first 2 shown]
	ds_load_b128 v[10:13], v79 offset:672
	v_pk_fma_f16 v22, v22, v98, v97
	v_mul_u32_u24_e32 v15, 0x10001, v15
	v_mul_u32_u24_e32 v97, 0x10001, v14
	v_pk_fma_f16 v95, v24, v23, v95
	v_pk_fma_f16 v96, v24, v16, v96
	v_pk_fma_f16 v92, v24, v17, v92
	v_pk_fma_f16 v91, v24, v15, v91
	v_pk_fma_f16 v93, v24, v37, v93
	v_pk_fma_f16 v31, v24, v38, v31
	v_pk_fma_f16 v94, v24, v39, v94
	v_pk_fma_f16 v98, v24, v97, v22
	v_pk_fma_f16 v36, v25, v23, v36
	v_pk_fma_f16 v33, v25, v16, v33
	v_pk_fma_f16 v34, v25, v15, v34
	v_pk_fma_f16 v18, v25, v17, v18
	v_pk_fma_f16 v35, v25, v37, v35
	v_pk_fma_f16 v19, v25, v38, v19
	ds_load_2addr_b64 v[14:17], v20 offset0:64 offset1:96
	v_pk_fma_f16 v32, v25, v39, v32
	v_pk_fma_f16 v9, v25, v97, v9
	ds_load_b128 v[22:25], v79 offset:688
	s_wait_dscnt 0x2
	v_dual_lshrrev_b32 v37, 16, v10 :: v_dual_lshrrev_b32 v38, 16, v11
	v_and_b32_e32 v10, 0xffff, v10
	v_and_b32_e32 v11, 0xffff, v11
	v_dual_lshrrev_b32 v39, 16, v12 :: v_dual_lshrrev_b32 v97, 16, v13
	v_and_b32_e32 v12, 0xffff, v12
	s_delay_alu instid0(VALU_DEP_4)
	v_mul_u32_u24_e32 v10, 0x10001, v10
	v_and_b32_e32 v13, 0xffff, v13
	v_mul_u32_u24_e32 v11, 0x10001, v11
	v_mul_u32_u24_e32 v37, 0x10001, v37
	;; [unrolled: 1-line block ×7, first 2 shown]
	s_wait_dscnt 0x1
	v_pk_fma_f16 v95, v14, v10, v95
	v_pk_fma_f16 v91, v14, v11, v91
	v_pk_fma_f16 v36, v15, v10, v36
	v_pk_fma_f16 v34, v15, v11, v34
	s_wait_dscnt 0x0
	v_lshrrev_b32_e32 v10, 16, v22
	v_and_b32_e32 v11, 0xffff, v22
	v_pk_fma_f16 v93, v14, v12, v93
	v_pk_fma_f16 v94, v14, v13, v94
	;; [unrolled: 1-line block ×4, first 2 shown]
	v_dual_lshrrev_b32 v12, 16, v23 :: v_dual_lshrrev_b32 v13, 16, v24
	v_and_b32_e32 v22, 0xffff, v23
	v_mul_u32_u24_e32 v23, 0x10001, v11
	v_and_b32_e32 v11, 0xffff, v24
	v_mul_u32_u24_e32 v24, 0x10001, v10
	v_and_b32_e32 v10, 0xffff, v25
	v_pk_fma_f16 v96, v14, v37, v96
	v_pk_fma_f16 v92, v14, v38, v92
	;; [unrolled: 1-line block ×7, first 2 shown]
	v_lshrrev_b32_e32 v15, 16, v25
	v_mul_u32_u24_e32 v25, 0x10001, v12
	v_mul_u32_u24_e32 v37, 0x10001, v11
	;; [unrolled: 1-line block ×4, first 2 shown]
	ds_load_b128 v[10:13], v79 offset:704
	v_pk_fma_f16 v14, v14, v97, v98
	v_mul_u32_u24_e32 v22, 0x10001, v22
	v_mul_u32_u24_e32 v15, 0x10001, v15
	v_pk_fma_f16 v95, v16, v23, v95
	v_pk_fma_f16 v96, v16, v24, v96
	;; [unrolled: 1-line block ×14, first 2 shown]
	ds_load_2addr_b64 v[22:25], v20 offset0:128 offset1:160
	v_pk_fma_f16 v32, v17, v39, v32
	v_pk_fma_f16 v9, v17, v15, v9
	ds_load_b128 v[14:17], v79 offset:720
	s_wait_dscnt 0x2
	v_dual_lshrrev_b32 v37, 16, v10 :: v_dual_lshrrev_b32 v38, 16, v11
	v_and_b32_e32 v10, 0xffff, v10
	v_and_b32_e32 v11, 0xffff, v11
	v_dual_lshrrev_b32 v39, 16, v12 :: v_dual_lshrrev_b32 v98, 16, v13
	v_and_b32_e32 v12, 0xffff, v12
	s_delay_alu instid0(VALU_DEP_4)
	v_mul_u32_u24_e32 v10, 0x10001, v10
	v_and_b32_e32 v13, 0xffff, v13
	v_mul_u32_u24_e32 v11, 0x10001, v11
	v_mul_u32_u24_e32 v37, 0x10001, v37
	;; [unrolled: 1-line block ×7, first 2 shown]
	s_wait_dscnt 0x1
	v_pk_fma_f16 v95, v22, v10, v95
	v_pk_fma_f16 v91, v22, v11, v91
	;; [unrolled: 1-line block ×4, first 2 shown]
	s_wait_dscnt 0x0
	v_lshrrev_b32_e32 v10, 16, v14
	v_and_b32_e32 v11, 0xffff, v14
	v_pk_fma_f16 v93, v22, v12, v93
	v_pk_fma_f16 v94, v22, v13, v94
	;; [unrolled: 1-line block ×8, first 2 shown]
	v_dual_lshrrev_b32 v12, 16, v15 :: v_dual_lshrrev_b32 v13, 16, v16
	v_lshrrev_b32_e32 v14, 16, v17
	v_mul_u32_u24_e32 v23, 0x10001, v11
	v_and_b32_e32 v11, 0xffff, v16
	v_mul_u32_u24_e32 v16, 0x10001, v10
	v_and_b32_e32 v10, 0xffff, v17
	v_pk_fma_f16 v96, v22, v37, v96
	v_pk_fma_f16 v92, v22, v38, v92
	;; [unrolled: 1-line block ×3, first 2 shown]
	v_and_b32_e32 v15, 0xffff, v15
	v_mul_u32_u24_e32 v17, 0x10001, v12
	v_mul_u32_u24_e32 v37, 0x10001, v11
	;; [unrolled: 1-line block ×4, first 2 shown]
	ds_load_b128 v[10:13], v79 offset:736
	v_pk_fma_f16 v22, v22, v98, v97
	v_mul_u32_u24_e32 v15, 0x10001, v15
	v_mul_u32_u24_e32 v97, 0x10001, v14
	v_pk_fma_f16 v95, v24, v23, v95
	v_pk_fma_f16 v96, v24, v16, v96
	;; [unrolled: 1-line block ×14, first 2 shown]
	ds_load_2addr_b64 v[14:17], v20 offset0:192 offset1:224
	v_pk_fma_f16 v20, v25, v39, v32
	v_pk_fma_f16 v9, v25, v97, v9
	ds_load_b128 v[22:25], v79 offset:752
	s_wait_dscnt 0x2
	v_dual_lshrrev_b32 v32, 16, v10 :: v_dual_lshrrev_b32 v37, 16, v11
	v_and_b32_e32 v10, 0xffff, v10
	v_and_b32_e32 v11, 0xffff, v11
	v_dual_lshrrev_b32 v38, 16, v12 :: v_dual_lshrrev_b32 v39, 16, v13
	v_and_b32_e32 v12, 0xffff, v12
	s_delay_alu instid0(VALU_DEP_4)
	v_mul_u32_u24_e32 v10, 0x10001, v10
	v_mul_u32_u24_e32 v32, 0x10001, v32
	v_and_b32_e32 v13, 0xffff, v13
	v_mul_u32_u24_e32 v11, 0x10001, v11
	v_mul_u32_u24_e32 v12, 0x10001, v12
	;; [unrolled: 1-line block ×6, first 2 shown]
	s_wait_dscnt 0x1
	v_pk_fma_f16 v95, v14, v10, v95
	v_pk_fma_f16 v96, v14, v32, v96
	;; [unrolled: 1-line block ×6, first 2 shown]
	s_wait_dscnt 0x0
	v_lshrrev_b32_e32 v10, 16, v22
	v_and_b32_e32 v11, 0xffff, v22
	v_pk_fma_f16 v93, v14, v12, v93
	v_pk_fma_f16 v94, v14, v13, v94
	;; [unrolled: 1-line block ×4, first 2 shown]
	v_dual_lshrrev_b32 v12, 16, v23 :: v_dual_lshrrev_b32 v13, 16, v24
	v_and_b32_e32 v22, 0xffff, v23
	v_mul_u32_u24_e32 v23, 0x10001, v11
	v_and_b32_e32 v11, 0xffff, v24
	v_mul_u32_u24_e32 v24, 0x10001, v10
	v_and_b32_e32 v10, 0xffff, v25
	v_pk_fma_f16 v92, v14, v37, v92
	v_pk_fma_f16 v31, v14, v38, v31
	;; [unrolled: 1-line block ×5, first 2 shown]
	v_lshrrev_b32_e32 v15, 16, v25
	v_mul_u32_u24_e32 v25, 0x10001, v12
	v_mul_u32_u24_e32 v35, 0x10001, v11
	;; [unrolled: 1-line block ×4, first 2 shown]
	ds_load_b128 v[10:13], v79 offset:768
	v_pk_fma_f16 v14, v14, v39, v98
	v_mul_u32_u24_e32 v22, 0x10001, v22
	v_mul_u32_u24_e32 v15, 0x10001, v15
	v_pk_fma_f16 v39, v16, v23, v95
	v_pk_fma_f16 v95, v16, v24, v96
	;; [unrolled: 1-line block ×14, first 2 shown]
	ds_load_2addr_b64 v[22:25], v21 offset1:32
	v_pk_fma_f16 v20, v17, v38, v20
	v_pk_fma_f16 v9, v17, v15, v9
	ds_load_b128 v[14:17], v79 offset:784
	s_wait_dscnt 0x2
	v_dual_lshrrev_b32 v35, 16, v10 :: v_dual_lshrrev_b32 v37, 16, v11
	v_and_b32_e32 v10, 0xffff, v10
	v_and_b32_e32 v11, 0xffff, v11
	v_dual_lshrrev_b32 v38, 16, v12 :: v_dual_lshrrev_b32 v97, 16, v13
	v_and_b32_e32 v12, 0xffff, v12
	s_delay_alu instid0(VALU_DEP_4)
	v_mul_u32_u24_e32 v10, 0x10001, v10
	v_and_b32_e32 v13, 0xffff, v13
	v_mul_u32_u24_e32 v11, 0x10001, v11
	v_mul_u32_u24_e32 v35, 0x10001, v35
	;; [unrolled: 1-line block ×7, first 2 shown]
	s_wait_dscnt 0x1
	v_pk_fma_f16 v39, v22, v10, v39
	v_pk_fma_f16 v91, v22, v11, v91
	;; [unrolled: 1-line block ×4, first 2 shown]
	s_wait_dscnt 0x0
	v_lshrrev_b32_e32 v10, 16, v14
	v_and_b32_e32 v11, 0xffff, v14
	v_pk_fma_f16 v93, v22, v12, v93
	v_pk_fma_f16 v94, v22, v13, v94
	;; [unrolled: 1-line block ×8, first 2 shown]
	v_dual_lshrrev_b32 v12, 16, v15 :: v_dual_lshrrev_b32 v13, 16, v16
	v_lshrrev_b32_e32 v14, 16, v17
	v_mul_u32_u24_e32 v23, 0x10001, v11
	v_and_b32_e32 v11, 0xffff, v16
	v_mul_u32_u24_e32 v16, 0x10001, v10
	v_and_b32_e32 v10, 0xffff, v17
	v_pk_fma_f16 v95, v22, v35, v95
	v_pk_fma_f16 v92, v22, v37, v92
	;; [unrolled: 1-line block ×3, first 2 shown]
	v_and_b32_e32 v15, 0xffff, v15
	v_mul_u32_u24_e32 v17, 0x10001, v12
	v_mul_u32_u24_e32 v35, 0x10001, v11
	;; [unrolled: 1-line block ×4, first 2 shown]
	ds_load_b128 v[10:13], v79 offset:800
	v_pk_fma_f16 v22, v22, v97, v96
	v_mul_u32_u24_e32 v15, 0x10001, v15
	v_mul_u32_u24_e32 v96, 0x10001, v14
	v_pk_fma_f16 v39, v24, v23, v39
	v_pk_fma_f16 v95, v24, v16, v95
	;; [unrolled: 1-line block ×14, first 2 shown]
	ds_load_2addr_b64 v[14:17], v21 offset0:64 offset1:96
	v_pk_fma_f16 v20, v25, v38, v20
	v_pk_fma_f16 v9, v25, v96, v9
	ds_load_b128 v[22:25], v79 offset:816
	s_wait_dscnt 0x2
	v_dual_lshrrev_b32 v35, 16, v10 :: v_dual_lshrrev_b32 v37, 16, v11
	v_and_b32_e32 v10, 0xffff, v10
	v_and_b32_e32 v11, 0xffff, v11
	v_dual_lshrrev_b32 v38, 16, v12 :: v_dual_lshrrev_b32 v96, 16, v13
	v_and_b32_e32 v12, 0xffff, v12
	s_delay_alu instid0(VALU_DEP_4)
	v_mul_u32_u24_e32 v10, 0x10001, v10
	v_and_b32_e32 v13, 0xffff, v13
	v_mul_u32_u24_e32 v11, 0x10001, v11
	v_mul_u32_u24_e32 v35, 0x10001, v35
	;; [unrolled: 1-line block ×7, first 2 shown]
	s_wait_dscnt 0x1
	v_pk_fma_f16 v39, v14, v10, v39
	v_pk_fma_f16 v91, v14, v11, v91
	;; [unrolled: 1-line block ×4, first 2 shown]
	s_wait_dscnt 0x0
	v_lshrrev_b32_e32 v10, 16, v22
	v_and_b32_e32 v11, 0xffff, v22
	v_pk_fma_f16 v93, v14, v12, v93
	v_pk_fma_f16 v94, v14, v13, v94
	;; [unrolled: 1-line block ×4, first 2 shown]
	v_dual_lshrrev_b32 v12, 16, v23 :: v_dual_lshrrev_b32 v13, 16, v24
	v_and_b32_e32 v22, 0xffff, v23
	v_mul_u32_u24_e32 v23, 0x10001, v11
	v_and_b32_e32 v11, 0xffff, v24
	v_mul_u32_u24_e32 v24, 0x10001, v10
	v_and_b32_e32 v10, 0xffff, v25
	v_pk_fma_f16 v95, v14, v35, v95
	v_pk_fma_f16 v92, v14, v37, v92
	;; [unrolled: 1-line block ×7, first 2 shown]
	v_lshrrev_b32_e32 v15, 16, v25
	v_mul_u32_u24_e32 v25, 0x10001, v12
	v_mul_u32_u24_e32 v35, 0x10001, v11
	;; [unrolled: 1-line block ×4, first 2 shown]
	ds_load_b128 v[10:13], v79 offset:832
	v_pk_fma_f16 v14, v14, v96, v97
	v_mul_u32_u24_e32 v22, 0x10001, v22
	v_mul_u32_u24_e32 v15, 0x10001, v15
	v_pk_fma_f16 v39, v16, v23, v39
	v_pk_fma_f16 v95, v16, v24, v95
	;; [unrolled: 1-line block ×14, first 2 shown]
	ds_load_2addr_b64 v[22:25], v21 offset0:128 offset1:160
	v_pk_fma_f16 v20, v17, v38, v20
	v_pk_fma_f16 v9, v17, v15, v9
	ds_load_b128 v[14:17], v79 offset:848
	s_wait_dscnt 0x2
	v_dual_lshrrev_b32 v35, 16, v10 :: v_dual_lshrrev_b32 v37, 16, v11
	v_and_b32_e32 v10, 0xffff, v10
	v_and_b32_e32 v11, 0xffff, v11
	v_dual_lshrrev_b32 v38, 16, v12 :: v_dual_lshrrev_b32 v97, 16, v13
	v_and_b32_e32 v12, 0xffff, v12
	s_delay_alu instid0(VALU_DEP_4)
	v_mul_u32_u24_e32 v10, 0x10001, v10
	v_and_b32_e32 v13, 0xffff, v13
	v_mul_u32_u24_e32 v11, 0x10001, v11
	v_mul_u32_u24_e32 v35, 0x10001, v35
	;; [unrolled: 1-line block ×7, first 2 shown]
	s_wait_dscnt 0x1
	v_pk_fma_f16 v39, v22, v10, v39
	v_pk_fma_f16 v91, v22, v11, v91
	;; [unrolled: 1-line block ×4, first 2 shown]
	s_wait_dscnt 0x0
	v_lshrrev_b32_e32 v10, 16, v14
	v_and_b32_e32 v11, 0xffff, v14
	v_pk_fma_f16 v93, v22, v12, v93
	v_pk_fma_f16 v94, v22, v13, v94
	;; [unrolled: 1-line block ×8, first 2 shown]
	v_dual_lshrrev_b32 v12, 16, v15 :: v_dual_lshrrev_b32 v13, 16, v16
	v_lshrrev_b32_e32 v14, 16, v17
	v_mul_u32_u24_e32 v23, 0x10001, v11
	v_and_b32_e32 v11, 0xffff, v16
	v_mul_u32_u24_e32 v16, 0x10001, v10
	v_and_b32_e32 v10, 0xffff, v17
	v_pk_fma_f16 v95, v22, v35, v95
	v_pk_fma_f16 v92, v22, v37, v92
	;; [unrolled: 1-line block ×3, first 2 shown]
	v_and_b32_e32 v15, 0xffff, v15
	v_mul_u32_u24_e32 v17, 0x10001, v12
	v_mul_u32_u24_e32 v35, 0x10001, v11
	;; [unrolled: 1-line block ×4, first 2 shown]
	ds_load_b128 v[10:13], v79 offset:864
	v_pk_fma_f16 v22, v22, v97, v96
	v_mul_u32_u24_e32 v15, 0x10001, v15
	v_mul_u32_u24_e32 v96, 0x10001, v14
	v_pk_fma_f16 v39, v24, v23, v39
	v_pk_fma_f16 v95, v24, v16, v95
	;; [unrolled: 1-line block ×14, first 2 shown]
	ds_load_2addr_b64 v[14:17], v21 offset0:192 offset1:224
	v_pk_fma_f16 v36, v25, v38, v20
	ds_load_b128 v[18:21], v79 offset:880
	v_pk_fma_f16 v9, v25, v96, v9
	s_wait_dscnt 0x2
	v_dual_lshrrev_b32 v25, 16, v10 :: v_dual_lshrrev_b32 v37, 16, v11
	v_and_b32_e32 v10, 0xffff, v10
	v_dual_lshrrev_b32 v38, 16, v12 :: v_dual_lshrrev_b32 v96, 16, v13
	v_and_b32_e32 v11, 0xffff, v11
	v_and_b32_e32 v12, 0xffff, v12
	;; [unrolled: 1-line block ×3, first 2 shown]
	v_mul_u32_u24_e32 v10, 0x10001, v10
	v_mul_u32_u24_e32 v25, 0x10001, v25
	;; [unrolled: 1-line block ×8, first 2 shown]
	s_wait_dscnt 0x1
	v_pk_fma_f16 v39, v14, v10, v39
	v_pk_fma_f16 v95, v14, v25, v95
	v_pk_fma_f16 v91, v14, v11, v91
	v_pk_fma_f16 v92, v14, v37, v92
	v_pk_fma_f16 v93, v14, v12, v93
	v_pk_fma_f16 v31, v14, v38, v31
	v_pk_fma_f16 v94, v14, v13, v94
	v_pk_fma_f16 v14, v14, v96, v22
	v_pk_fma_f16 v22, v15, v10, v23
	v_pk_fma_f16 v23, v15, v25, v24
	v_pk_fma_f16 v24, v15, v11, v32
	s_wait_dscnt 0x0
	v_lshrrev_b32_e32 v10, 16, v18
	v_and_b32_e32 v11, 0xffff, v18
	v_pk_fma_f16 v32, v15, v12, v34
	v_pk_fma_f16 v34, v15, v13, v36
	v_dual_lshrrev_b32 v12, 16, v19 :: v_dual_lshrrev_b32 v13, 16, v20
	v_and_b32_e32 v18, 0xffff, v19
	v_mul_u32_u24_e32 v19, 0x10001, v11
	v_and_b32_e32 v11, 0xffff, v20
	v_mul_u32_u24_e32 v20, 0x10001, v10
	v_and_b32_e32 v10, 0xffff, v21
	v_pk_fma_f16 v25, v15, v37, v33
	v_pk_fma_f16 v33, v15, v38, v35
	;; [unrolled: 1-line block ×3, first 2 shown]
	v_lshrrev_b32_e32 v15, 16, v21
	v_mul_u32_u24_e32 v21, 0x10001, v12
	v_mul_u32_u24_e32 v35, 0x10001, v11
	;; [unrolled: 1-line block ×4, first 2 shown]
	ds_load_b128 v[10:13], v79 offset:896
	v_mul_u32_u24_e32 v18, 0x10001, v18
	v_mul_u32_u24_e32 v15, 0x10001, v15
	v_pk_fma_f16 v38, v16, v19, v39
	v_pk_fma_f16 v39, v16, v20, v95
	;; [unrolled: 1-line block ×14, first 2 shown]
	ds_load_2addr_b64 v[18:21], v8 offset1:32
	v_pk_fma_f16 v34, v17, v37, v34
	v_pk_fma_f16 v9, v17, v15, v9
	ds_load_b128 v[14:17], v79 offset:912
	s_wait_dscnt 0x2
	v_dual_lshrrev_b32 v35, 16, v10 :: v_dual_lshrrev_b32 v36, 16, v11
	v_and_b32_e32 v10, 0xffff, v10
	v_and_b32_e32 v11, 0xffff, v11
	v_dual_lshrrev_b32 v37, 16, v12 :: v_dual_lshrrev_b32 v96, 16, v13
	v_and_b32_e32 v12, 0xffff, v12
	s_delay_alu instid0(VALU_DEP_4)
	v_mul_u32_u24_e32 v10, 0x10001, v10
	v_and_b32_e32 v13, 0xffff, v13
	v_mul_u32_u24_e32 v11, 0x10001, v11
	v_mul_u32_u24_e32 v35, 0x10001, v35
	;; [unrolled: 1-line block ×7, first 2 shown]
	s_wait_dscnt 0x1
	v_pk_fma_f16 v38, v18, v10, v38
	v_pk_fma_f16 v91, v18, v11, v91
	;; [unrolled: 1-line block ×4, first 2 shown]
	s_wait_dscnt 0x0
	v_lshrrev_b32_e32 v10, 16, v14
	v_and_b32_e32 v11, 0xffff, v14
	v_pk_fma_f16 v93, v18, v12, v93
	v_pk_fma_f16 v94, v18, v13, v94
	;; [unrolled: 1-line block ×8, first 2 shown]
	v_dual_lshrrev_b32 v12, 16, v15 :: v_dual_lshrrev_b32 v13, 16, v16
	v_lshrrev_b32_e32 v14, 16, v17
	v_mul_u32_u24_e32 v19, 0x10001, v11
	v_and_b32_e32 v11, 0xffff, v16
	v_mul_u32_u24_e32 v16, 0x10001, v10
	v_and_b32_e32 v10, 0xffff, v17
	v_pk_fma_f16 v39, v18, v35, v39
	v_pk_fma_f16 v92, v18, v36, v92
	;; [unrolled: 1-line block ×3, first 2 shown]
	v_and_b32_e32 v15, 0xffff, v15
	v_mul_u32_u24_e32 v17, 0x10001, v12
	v_mul_u32_u24_e32 v35, 0x10001, v11
	;; [unrolled: 1-line block ×4, first 2 shown]
	ds_load_b128 v[10:13], v79 offset:928
	v_pk_fma_f16 v18, v18, v96, v95
	v_mul_u32_u24_e32 v15, 0x10001, v15
	v_mul_u32_u24_e32 v95, 0x10001, v14
	v_pk_fma_f16 v38, v20, v19, v38
	v_pk_fma_f16 v39, v20, v16, v39
	;; [unrolled: 1-line block ×14, first 2 shown]
	ds_load_2addr_b64 v[14:17], v8 offset0:64 offset1:96
	v_pk_fma_f16 v34, v21, v37, v34
	v_pk_fma_f16 v9, v21, v95, v9
	ds_load_b128 v[18:21], v79 offset:944
	s_wait_dscnt 0x2
	v_dual_lshrrev_b32 v35, 16, v10 :: v_dual_lshrrev_b32 v36, 16, v11
	v_and_b32_e32 v10, 0xffff, v10
	v_and_b32_e32 v11, 0xffff, v11
	v_dual_lshrrev_b32 v37, 16, v12 :: v_dual_lshrrev_b32 v95, 16, v13
	v_and_b32_e32 v12, 0xffff, v12
	s_delay_alu instid0(VALU_DEP_4)
	v_mul_u32_u24_e32 v10, 0x10001, v10
	v_and_b32_e32 v13, 0xffff, v13
	v_mul_u32_u24_e32 v11, 0x10001, v11
	v_mul_u32_u24_e32 v35, 0x10001, v35
	;; [unrolled: 1-line block ×7, first 2 shown]
	s_wait_dscnt 0x1
	v_pk_fma_f16 v38, v14, v10, v38
	v_pk_fma_f16 v91, v14, v11, v91
	v_pk_fma_f16 v22, v15, v10, v22
	v_pk_fma_f16 v24, v15, v11, v24
	s_wait_dscnt 0x0
	v_lshrrev_b32_e32 v10, 16, v18
	v_and_b32_e32 v11, 0xffff, v18
	v_pk_fma_f16 v93, v14, v12, v93
	v_pk_fma_f16 v94, v14, v13, v94
	;; [unrolled: 1-line block ×4, first 2 shown]
	v_dual_lshrrev_b32 v12, 16, v19 :: v_dual_lshrrev_b32 v13, 16, v20
	v_and_b32_e32 v18, 0xffff, v19
	v_mul_u32_u24_e32 v19, 0x10001, v11
	v_and_b32_e32 v11, 0xffff, v20
	v_mul_u32_u24_e32 v20, 0x10001, v10
	v_and_b32_e32 v10, 0xffff, v21
	v_pk_fma_f16 v39, v14, v35, v39
	v_pk_fma_f16 v92, v14, v36, v92
	;; [unrolled: 1-line block ×7, first 2 shown]
	v_lshrrev_b32_e32 v15, 16, v21
	v_mul_u32_u24_e32 v21, 0x10001, v12
	v_mul_u32_u24_e32 v35, 0x10001, v11
	;; [unrolled: 1-line block ×4, first 2 shown]
	ds_load_b128 v[10:13], v79 offset:960
	v_pk_fma_f16 v14, v14, v95, v96
	v_mul_u32_u24_e32 v18, 0x10001, v18
	v_mul_u32_u24_e32 v15, 0x10001, v15
	v_pk_fma_f16 v38, v16, v19, v38
	v_pk_fma_f16 v39, v16, v20, v39
	;; [unrolled: 1-line block ×14, first 2 shown]
	ds_load_2addr_b64 v[18:21], v8 offset0:128 offset1:160
	v_pk_fma_f16 v34, v17, v37, v34
	v_pk_fma_f16 v9, v17, v15, v9
	ds_load_b128 v[14:17], v79 offset:976
	s_wait_dscnt 0x2
	v_dual_lshrrev_b32 v35, 16, v10 :: v_dual_lshrrev_b32 v36, 16, v11
	v_and_b32_e32 v10, 0xffff, v10
	v_and_b32_e32 v11, 0xffff, v11
	v_dual_lshrrev_b32 v37, 16, v12 :: v_dual_lshrrev_b32 v96, 16, v13
	v_and_b32_e32 v12, 0xffff, v12
	s_delay_alu instid0(VALU_DEP_4)
	v_mul_u32_u24_e32 v10, 0x10001, v10
	v_and_b32_e32 v13, 0xffff, v13
	v_mul_u32_u24_e32 v11, 0x10001, v11
	v_mul_u32_u24_e32 v35, 0x10001, v35
	;; [unrolled: 1-line block ×7, first 2 shown]
	s_wait_dscnt 0x1
	v_pk_fma_f16 v38, v18, v10, v38
	v_pk_fma_f16 v91, v18, v11, v91
	;; [unrolled: 1-line block ×4, first 2 shown]
	s_wait_dscnt 0x0
	v_lshrrev_b32_e32 v10, 16, v14
	v_and_b32_e32 v11, 0xffff, v14
	v_pk_fma_f16 v93, v18, v12, v93
	v_pk_fma_f16 v94, v18, v13, v94
	;; [unrolled: 1-line block ×8, first 2 shown]
	v_dual_lshrrev_b32 v12, 16, v15 :: v_dual_lshrrev_b32 v13, 16, v16
	v_lshrrev_b32_e32 v14, 16, v17
	v_mul_u32_u24_e32 v19, 0x10001, v11
	v_and_b32_e32 v11, 0xffff, v16
	v_mul_u32_u24_e32 v16, 0x10001, v10
	v_and_b32_e32 v10, 0xffff, v17
	v_pk_fma_f16 v39, v18, v35, v39
	v_pk_fma_f16 v92, v18, v36, v92
	;; [unrolled: 1-line block ×3, first 2 shown]
	v_and_b32_e32 v15, 0xffff, v15
	v_mul_u32_u24_e32 v17, 0x10001, v12
	v_mul_u32_u24_e32 v35, 0x10001, v11
	;; [unrolled: 1-line block ×4, first 2 shown]
	ds_load_b128 v[10:13], v79 offset:992
	v_pk_fma_f16 v18, v18, v96, v95
	v_mul_u32_u24_e32 v15, 0x10001, v15
	v_mul_u32_u24_e32 v95, 0x10001, v14
	v_pk_fma_f16 v38, v20, v19, v38
	v_pk_fma_f16 v39, v20, v16, v39
	;; [unrolled: 1-line block ×14, first 2 shown]
	ds_load_2addr_b64 v[14:17], v8 offset0:192 offset1:224
	v_pk_fma_f16 v8, v21, v37, v34
	v_pk_fma_f16 v9, v21, v95, v9
	ds_load_b128 v[18:21], v79 offset:1008
	s_wait_dscnt 0x0
	s_barrier_signal -1
	s_barrier_wait -1
	s_load_b32 s2, s[38:39], 0x4
	v_dual_lshrrev_b32 v34, 16, v10 :: v_dual_lshrrev_b32 v35, 16, v11
	v_and_b32_e32 v10, 0xffff, v10
	v_dual_lshrrev_b32 v36, 16, v12 :: v_dual_lshrrev_b32 v37, 16, v13
	v_and_b32_e32 v11, 0xffff, v11
	v_and_b32_e32 v12, 0xffff, v12
	;; [unrolled: 1-line block ×3, first 2 shown]
	v_mul_u32_u24_e32 v10, 0x10001, v10
	v_mul_u32_u24_e32 v34, 0x10001, v34
	;; [unrolled: 1-line block ×8, first 2 shown]
	v_pk_fma_f16 v38, v14, v10, v38
	v_pk_fma_f16 v91, v14, v11, v91
	v_pk_fma_f16 v93, v14, v12, v93
	v_pk_fma_f16 v94, v14, v13, v94
	v_pk_fma_f16 v10, v15, v10, v22
	v_pk_fma_f16 v22, v15, v34, v23
	v_pk_fma_f16 v11, v15, v11, v24
	v_pk_fma_f16 v23, v15, v35, v25
	v_pk_fma_f16 v12, v15, v12, v32
	v_pk_fma_f16 v24, v15, v36, v33
	v_pk_fma_f16 v8, v15, v13, v8
	v_pk_fma_f16 v9, v15, v37, v9
	v_lshrrev_b32_e32 v13, 16, v18
	v_and_b32_e32 v15, 0xffff, v18
	v_lshrrev_b32_e32 v18, 16, v19
	v_and_b32_e32 v19, 0xffff, v19
	v_dual_lshrrev_b32 v25, 16, v20 :: v_dual_lshrrev_b32 v32, 16, v21
	v_and_b32_e32 v20, 0xffff, v20
	v_and_b32_e32 v21, 0xffff, v21
	v_pk_fma_f16 v39, v14, v34, v39
	v_pk_fma_f16 v92, v14, v35, v92
	;; [unrolled: 1-line block ×4, first 2 shown]
	v_mul_u32_u24_e32 v15, 0x10001, v15
	v_mul_u32_u24_e32 v13, 0x10001, v13
	;; [unrolled: 1-line block ×8, first 2 shown]
	s_wait_kmcnt 0x0
	s_lshl_b32 s2, s2, 6
	v_pk_fma_f16 v105, v16, v15, v38
	v_pk_fma_f16 v104, v16, v13, v39
	;; [unrolled: 1-line block ×16, first 2 shown]
	s_add_co_i32 s14, s2, s14
	s_delay_alu instid0(SALU_CYCLE_1)
	s_cmp_ge_i32 s14, s34
	s_cbranch_scc1 .LBB80_75
; %bb.74:                               ;   in Loop: Header=BB80_9 Depth=1
	v_dual_mov_b32 v112, v0 :: v_dual_mov_b32 v114, v1
	v_dual_mov_b32 v113, v2 :: v_dual_mov_b32 v111, v3
	;; [unrolled: 1-line block ×4, first 2 shown]
	s_branch .LBB80_9
.LBB80_75:
	v_mov_b32_e32 v8, v78
.LBB80_76:
	v_cmp_lt_i32_e32 vcc_lo, v30, v77
	s_cmp_lg_u64 s[12:13], 0
	s_cselect_b32 s2, -1, 0
	s_cmp_eq_u32 s33, 0
	v_cndmask_b32_e32 v9, v8, v30, vcc_lo
	v_cmp_lt_i32_e32 vcc_lo, v29, v77
	s_cselect_b32 s3, -1, 0
	s_delay_alu instid0(SALU_CYCLE_1) | instskip(NEXT) | instid1(VALU_DEP_2)
	s_and_b32 s2, s3, s2
	v_lshlrev_b32_e32 v9, 2, v9
	ds_bpermute_b32 v10, v9, v40
	ds_bpermute_b32 v11, v9, v41
	;; [unrolled: 1-line block ×8, first 2 shown]
	v_cndmask_b32_e32 v9, v8, v29, vcc_lo
	v_cmp_lt_i32_e32 vcc_lo, v28, v77
	s_delay_alu instid0(VALU_DEP_2)
	v_lshlrev_b32_e32 v9, 2, v9
	s_wait_dscnt 0x6
	v_pk_add_f32 v[10:11], v[40:41], v[10:11]
	s_wait_dscnt 0x4
	v_pk_add_f32 v[12:13], v[48:49], v[12:13]
	;; [unrolled: 2-line block ×3, first 2 shown]
	ds_bpermute_b32 v18, v9, v10
	s_wait_dscnt 0x1
	v_pk_add_f32 v[16:17], v[44:45], v[16:17]
	ds_bpermute_b32 v19, v9, v11
	ds_bpermute_b32 v20, v9, v12
	;; [unrolled: 1-line block ×7, first 2 shown]
	v_cndmask_b32_e32 v9, v8, v28, vcc_lo
	v_cmp_lt_i32_e32 vcc_lo, v27, v77
	s_delay_alu instid0(VALU_DEP_2)
	v_lshlrev_b32_e32 v9, 2, v9
	s_wait_dscnt 0x6
	v_pk_add_f32 v[10:11], v[10:11], v[18:19]
	s_wait_dscnt 0x4
	v_pk_add_f32 v[12:13], v[12:13], v[20:21]
	;; [unrolled: 2-line block ×3, first 2 shown]
	ds_bpermute_b32 v18, v9, v10
	s_wait_dscnt 0x1
	v_pk_add_f32 v[16:17], v[16:17], v[24:25]
	ds_bpermute_b32 v19, v9, v11
	ds_bpermute_b32 v20, v9, v12
	;; [unrolled: 1-line block ×7, first 2 shown]
	v_cndmask_b32_e32 v9, v8, v27, vcc_lo
	v_cmp_lt_i32_e32 vcc_lo, v26, v77
	s_delay_alu instid0(VALU_DEP_2) | instskip(SKIP_1) | instid1(VALU_DEP_1)
	v_dual_cndmask_b32 v8, v8, v26 :: v_dual_lshlrev_b32 v9, 2, v9
	s_and_b32 vcc_lo, exec_lo, s2
	v_lshlrev_b32_e32 v26, 2, v8
	s_wait_dscnt 0x6
	v_pk_add_f32 v[10:11], v[10:11], v[18:19]
	s_wait_dscnt 0x4
	v_pk_add_f32 v[12:13], v[12:13], v[20:21]
	;; [unrolled: 2-line block ×3, first 2 shown]
	ds_bpermute_b32 v18, v9, v10
	s_wait_dscnt 0x1
	v_pk_add_f32 v[16:17], v[16:17], v[24:25]
	ds_bpermute_b32 v19, v9, v11
	ds_bpermute_b32 v20, v9, v12
	;; [unrolled: 1-line block ×7, first 2 shown]
	s_wait_dscnt 0x6
	v_pk_add_f32 v[8:9], v[10:11], v[18:19]
	s_wait_dscnt 0x4
	v_pk_add_f32 v[10:11], v[12:13], v[20:21]
	;; [unrolled: 2-line block ×3, first 2 shown]
	ds_bpermute_b32 v12, v26, v8
	s_wait_dscnt 0x1
	v_pk_add_f32 v[16:17], v[16:17], v[24:25]
	ds_bpermute_b32 v13, v26, v9
	ds_bpermute_b32 v20, v26, v10
	;; [unrolled: 1-line block ×7, first 2 shown]
	s_wait_dscnt 0x6
	v_pk_add_f32 v[14:15], v[8:9], v[12:13]
	s_wait_dscnt 0x4
	v_pk_add_f32 v[12:13], v[10:11], v[20:21]
	;; [unrolled: 2-line block ×4, first 2 shown]
	s_cbranch_vccz .LBB80_78
; %bb.77:
	s_ashr_i32 s29, s28, 31
	v_dual_mov_b32 v16, 0 :: v_dual_max_num_f32 v17, v1, v1
	s_lshl_b64 s[2:3], s[28:29], 2
	v_dual_max_num_f32 v19, v3, v3 :: v_dual_max_num_f32 v20, v4, v4
	s_add_nc_u64 s[2:3], s[12:13], s[2:3]
	v_max_num_f32_e32 v18, v2, v2
	global_load_b64 v[24:25], v16, s[2:3]
	s_wait_xcnt 0x0
	v_dual_max_num_f32 v16, v0, v0 :: v_dual_max_num_f32 v21, v5, v5
	s_wait_loadcnt 0x0
	v_dual_max_num_f32 v26, v6, v6 :: v_dual_max_num_f32 v22, v24, v24
	v_dual_max_num_f32 v23, v25, v25 :: v_dual_max_num_f32 v27, v7, v7
	s_delay_alu instid0(VALU_DEP_1) | instskip(SKIP_2) | instid1(VALU_DEP_4)
	v_dual_max_num_f32 v16, v16, v22 :: v_dual_max_num_f32 v17, v17, v23
	v_dual_max_num_f32 v18, v18, v22 :: v_dual_max_num_f32 v19, v19, v23
	;; [unrolled: 1-line block ×4, first 2 shown]
	s_delay_alu instid0(VALU_DEP_4) | instskip(SKIP_3) | instid1(VALU_DEP_4)
	v_sub_f32_e32 v0, v0, v16
	v_dual_sub_f32 v26, v24, v16 :: v_dual_sub_f32 v1, v1, v17
	v_dual_sub_f32 v27, v25, v17 :: v_dual_sub_f32 v28, v2, v18
	v_dual_sub_f32 v29, v24, v18 :: v_dual_sub_f32 v30, v3, v19
	v_dual_sub_f32 v39, v25, v23 :: v_dual_mul_f32 v2, 0x3fb8aa3b, v0
	v_dual_sub_f32 v33, v24, v20 :: v_dual_sub_f32 v34, v5, v21
	v_dual_sub_f32 v37, v24, v22 :: v_dual_sub_f32 v38, v7, v23
	v_mul_f32_e32 v3, 0x3fb8aa3b, v26
	v_dual_mul_f32 v7, 0x3fb8aa3b, v29 :: v_dual_mul_f32 v24, 0x3fb8aa3b, v30
	v_fma_f32 v48, 0x3fb8aa3b, v0, -v2
	v_rndne_f32_e32 v49, v2
	v_dual_sub_f32 v31, v25, v19 :: v_dual_sub_f32 v32, v4, v20
	v_dual_mul_f32 v4, 0x3fb8aa3b, v1 :: v_dual_mul_f32 v5, 0x3fb8aa3b, v27
	s_delay_alu instid0(VALU_DEP_3)
	v_dual_mul_f32 v47, 0x3fb8aa3b, v39 :: v_dual_sub_f32 v2, v2, v49
	v_fma_f32 v50, 0x3fb8aa3b, v26, -v3
	v_rndne_f32_e32 v51, v3
	v_rndne_f32_e32 v77, v24
	v_dual_fmac_f32 v48, 0x32a5705f, v0 :: v_dual_sub_f32 v35, v25, v21
	v_sub_f32_e32 v36, v6, v22
	v_dual_mul_f32 v6, 0x3fb8aa3b, v28 :: v_dual_mul_f32 v25, 0x3fb8aa3b, v31
	v_dual_mul_f32 v40, 0x3fb8aa3b, v32 :: v_dual_mul_f32 v41, 0x3fb8aa3b, v33
	v_mul_f32_e32 v42, 0x3fb8aa3b, v34
	v_fma_f32 v52, 0x3fb8aa3b, v1, -v4
	v_rndne_f32_e32 v53, v4
	v_fma_f32 v54, 0x3fb8aa3b, v27, -v5
	v_rndne_f32_e32 v55, v5
	v_fma_f32 v76, 0x3fb8aa3b, v30, -v24
	v_dual_fmac_f32 v50, 0x32a5705f, v26 :: v_dual_sub_f32 v3, v3, v51
	v_dual_sub_f32 v24, v24, v77 :: v_dual_add_f32 v2, v2, v48
	v_dual_mul_f32 v43, 0x3fb8aa3b, v35 :: v_dual_mul_f32 v44, 0x3fb8aa3b, v36
	v_dual_mul_f32 v45, 0x3fb8aa3b, v37 :: v_dual_mul_f32 v46, 0x3fb8aa3b, v38
	v_rndne_f32_e32 v59, v7
	v_fma_f32 v78, 0x3fb8aa3b, v31, -v25
	v_rndne_f32_e32 v79, v25
	v_rndne_f32_e32 v85, v42
	v_fmac_f32_e32 v52, 0x32a5705f, v1
	v_dual_sub_f32 v4, v4, v53 :: v_dual_sub_f32 v5, v5, v55
	v_dual_fmac_f32 v54, 0x32a5705f, v27 :: v_dual_add_f32 v3, v3, v50
	v_exp_f32_e32 v2, v2
	v_fma_f32 v56, 0x3fb8aa3b, v28, -v6
	v_rndne_f32_e32 v57, v6
	v_fma_f32 v58, 0x3fb8aa3b, v29, -v7
	v_fma_f32 v80, 0x3fb8aa3b, v32, -v40
	v_rndne_f32_e32 v81, v40
	v_rndne_f32_e32 v83, v41
	;; [unrolled: 1-line block ×4, first 2 shown]
	v_cvt_i32_f32_e32 v49, v49
	v_fma_f32 v82, 0x3fb8aa3b, v33, -v41
	v_fma_f32 v84, 0x3fb8aa3b, v34, -v42
	v_sub_f32_e32 v7, v7, v59
	v_dual_fmac_f32 v78, 0x32a5705f, v31 :: v_dual_add_f32 v5, v5, v54
	v_dual_sub_f32 v25, v25, v79 :: v_dual_sub_f32 v42, v42, v85
	v_add_f32_e32 v4, v4, v52
	v_exp_f32_e32 v3, v3
	v_fma_f32 v86, 0x3fb8aa3b, v35, -v43
	v_fma_f32 v90, 0x3fb8aa3b, v37, -v45
	v_cvt_i32_f32_e32 v51, v51
	v_dual_fmac_f32 v56, 0x32a5705f, v28 :: v_dual_sub_f32 v41, v41, v83
	v_dual_sub_f32 v6, v6, v57 :: v_dual_sub_f32 v43, v43, v87
	v_dual_fmac_f32 v58, 0x32a5705f, v29 :: v_dual_sub_f32 v45, v45, v107
	v_fmac_f32_e32 v80, 0x32a5705f, v32
	s_delay_alu instid0(VALU_DEP_3)
	v_dual_sub_f32 v40, v40, v81 :: v_dual_add_f32 v6, v6, v56
	v_ldexp_f32 v2, v2, v49
	v_cmp_ngt_f32_e32 vcc_lo, 0xc2ce8ed0, v0
	v_dual_fmac_f32 v82, 0x32a5705f, v33 :: v_dual_add_f32 v25, v25, v78
	v_exp_f32_e32 v4, v4
	v_cvt_i32_f32_e32 v53, v53
	v_dual_add_f32 v7, v7, v58 :: v_dual_add_f32 v40, v40, v80
	v_cndmask_b32_e32 v2, 0, v2, vcc_lo
	v_ldexp_f32 v3, v3, v51
	v_cmp_ngt_f32_e32 vcc_lo, 0xc2ce8ed0, v26
	v_exp_f32_e32 v5, v5
	v_exp_f32_e32 v25, v25
	v_cvt_i32_f32_e32 v55, v55
	v_cvt_i32_f32_e32 v79, v79
	v_dual_fmac_f32 v84, 0x32a5705f, v34 :: v_dual_cndmask_b32 v3, 0, v3
	v_ldexp_f32 v4, v4, v53
	v_cmp_ngt_f32_e32 vcc_lo, 0xc2ce8ed0, v1
	v_rndne_f32_e32 v109, v46
	v_rndne_f32_e32 v111, v47
	v_fmac_f32_e32 v76, 0x32a5705f, v30
	v_exp_f32_e32 v6, v6
	v_fma_f32 v88, 0x3fb8aa3b, v36, -v44
	v_rndne_f32_e32 v89, v44
	v_fma_f32 v108, 0x3fb8aa3b, v38, -v46
	v_cvt_i32_f32_e32 v57, v57
	v_ldexp_f32 v5, v5, v55
	v_ldexp_f32 v25, v25, v79
	v_cndmask_b32_e32 v4, 0, v4, vcc_lo
	v_cmp_ngt_f32_e32 vcc_lo, 0xc2ce8ed0, v27
	v_fma_f32 v110, 0x3fb8aa3b, v39, -v47
	v_dual_sub_f32 v47, v47, v111 :: v_dual_sub_f32 v46, v46, v109
	v_add_f32_e32 v24, v24, v76
	v_exp_f32_e32 v7, v7
	v_cvt_i32_f32_e32 v59, v59
	v_dual_fmac_f32 v86, 0x32a5705f, v35 :: v_dual_add_f32 v41, v41, v82
	v_fmac_f32_e32 v88, 0x32a5705f, v36
	v_dual_sub_f32 v44, v44, v89 :: v_dual_add_f32 v42, v42, v84
	v_dual_fmac_f32 v108, 0x32a5705f, v38 :: v_dual_cndmask_b32 v5, 0, v5
	v_ldexp_f32 v6, v6, v57
	v_cmp_ngt_f32_e32 vcc_lo, 0xc2ce8ed0, v28
	v_exp_f32_e32 v24, v24
	v_cvt_i32_f32_e32 v77, v77
	v_dual_add_f32 v43, v43, v86 :: v_dual_add_f32 v44, v44, v88
	v_cndmask_b32_e32 v6, 0, v6, vcc_lo
	v_ldexp_f32 v7, v7, v59
	v_cmp_ngt_f32_e32 vcc_lo, 0xc2ce8ed0, v29
	v_exp_f32_e32 v41, v41
	v_cvt_i32_f32_e32 v83, v83
	v_add_f32_e32 v46, v46, v108
	v_ldexp_f32 v24, v24, v77
	v_cndmask_b32_e32 v7, 0, v7, vcc_lo
	v_cmp_ngt_f32_e32 vcc_lo, 0xc2ce8ed0, v30
	v_exp_f32_e32 v40, v40
	v_cvt_i32_f32_e32 v81, v81
	v_ldexp_f32 v41, v41, v83
	v_exp_f32_e32 v42, v42
	v_cndmask_b32_e32 v24, 0, v24, vcc_lo
	v_cmp_ngt_f32_e32 vcc_lo, 0xc2ce8ed0, v31
	v_cvt_i32_f32_e32 v85, v85
	v_ldexp_f32 v40, v40, v81
	v_fmac_f32_e32 v110, 0x32a5705f, v39
	v_fmac_f32_e32 v90, 0x32a5705f, v37
	v_cndmask_b32_e32 v25, 0, v25, vcc_lo
	v_cmp_ngt_f32_e32 vcc_lo, 0xc2ce8ed0, v32
	v_ldexp_f32 v42, v42, v85
	v_exp_f32_e32 v43, v43
	v_cvt_i32_f32_e32 v87, v87
	v_dual_add_f32 v47, v47, v110 :: v_dual_cndmask_b32 v40, 0, v40
	v_cmp_ngt_f32_e32 vcc_lo, 0xc2ce8ed0, v33
	v_add_f32_e32 v45, v45, v90
	v_exp_f32_e32 v44, v44
	v_cvt_i32_f32_e32 v89, v89
	v_ldexp_f32 v43, v43, v87
	v_cndmask_b32_e32 v41, 0, v41, vcc_lo
	v_cmp_ngt_f32_e32 vcc_lo, 0xc2ce8ed0, v34
	v_exp_f32_e32 v45, v45
	v_cvt_i32_f32_e32 v107, v107
	v_ldexp_f32 v44, v44, v89
	v_exp_f32_e32 v46, v46
	v_cndmask_b32_e32 v42, 0, v42, vcc_lo
	v_cmp_ngt_f32_e32 vcc_lo, 0xc2ce8ed0, v35
	v_cvt_i32_f32_e32 v109, v109
	v_ldexp_f32 v45, v45, v107
	v_exp_f32_e32 v47, v47
	v_cvt_i32_f32_e32 v111, v111
	v_cndmask_b32_e32 v43, 0, v43, vcc_lo
	v_cmp_ngt_f32_e32 vcc_lo, 0xc2ce8ed0, v36
	v_ldexp_f32 v46, v46, v109
	s_delay_alu instid0(TRANS32_DEP_1) | instid1(VALU_DEP_4)
	v_ldexp_f32 v47, v47, v111
	v_cndmask_b32_e32 v44, 0, v44, vcc_lo
	v_cmp_ngt_f32_e32 vcc_lo, 0xc2ce8ed0, v37
	v_cndmask_b32_e32 v45, 0, v45, vcc_lo
	v_cmp_ngt_f32_e32 vcc_lo, 0xc2ce8ed0, v38
	;; [unrolled: 2-line block ×3, first 2 shown]
	v_cndmask_b32_e32 v47, 0, v47, vcc_lo
	v_cmp_nlt_f32_e32 vcc_lo, 0x42b17218, v0
	v_cndmask_b32_e32 v0, 0x7f800000, v2, vcc_lo
	v_cmp_nlt_f32_e32 vcc_lo, 0x42b17218, v26
	;; [unrolled: 2-line block ×5, first 2 shown]
	s_delay_alu instid0(VALU_DEP_2)
	v_pk_fma_f32 v[14:15], v[14:15], v[0:1], v[2:3]
	v_cndmask_b32_e32 v4, 0x7f800000, v6, vcc_lo
	v_cmp_nlt_f32_e32 vcc_lo, 0x42b17218, v29
	v_cndmask_b32_e32 v6, 0x7f800000, v7, vcc_lo
	v_cmp_nlt_f32_e32 vcc_lo, 0x42b17218, v30
	;; [unrolled: 2-line block ×4, first 2 shown]
	v_cvt_f16_f32_e32 v32, v0
	s_delay_alu instid0(VALU_DEP_3)
	v_pk_fma_f32 v[12:13], v[12:13], v[4:5], v[6:7]
	v_cndmask_b32_e32 v24, 0x7f800000, v40, vcc_lo
	v_cmp_nlt_f32_e32 vcc_lo, 0x42b17218, v33
	v_cvt_f16_f32_e32 v33, v1
	v_and_b32_e32 v0, 0xffff, v32
	v_cndmask_b32_e32 v26, 0x7f800000, v41, vcc_lo
	v_cmp_nlt_f32_e32 vcc_lo, 0x42b17218, v34
	v_cvt_f16_f32_e32 v34, v4
	v_and_b32_e32 v1, 0xffff, v33
	v_mul_u32_u24_e32 v0, 0x10001, v0
	v_cndmask_b32_e32 v25, 0x7f800000, v42, vcc_lo
	v_cmp_nlt_f32_e32 vcc_lo, 0x42b17218, v35
	v_cvt_f16_f32_e32 v35, v5
	v_and_b32_e32 v2, 0xffff, v34
	v_mul_u32_u24_e32 v1, 0x10001, v1
	v_pk_mul_f16 v105, v105, v0
	v_cndmask_b32_e32 v27, 0x7f800000, v43, vcc_lo
	v_cmp_nlt_f32_e32 vcc_lo, 0x42b17218, v36
	v_cvt_f16_f32_e32 v36, v24
	v_and_b32_e32 v3, 0xffff, v35
	v_mul_u32_u24_e32 v2, 0x10001, v2
	v_pk_mul_f16 v106, v106, v0
	;; [unrolled: 6-line block ×4, first 2 shown]
	v_cndmask_b32_e32 v29, 0x7f800000, v46, vcc_lo
	v_cmp_nlt_f32_e32 vcc_lo, 0x42b17218, v39
	v_and_b32_e32 v6, 0xffff, v38
	v_mul_u32_u24_e32 v5, 0x10001, v5
	v_pk_mul_f16 v102, v102, v2
	v_cvt_f16_f32_e32 v39, v29
	v_cndmask_b32_e32 v31, 0x7f800000, v47, vcc_lo
	v_mul_u32_u24_e32 v6, 0x10001, v6
	v_pk_mul_f16 v101, v101, v2
	v_pk_mul_f16 v100, v100, v3
	v_and_b32_e32 v7, 0xffff, v39
	v_pk_mul_f16 v99, v99, v3
	v_pk_mul_f16 v98, v98, v4
	;; [unrolled: 1-line block ×4, first 2 shown]
	v_mul_u32_u24_e32 v7, 0x10001, v7
	v_pk_mul_f16 v95, v95, v5
	v_pk_mul_f16 v93, v93, v6
	;; [unrolled: 1-line block ×3, first 2 shown]
	v_pk_fma_f32 v[10:11], v[10:11], v[24:25], v[26:27]
	v_pk_mul_f16 v91, v91, v7
	v_pk_mul_f16 v92, v92, v7
	v_mov_b64_e32 v[0:1], v[16:17]
	v_mov_b64_e32 v[2:3], v[18:19]
	;; [unrolled: 1-line block ×4, first 2 shown]
	v_pk_fma_f32 v[8:9], v[8:9], v[28:29], v[30:31]
.LBB80_78:
	s_mov_b32 s2, exec_lo
	v_cmpx_gt_i32_e64 s22, v75
	s_cbranch_execz .LBB80_117
; %bb.79:
	s_load_b32 s0, s[0:1], 0xd4
	v_mov_b32_e32 v16, 1.0
	s_wait_kmcnt 0x0
	s_cmp_lg_u32 s0, 1
	s_cselect_b32 s2, -1, 0
	s_cmp_eq_u32 s0, 1
	s_cselect_b32 s3, -1, 0
	s_and_b32 vcc_lo, exec_lo, s2
	s_cbranch_vccnz .LBB80_81
; %bb.80:
	v_div_scale_f32 v16, null, v14, v14, 1.0
	s_delay_alu instid0(VALU_DEP_1) | instskip(SKIP_1) | instid1(TRANS32_DEP_1)
	v_rcp_f32_e32 v17, v16
	v_nop
	v_fma_f32 v18, -v16, v17, 1.0
	s_delay_alu instid0(VALU_DEP_1) | instskip(SKIP_1) | instid1(VALU_DEP_1)
	v_fmac_f32_e32 v17, v18, v17
	v_div_scale_f32 v18, vcc_lo, 1.0, v14, 1.0
	v_mul_f32_e32 v19, v18, v17
	s_delay_alu instid0(VALU_DEP_1) | instskip(NEXT) | instid1(VALU_DEP_1)
	v_fma_f32 v20, -v16, v19, v18
	v_fmac_f32_e32 v19, v20, v17
	s_delay_alu instid0(VALU_DEP_1) | instskip(NEXT) | instid1(VALU_DEP_1)
	v_fma_f32 v16, -v16, v19, v18
	v_div_fmas_f32 v16, v16, v17, v19
	s_delay_alu instid0(VALU_DEP_1)
	v_div_fixup_f32 v16, v16, v14, 1.0
.LBB80_81:
	s_mul_i32 s1, s30, s22
	v_lshrrev_b32_e32 v19, 16, v105
	s_add_co_i32 s1, s1, s35
	v_cvt_f32_f16_e32 v20, v105
	v_dual_add_nc_u32 v17, s1, v73 :: v_dual_mov_b32 v23, 0
	v_cvt_f32_f16_e32 v24, v106
	v_cvt_f32_f16_e32 v21, v19
	v_cmp_eq_u32_e32 vcc_lo, 0, v74
	s_delay_alu instid0(VALU_DEP_4) | instskip(SKIP_2) | instid1(VALU_DEP_1)
	v_mul_lo_u32 v17, v17, s23
	v_lshrrev_b32_e32 v25, 16, v106
	s_and_b32 s2, vcc_lo, s2
	v_cvt_f32_f16_e32 v25, v25
	s_delay_alu instid0(VALU_DEP_3) | instskip(SKIP_1) | instid1(VALU_DEP_2)
	v_add_nc_u32_e32 v18, s28, v17
	v_pk_mul_f32 v[20:21], v[16:17], v[20:21] op_sel_hi:[0,1]
	v_mad_u32 v18, s0, v18, s33
	s_delay_alu instid0(VALU_DEP_1) | instskip(NEXT) | instid1(VALU_DEP_1)
	v_lshl_add_u32 v22, v18, 7, v71
	v_lshl_add_u64 v[26:27], v[22:23], 2, s[16:17]
	v_pk_mul_f32 v[22:23], v[16:17], v[24:25] op_sel_hi:[0,1]
	global_store_b128 v[26:27], v[20:23], off
	s_wait_xcnt 0x0
	s_and_saveexec_b32 s4, s2
	s_cbranch_execz .LBB80_83
; %bb.82:
	v_dual_mov_b32 v20, v0 :: v_dual_mov_b32 v21, v14
	global_store_b64 v18, v[20:21], s[18:19] scale_offset
.LBB80_83:
	s_wait_xcnt 0x0
	s_or_b32 exec_lo, exec_lo, s4
	v_cndmask_b32_e64 v16, 0, 1, s3
	v_mov_b32_e32 v0, 1.0
	s_and_not1_b32 vcc_lo, exec_lo, s3
	s_cbranch_vccnz .LBB80_85
; %bb.84:
	v_div_scale_f32 v0, null, v15, v15, 1.0
	s_delay_alu instid0(VALU_DEP_1) | instskip(SKIP_1) | instid1(TRANS32_DEP_1)
	v_rcp_f32_e32 v14, v0
	v_nop
	v_fma_f32 v18, -v0, v14, 1.0
	s_delay_alu instid0(VALU_DEP_1) | instskip(SKIP_1) | instid1(VALU_DEP_1)
	v_fmac_f32_e32 v14, v18, v14
	v_div_scale_f32 v18, vcc_lo, 1.0, v15, 1.0
	v_mul_f32_e32 v19, v18, v14
	s_delay_alu instid0(VALU_DEP_1) | instskip(NEXT) | instid1(VALU_DEP_1)
	v_fma_f32 v20, -v0, v19, v18
	v_fmac_f32_e32 v19, v20, v14
	s_delay_alu instid0(VALU_DEP_1) | instskip(NEXT) | instid1(VALU_DEP_1)
	v_fma_f32 v0, -v0, v19, v18
	v_div_fmas_f32 v0, v0, v14, v19
	s_delay_alu instid0(VALU_DEP_1)
	v_div_fixup_f32 v0, v0, v15, 1.0
.LBB80_85:
	s_add_co_i32 s3, s28, 1
	v_cvt_f32_f16_e32 v18, v104
	v_dual_mov_b32 v21, 0 :: v_dual_add_nc_u32 v14, s3, v17
	v_cvt_f32_f16_e32 v22, v103
	v_lshrrev_b32_e32 v23, 16, v103
	s_delay_alu instid0(VALU_DEP_3) | instskip(SKIP_1) | instid1(VALU_DEP_3)
	v_mad_u32 v17, s0, v14, s33
	v_lshrrev_b32_e32 v14, 16, v104
	v_cvt_f32_f16_e32 v23, v23
	s_delay_alu instid0(VALU_DEP_2) | instskip(NEXT) | instid1(VALU_DEP_1)
	v_cvt_f32_f16_e32 v19, v14
	v_pk_mul_f32 v[18:19], v[0:1], v[18:19] op_sel_hi:[0,1]
	v_lshl_add_u32 v20, v17, 7, v71
	s_delay_alu instid0(VALU_DEP_1)
	v_lshl_add_u64 v[24:25], v[20:21], 2, s[16:17]
	v_pk_mul_f32 v[20:21], v[0:1], v[22:23] op_sel_hi:[0,1]
	global_store_b128 v[24:25], v[18:21], off
	s_wait_xcnt 0x0
	s_and_saveexec_b32 s4, s2
	s_cbranch_execz .LBB80_87
; %bb.86:
	v_mov_b32_e32 v14, v1
	global_store_b64 v17, v[14:15], s[18:19] scale_offset
.LBB80_87:
	s_wait_xcnt 0x0
	s_or_b32 exec_lo, exec_lo, s4
	v_cmp_gt_i32_e32 vcc_lo, s22, v72
	s_and_b32 exec_lo, exec_lo, vcc_lo
	s_cbranch_execz .LBB80_117
; %bb.88:
	v_cmp_ne_u32_e32 vcc_lo, 1, v16
	v_mov_b32_e32 v0, 1.0
	s_cbranch_vccnz .LBB80_90
; %bb.89:
	v_div_scale_f32 v0, null, v12, v12, 1.0
	s_delay_alu instid0(VALU_DEP_1) | instskip(SKIP_1) | instid1(TRANS32_DEP_1)
	v_rcp_f32_e32 v1, v0
	v_nop
	v_fma_f32 v14, -v0, v1, 1.0
	s_delay_alu instid0(VALU_DEP_1) | instskip(SKIP_1) | instid1(VALU_DEP_1)
	v_fmac_f32_e32 v1, v14, v1
	v_div_scale_f32 v14, vcc_lo, 1.0, v12, 1.0
	v_mul_f32_e32 v15, v14, v1
	s_delay_alu instid0(VALU_DEP_1) | instskip(NEXT) | instid1(VALU_DEP_1)
	v_fma_f32 v17, -v0, v15, v14
	v_fmac_f32_e32 v15, v17, v1
	s_delay_alu instid0(VALU_DEP_1) | instskip(NEXT) | instid1(VALU_DEP_1)
	v_fma_f32 v0, -v0, v15, v14
	v_div_fmas_f32 v0, v0, v1, v15
	s_delay_alu instid0(VALU_DEP_1)
	v_div_fixup_f32 v0, v0, v12, 1.0
.LBB80_90:
	v_dual_add_nc_u32 v1, s1, v70 :: v_dual_mov_b32 v15, 0
	v_dual_lshrrev_b32 v14, 16, v102 :: v_dual_lshrrev_b32 v17, 16, v101
	v_cvt_f32_f16_e32 v18, v102
	s_delay_alu instid0(VALU_DEP_3) | instskip(SKIP_1) | instid1(VALU_DEP_4)
	v_mad_u32 v1, v1, s23, s28
	v_cvt_f32_f16_e32 v20, v101
	v_cvt_f32_f16_e32 v19, v14
	;; [unrolled: 1-line block ×3, first 2 shown]
	s_delay_alu instid0(VALU_DEP_4) | instskip(NEXT) | instid1(VALU_DEP_1)
	v_mad_u32 v1, s0, v1, s33
	v_lshl_add_u32 v14, v1, 7, v71
	s_delay_alu instid0(VALU_DEP_4) | instskip(NEXT) | instid1(VALU_DEP_4)
	v_pk_mul_f32 v[18:19], v[0:1], v[18:19] op_sel_hi:[0,1]
	v_pk_mul_f32 v[20:21], v[0:1], v[20:21] op_sel_hi:[0,1]
	s_delay_alu instid0(VALU_DEP_3)
	v_lshl_add_u64 v[14:15], v[14:15], 2, s[16:17]
	global_store_b128 v[14:15], v[18:21], off
	s_wait_xcnt 0x0
	s_and_saveexec_b32 s4, s2
	s_cbranch_execz .LBB80_92
; %bb.91:
	v_dual_mov_b32 v14, v2 :: v_dual_mov_b32 v15, v12
	global_store_b64 v1, v[14:15], s[18:19] scale_offset
.LBB80_92:
	s_wait_xcnt 0x0
	s_or_b32 exec_lo, exec_lo, s4
	v_cmp_gt_i32_e32 vcc_lo, s22, v69
	s_and_b32 exec_lo, exec_lo, vcc_lo
	s_cbranch_execz .LBB80_117
; %bb.93:
	v_cmp_ne_u32_e32 vcc_lo, 1, v16
	v_mov_b32_e32 v0, 1.0
	s_cbranch_vccnz .LBB80_95
; %bb.94:
	v_div_scale_f32 v0, null, v13, v13, 1.0
	s_delay_alu instid0(VALU_DEP_1) | instskip(SKIP_1) | instid1(TRANS32_DEP_1)
	v_rcp_f32_e32 v1, v0
	v_nop
	v_fma_f32 v2, -v0, v1, 1.0
	s_delay_alu instid0(VALU_DEP_1) | instskip(SKIP_1) | instid1(VALU_DEP_1)
	v_fmac_f32_e32 v1, v2, v1
	v_div_scale_f32 v2, vcc_lo, 1.0, v13, 1.0
	v_mul_f32_e32 v12, v2, v1
	s_delay_alu instid0(VALU_DEP_1) | instskip(NEXT) | instid1(VALU_DEP_1)
	v_fma_f32 v14, -v0, v12, v2
	v_fmac_f32_e32 v12, v14, v1
	s_delay_alu instid0(VALU_DEP_1) | instskip(NEXT) | instid1(VALU_DEP_1)
	v_fma_f32 v0, -v0, v12, v2
	v_div_fmas_f32 v0, v0, v1, v12
	s_delay_alu instid0(VALU_DEP_1)
	v_div_fixup_f32 v0, v0, v13, 1.0
.LBB80_95:
	v_dual_add_nc_u32 v1, s1, v68 :: v_dual_mov_b32 v15, 0
	v_dual_lshrrev_b32 v2, 16, v100 :: v_dual_lshrrev_b32 v12, 16, v99
	v_cvt_f32_f16_e32 v18, v100
	s_delay_alu instid0(VALU_DEP_3) | instskip(SKIP_1) | instid1(VALU_DEP_4)
	v_mad_u32 v1, v1, s23, s3
	v_cvt_f32_f16_e32 v20, v99
	v_cvt_f32_f16_e32 v19, v2
	;; [unrolled: 1-line block ×3, first 2 shown]
	s_delay_alu instid0(VALU_DEP_4) | instskip(NEXT) | instid1(VALU_DEP_1)
	v_mad_u32 v1, s0, v1, s33
	v_lshl_add_u32 v14, v1, 7, v71
	s_delay_alu instid0(VALU_DEP_4) | instskip(NEXT) | instid1(VALU_DEP_4)
	v_pk_mul_f32 v[18:19], v[0:1], v[18:19] op_sel_hi:[0,1]
	v_pk_mul_f32 v[20:21], v[0:1], v[20:21] op_sel_hi:[0,1]
	s_delay_alu instid0(VALU_DEP_3)
	v_lshl_add_u64 v[14:15], v[14:15], 2, s[16:17]
	global_store_b128 v[14:15], v[18:21], off
	s_wait_xcnt 0x0
	s_and_saveexec_b32 s4, s2
	s_cbranch_execz .LBB80_97
; %bb.96:
	v_mov_b32_e32 v12, v3
	global_store_b64 v1, v[12:13], s[18:19] scale_offset
.LBB80_97:
	s_wait_xcnt 0x0
	s_or_b32 exec_lo, exec_lo, s4
	v_cmp_gt_i32_e32 vcc_lo, s22, v67
	s_and_b32 exec_lo, exec_lo, vcc_lo
	s_cbranch_execz .LBB80_117
; %bb.98:
	v_cmp_ne_u32_e32 vcc_lo, 1, v16
	v_mov_b32_e32 v0, 1.0
	s_cbranch_vccnz .LBB80_100
; %bb.99:
	v_div_scale_f32 v0, null, v10, v10, 1.0
	s_delay_alu instid0(VALU_DEP_1) | instskip(SKIP_1) | instid1(TRANS32_DEP_1)
	v_rcp_f32_e32 v1, v0
	v_nop
	v_fma_f32 v2, -v0, v1, 1.0
	s_delay_alu instid0(VALU_DEP_1) | instskip(SKIP_1) | instid1(VALU_DEP_1)
	v_fmac_f32_e32 v1, v2, v1
	v_div_scale_f32 v2, vcc_lo, 1.0, v10, 1.0
	v_mul_f32_e32 v3, v2, v1
	s_delay_alu instid0(VALU_DEP_1) | instskip(NEXT) | instid1(VALU_DEP_1)
	v_fma_f32 v12, -v0, v3, v2
	v_fmac_f32_e32 v3, v12, v1
	s_delay_alu instid0(VALU_DEP_1) | instskip(NEXT) | instid1(VALU_DEP_1)
	v_fma_f32 v0, -v0, v3, v2
	v_div_fmas_f32 v0, v0, v1, v3
	s_delay_alu instid0(VALU_DEP_1)
	v_div_fixup_f32 v0, v0, v10, 1.0
.LBB80_100:
	v_dual_add_nc_u32 v1, s1, v66 :: v_dual_mov_b32 v3, 0
	v_dual_lshrrev_b32 v2, 16, v98 :: v_dual_lshrrev_b32 v15, 16, v97
	v_cvt_f32_f16_e32 v12, v98
	s_delay_alu instid0(VALU_DEP_3) | instskip(SKIP_1) | instid1(VALU_DEP_4)
	v_mad_u32 v1, v1, s23, s28
	v_cvt_f32_f16_e32 v14, v97
	v_cvt_f32_f16_e32 v13, v2
	;; [unrolled: 1-line block ×3, first 2 shown]
	s_delay_alu instid0(VALU_DEP_4) | instskip(NEXT) | instid1(VALU_DEP_1)
	v_mad_u32 v1, s0, v1, s33
	v_lshl_add_u32 v2, v1, 7, v71
	s_delay_alu instid0(VALU_DEP_4) | instskip(NEXT) | instid1(VALU_DEP_4)
	v_pk_mul_f32 v[12:13], v[0:1], v[12:13] op_sel_hi:[0,1]
	v_pk_mul_f32 v[14:15], v[0:1], v[14:15] op_sel_hi:[0,1]
	s_delay_alu instid0(VALU_DEP_3)
	v_lshl_add_u64 v[2:3], v[2:3], 2, s[16:17]
	global_store_b128 v[2:3], v[12:15], off
	s_wait_xcnt 0x0
	s_and_saveexec_b32 s4, s2
	s_cbranch_execz .LBB80_102
; %bb.101:
	v_dual_mov_b32 v2, v4 :: v_dual_mov_b32 v3, v10
	global_store_b64 v1, v[2:3], s[18:19] scale_offset
.LBB80_102:
	s_wait_xcnt 0x0
	s_or_b32 exec_lo, exec_lo, s4
	v_cmp_gt_i32_e32 vcc_lo, s22, v65
	s_and_b32 exec_lo, exec_lo, vcc_lo
	s_cbranch_execz .LBB80_117
; %bb.103:
	v_cmp_ne_u32_e32 vcc_lo, 1, v16
	v_mov_b32_e32 v0, 1.0
	s_cbranch_vccnz .LBB80_105
; %bb.104:
	v_div_scale_f32 v0, null, v11, v11, 1.0
	s_delay_alu instid0(VALU_DEP_1) | instskip(SKIP_1) | instid1(TRANS32_DEP_1)
	v_rcp_f32_e32 v1, v0
	v_nop
	v_fma_f32 v2, -v0, v1, 1.0
	s_delay_alu instid0(VALU_DEP_1) | instskip(SKIP_1) | instid1(VALU_DEP_1)
	v_fmac_f32_e32 v1, v2, v1
	v_div_scale_f32 v2, vcc_lo, 1.0, v11, 1.0
	v_mul_f32_e32 v3, v2, v1
	s_delay_alu instid0(VALU_DEP_1) | instskip(NEXT) | instid1(VALU_DEP_1)
	v_fma_f32 v4, -v0, v3, v2
	v_fmac_f32_e32 v3, v4, v1
	s_delay_alu instid0(VALU_DEP_1) | instskip(NEXT) | instid1(VALU_DEP_1)
	v_fma_f32 v0, -v0, v3, v2
	v_div_fmas_f32 v0, v0, v1, v3
	s_delay_alu instid0(VALU_DEP_1)
	v_div_fixup_f32 v0, v0, v11, 1.0
.LBB80_105:
	v_dual_add_nc_u32 v1, s1, v64 :: v_dual_mov_b32 v3, 0
	v_dual_lshrrev_b32 v2, 16, v96 :: v_dual_lshrrev_b32 v4, 16, v95
	v_cvt_f32_f16_e32 v12, v96
	s_delay_alu instid0(VALU_DEP_3) | instskip(SKIP_1) | instid1(VALU_DEP_4)
	v_mad_u32 v1, v1, s23, s3
	v_cvt_f32_f16_e32 v14, v95
	v_cvt_f32_f16_e32 v13, v2
	v_cvt_f32_f16_e32 v15, v4
	s_delay_alu instid0(VALU_DEP_4) | instskip(NEXT) | instid1(VALU_DEP_1)
	v_mad_u32 v1, s0, v1, s33
	v_lshl_add_u32 v2, v1, 7, v71
	s_delay_alu instid0(VALU_DEP_4) | instskip(NEXT) | instid1(VALU_DEP_4)
	v_pk_mul_f32 v[12:13], v[0:1], v[12:13] op_sel_hi:[0,1]
	v_pk_mul_f32 v[14:15], v[0:1], v[14:15] op_sel_hi:[0,1]
	s_delay_alu instid0(VALU_DEP_3)
	v_lshl_add_u64 v[2:3], v[2:3], 2, s[16:17]
	global_store_b128 v[2:3], v[12:15], off
	s_wait_xcnt 0x0
	s_and_saveexec_b32 s4, s2
	s_cbranch_execz .LBB80_107
; %bb.106:
	v_mov_b32_e32 v10, v5
	global_store_b64 v1, v[10:11], s[18:19] scale_offset
.LBB80_107:
	s_wait_xcnt 0x0
	s_or_b32 exec_lo, exec_lo, s4
	v_cmp_gt_i32_e32 vcc_lo, s22, v63
	s_and_b32 exec_lo, exec_lo, vcc_lo
	s_cbranch_execz .LBB80_117
; %bb.108:
	v_cmp_ne_u32_e32 vcc_lo, 1, v16
	v_mov_b32_e32 v0, 1.0
	s_cbranch_vccnz .LBB80_110
; %bb.109:
	v_div_scale_f32 v0, null, v8, v8, 1.0
	s_delay_alu instid0(VALU_DEP_1) | instskip(SKIP_1) | instid1(TRANS32_DEP_1)
	v_rcp_f32_e32 v1, v0
	v_nop
	v_fma_f32 v2, -v0, v1, 1.0
	s_delay_alu instid0(VALU_DEP_1) | instskip(SKIP_1) | instid1(VALU_DEP_1)
	v_fmac_f32_e32 v1, v2, v1
	v_div_scale_f32 v2, vcc_lo, 1.0, v8, 1.0
	v_mul_f32_e32 v3, v2, v1
	s_delay_alu instid0(VALU_DEP_1) | instskip(NEXT) | instid1(VALU_DEP_1)
	v_fma_f32 v4, -v0, v3, v2
	v_fmac_f32_e32 v3, v4, v1
	s_delay_alu instid0(VALU_DEP_1) | instskip(NEXT) | instid1(VALU_DEP_1)
	v_fma_f32 v0, -v0, v3, v2
	v_div_fmas_f32 v0, v0, v1, v3
	s_delay_alu instid0(VALU_DEP_1)
	v_div_fixup_f32 v0, v0, v8, 1.0
.LBB80_110:
	v_dual_add_nc_u32 v1, s1, v62 :: v_dual_lshrrev_b32 v3, 16, v93
	v_dual_mov_b32 v5, 0 :: v_dual_lshrrev_b32 v11, 16, v94
	v_cvt_f32_f16_e32 v2, v93
	s_delay_alu instid0(VALU_DEP_3) | instskip(SKIP_3) | instid1(VALU_DEP_4)
	v_mad_u32 v1, v1, s23, s28
	v_cvt_f32_f16_e32 v10, v94
	v_cvt_f32_f16_e32 v3, v3
	;; [unrolled: 1-line block ×3, first 2 shown]
	v_mad_u32 v1, s0, v1, s33
	s_delay_alu instid0(VALU_DEP_1) | instskip(NEXT) | instid1(VALU_DEP_4)
	v_lshl_add_u32 v4, v1, 7, v71
	v_pk_mul_f32 v[2:3], v[0:1], v[2:3] op_sel_hi:[0,1]
	s_delay_alu instid0(VALU_DEP_2)
	v_lshl_add_u64 v[12:13], v[4:5], 2, s[16:17]
	v_pk_mul_f32 v[4:5], v[0:1], v[10:11] op_sel_hi:[0,1]
	global_store_b128 v[12:13], v[2:5], off
	s_wait_xcnt 0x0
	s_and_saveexec_b32 s4, s2
	s_cbranch_execz .LBB80_112
; %bb.111:
	v_dual_mov_b32 v2, v6 :: v_dual_mov_b32 v3, v8
	global_store_b64 v1, v[2:3], s[18:19] scale_offset
.LBB80_112:
	s_wait_xcnt 0x0
	s_or_b32 exec_lo, exec_lo, s4
	v_cmp_gt_i32_e32 vcc_lo, s22, v61
	s_and_b32 exec_lo, exec_lo, vcc_lo
	s_cbranch_execz .LBB80_117
; %bb.113:
	v_cmp_ne_u32_e32 vcc_lo, 1, v16
	v_mov_b32_e32 v0, 1.0
	s_cbranch_vccnz .LBB80_115
; %bb.114:
	v_div_scale_f32 v0, null, v9, v9, 1.0
	s_delay_alu instid0(VALU_DEP_1) | instskip(SKIP_1) | instid1(TRANS32_DEP_1)
	v_rcp_f32_e32 v1, v0
	v_nop
	v_fma_f32 v2, -v0, v1, 1.0
	s_delay_alu instid0(VALU_DEP_1) | instskip(SKIP_1) | instid1(VALU_DEP_1)
	v_fmac_f32_e32 v1, v2, v1
	v_div_scale_f32 v2, vcc_lo, 1.0, v9, 1.0
	v_mul_f32_e32 v3, v2, v1
	s_delay_alu instid0(VALU_DEP_1) | instskip(NEXT) | instid1(VALU_DEP_1)
	v_fma_f32 v4, -v0, v3, v2
	v_fmac_f32_e32 v3, v4, v1
	s_delay_alu instid0(VALU_DEP_1) | instskip(NEXT) | instid1(VALU_DEP_1)
	v_fma_f32 v0, -v0, v3, v2
	v_div_fmas_f32 v0, v0, v1, v3
	s_delay_alu instid0(VALU_DEP_1)
	v_div_fixup_f32 v0, v0, v9, 1.0
.LBB80_115:
	v_dual_add_nc_u32 v1, s1, v60 :: v_dual_lshrrev_b32 v3, 16, v91
	v_dual_mov_b32 v5, 0 :: v_dual_lshrrev_b32 v6, 16, v92
	v_cvt_f32_f16_e32 v2, v91
	s_delay_alu instid0(VALU_DEP_3) | instskip(SKIP_3) | instid1(VALU_DEP_4)
	v_mad_u32 v1, v1, s23, s3
	v_cvt_f32_f16_e32 v10, v92
	v_cvt_f32_f16_e32 v3, v3
	v_cvt_f32_f16_e32 v11, v6
	v_mad_u32 v1, s0, v1, s33
	s_delay_alu instid0(VALU_DEP_1) | instskip(NEXT) | instid1(VALU_DEP_4)
	v_lshl_add_u32 v4, v1, 7, v71
	v_pk_mul_f32 v[2:3], v[0:1], v[2:3] op_sel_hi:[0,1]
	s_delay_alu instid0(VALU_DEP_2)
	v_lshl_add_u64 v[12:13], v[4:5], 2, s[16:17]
	v_pk_mul_f32 v[4:5], v[0:1], v[10:11] op_sel_hi:[0,1]
	global_store_b128 v[12:13], v[2:5], off
	s_wait_xcnt 0x0
	s_and_b32 exec_lo, exec_lo, s2
	s_cbranch_execz .LBB80_117
; %bb.116:
	v_mov_b32_e32 v8, v7
	global_store_b64 v1, v[8:9], s[18:19] scale_offset
.LBB80_117:
	s_sendmsg sendmsg(MSG_DEALLOC_VGPRS)
	s_endpgm
	.section	.rodata,"a",@progbits
	.p2align	6, 0x0
	.amdhsa_kernel _ZL15flash_attn_tileILi128ELi128ELi32ELi2ELb1EEvPKcS1_S1_S1_S1_PKiPfP15HIP_vector_typeIfLj2EEffffjfiS5_IjLj3EEiiiiiiiiiiiliiliiiiil
		.amdhsa_group_segment_fixed_size 33792
		.amdhsa_private_segment_fixed_size 0
		.amdhsa_kernarg_size 464
		.amdhsa_user_sgpr_count 2
		.amdhsa_user_sgpr_dispatch_ptr 0
		.amdhsa_user_sgpr_queue_ptr 0
		.amdhsa_user_sgpr_kernarg_segment_ptr 1
		.amdhsa_user_sgpr_dispatch_id 0
		.amdhsa_user_sgpr_kernarg_preload_length 0
		.amdhsa_user_sgpr_kernarg_preload_offset 0
		.amdhsa_user_sgpr_private_segment_size 0
		.amdhsa_wavefront_size32 1
		.amdhsa_uses_dynamic_stack 0
		.amdhsa_enable_private_segment 0
		.amdhsa_system_sgpr_workgroup_id_x 1
		.amdhsa_system_sgpr_workgroup_id_y 1
		.amdhsa_system_sgpr_workgroup_id_z 1
		.amdhsa_system_sgpr_workgroup_info 0
		.amdhsa_system_vgpr_workitem_id 1
		.amdhsa_next_free_vgpr 165
		.amdhsa_next_free_sgpr 49
		.amdhsa_named_barrier_count 0
		.amdhsa_reserve_vcc 1
		.amdhsa_float_round_mode_32 0
		.amdhsa_float_round_mode_16_64 0
		.amdhsa_float_denorm_mode_32 3
		.amdhsa_float_denorm_mode_16_64 3
		.amdhsa_fp16_overflow 0
		.amdhsa_memory_ordered 1
		.amdhsa_forward_progress 1
		.amdhsa_inst_pref_size 255
		.amdhsa_round_robin_scheduling 0
		.amdhsa_exception_fp_ieee_invalid_op 0
		.amdhsa_exception_fp_denorm_src 0
		.amdhsa_exception_fp_ieee_div_zero 0
		.amdhsa_exception_fp_ieee_overflow 0
		.amdhsa_exception_fp_ieee_underflow 0
		.amdhsa_exception_fp_ieee_inexact 0
		.amdhsa_exception_int_div_zero 0
	.end_amdhsa_kernel
	.section	.text._ZL15flash_attn_tileILi128ELi128ELi32ELi2ELb1EEvPKcS1_S1_S1_S1_PKiPfP15HIP_vector_typeIfLj2EEffffjfiS5_IjLj3EEiiiiiiiiiiiliiliiiiil,"axG",@progbits,_ZL15flash_attn_tileILi128ELi128ELi32ELi2ELb1EEvPKcS1_S1_S1_S1_PKiPfP15HIP_vector_typeIfLj2EEffffjfiS5_IjLj3EEiiiiiiiiiiiliiliiiiil,comdat
.Lfunc_end80:
	.size	_ZL15flash_attn_tileILi128ELi128ELi32ELi2ELb1EEvPKcS1_S1_S1_S1_PKiPfP15HIP_vector_typeIfLj2EEffffjfiS5_IjLj3EEiiiiiiiiiiiliiliiiiil, .Lfunc_end80-_ZL15flash_attn_tileILi128ELi128ELi32ELi2ELb1EEvPKcS1_S1_S1_S1_PKiPfP15HIP_vector_typeIfLj2EEffffjfiS5_IjLj3EEiiiiiiiiiiiliiliiiiil
                                        ; -- End function
	.set _ZL15flash_attn_tileILi128ELi128ELi32ELi2ELb1EEvPKcS1_S1_S1_S1_PKiPfP15HIP_vector_typeIfLj2EEffffjfiS5_IjLj3EEiiiiiiiiiiiliiliiiiil.num_vgpr, 165
	.set _ZL15flash_attn_tileILi128ELi128ELi32ELi2ELb1EEvPKcS1_S1_S1_S1_PKiPfP15HIP_vector_typeIfLj2EEffffjfiS5_IjLj3EEiiiiiiiiiiiliiliiiiil.num_agpr, 0
	.set _ZL15flash_attn_tileILi128ELi128ELi32ELi2ELb1EEvPKcS1_S1_S1_S1_PKiPfP15HIP_vector_typeIfLj2EEffffjfiS5_IjLj3EEiiiiiiiiiiiliiliiiiil.numbered_sgpr, 49
	.set _ZL15flash_attn_tileILi128ELi128ELi32ELi2ELb1EEvPKcS1_S1_S1_S1_PKiPfP15HIP_vector_typeIfLj2EEffffjfiS5_IjLj3EEiiiiiiiiiiiliiliiiiil.num_named_barrier, 0
	.set _ZL15flash_attn_tileILi128ELi128ELi32ELi2ELb1EEvPKcS1_S1_S1_S1_PKiPfP15HIP_vector_typeIfLj2EEffffjfiS5_IjLj3EEiiiiiiiiiiiliiliiiiil.private_seg_size, 0
	.set _ZL15flash_attn_tileILi128ELi128ELi32ELi2ELb1EEvPKcS1_S1_S1_S1_PKiPfP15HIP_vector_typeIfLj2EEffffjfiS5_IjLj3EEiiiiiiiiiiiliiliiiiil.uses_vcc, 1
	.set _ZL15flash_attn_tileILi128ELi128ELi32ELi2ELb1EEvPKcS1_S1_S1_S1_PKiPfP15HIP_vector_typeIfLj2EEffffjfiS5_IjLj3EEiiiiiiiiiiiliiliiiiil.uses_flat_scratch, 0
	.set _ZL15flash_attn_tileILi128ELi128ELi32ELi2ELb1EEvPKcS1_S1_S1_S1_PKiPfP15HIP_vector_typeIfLj2EEffffjfiS5_IjLj3EEiiiiiiiiiiiliiliiiiil.has_dyn_sized_stack, 0
	.set _ZL15flash_attn_tileILi128ELi128ELi32ELi2ELb1EEvPKcS1_S1_S1_S1_PKiPfP15HIP_vector_typeIfLj2EEffffjfiS5_IjLj3EEiiiiiiiiiiiliiliiiiil.has_recursion, 0
	.set _ZL15flash_attn_tileILi128ELi128ELi32ELi2ELb1EEvPKcS1_S1_S1_S1_PKiPfP15HIP_vector_typeIfLj2EEffffjfiS5_IjLj3EEiiiiiiiiiiiliiliiiiil.has_indirect_call, 0
	.section	.AMDGPU.csdata,"",@progbits
; Kernel info:
; codeLenInByte = 35864
; TotalNumSgprs: 51
; NumVgprs: 165
; ScratchSize: 0
; MemoryBound: 0
; FloatMode: 240
; IeeeMode: 1
; LDSByteSize: 33792 bytes/workgroup (compile time only)
; SGPRBlocks: 0
; VGPRBlocks: 10
; NumSGPRsForWavesPerEU: 51
; NumVGPRsForWavesPerEU: 165
; NamedBarCnt: 0
; Occupancy: 5
; WaveLimiterHint : 1
; COMPUTE_PGM_RSRC2:SCRATCH_EN: 0
; COMPUTE_PGM_RSRC2:USER_SGPR: 2
; COMPUTE_PGM_RSRC2:TRAP_HANDLER: 0
; COMPUTE_PGM_RSRC2:TGID_X_EN: 1
; COMPUTE_PGM_RSRC2:TGID_Y_EN: 1
; COMPUTE_PGM_RSRC2:TGID_Z_EN: 1
; COMPUTE_PGM_RSRC2:TIDIG_COMP_CNT: 1
	.section	.text._ZL15flash_attn_tileILi128ELi128ELi16ELi2ELb1EEvPKcS1_S1_S1_S1_PKiPfP15HIP_vector_typeIfLj2EEffffjfiS5_IjLj3EEiiiiiiiiiiiliiliiiiil,"axG",@progbits,_ZL15flash_attn_tileILi128ELi128ELi16ELi2ELb1EEvPKcS1_S1_S1_S1_PKiPfP15HIP_vector_typeIfLj2EEffffjfiS5_IjLj3EEiiiiiiiiiiiliiliiiiil,comdat
	.globl	_ZL15flash_attn_tileILi128ELi128ELi16ELi2ELb1EEvPKcS1_S1_S1_S1_PKiPfP15HIP_vector_typeIfLj2EEffffjfiS5_IjLj3EEiiiiiiiiiiiliiliiiiil ; -- Begin function _ZL15flash_attn_tileILi128ELi128ELi16ELi2ELb1EEvPKcS1_S1_S1_S1_PKiPfP15HIP_vector_typeIfLj2EEffffjfiS5_IjLj3EEiiiiiiiiiiiliiliiiiil
	.p2align	8
	.type	_ZL15flash_attn_tileILi128ELi128ELi16ELi2ELb1EEvPKcS1_S1_S1_S1_PKiPfP15HIP_vector_typeIfLj2EEffffjfiS5_IjLj3EEiiiiiiiiiiiliiliiiiil,@function
_ZL15flash_attn_tileILi128ELi128ELi16ELi2ELb1EEvPKcS1_S1_S1_S1_PKiPfP15HIP_vector_typeIfLj2EEffffjfiS5_IjLj3EEiiiiiiiiiiiliiliiiiil: ; @_ZL15flash_attn_tileILi128ELi128ELi16ELi2ELb1EEvPKcS1_S1_S1_S1_PKiPfP15HIP_vector_typeIfLj2EEffffjfiS5_IjLj3EEiiiiiiiiiiiliiliiiiil
; %bb.0:
	s_clause 0x1
	s_load_b128 s[20:23], s[0:1], 0x5c
	s_load_b64 s[30:31], s[0:1], 0x80
	s_bfe_u32 s5, ttmp6, 0x40014
	s_lshr_b32 s4, ttmp7, 16
	s_add_co_i32 s5, s5, 1
	s_bfe_u32 s6, ttmp6, 0x40008
	s_mul_i32 s5, s4, s5
	s_getreg_b32 s24, hwreg(HW_REG_IB_STS2, 6, 4)
	s_add_co_i32 s6, s6, s5
	s_load_b64 s[38:39], s[0:1], 0xb8
	s_mov_b32 s37, 0
	s_mov_b64 s[34:35], 0
	s_wait_kmcnt 0x0
	s_lshr_b32 s2, s23, 31
	s_delay_alu instid0(SALU_CYCLE_1) | instskip(NEXT) | instid1(SALU_CYCLE_1)
	s_add_co_i32 s2, s23, s2
	s_ashr_i32 s2, s2, 1
	s_delay_alu instid0(SALU_CYCLE_1) | instskip(SKIP_1) | instid1(SALU_CYCLE_2)
	s_cvt_f32_u32 s3, s2
	s_sub_co_i32 s7, 0, s2
	v_rcp_iflag_f32_e32 v1, s3
	v_nop
	s_delay_alu instid0(TRANS32_DEP_1) | instskip(SKIP_1) | instid1(SALU_CYCLE_3)
	v_readfirstlane_b32 s3, v1
	s_mul_f32 s3, s3, 0x4f7ffffe
	s_cvt_u32_f32 s3, s3
	s_delay_alu instid0(SALU_CYCLE_3) | instskip(NEXT) | instid1(SALU_CYCLE_1)
	s_mul_i32 s7, s7, s3
	s_mul_hi_u32 s7, s3, s7
	s_delay_alu instid0(SALU_CYCLE_1) | instskip(SKIP_2) | instid1(SALU_CYCLE_1)
	s_add_co_i32 s3, s3, s7
	s_cmp_eq_u32 s24, 0
	s_cselect_b32 s4, s4, s6
	s_mul_hi_u32 s3, s4, s3
	s_delay_alu instid0(SALU_CYCLE_1) | instskip(SKIP_2) | instid1(SALU_CYCLE_1)
	s_mul_i32 s5, s3, s2
	s_add_co_i32 s6, s3, 1
	s_sub_co_i32 s5, s4, s5
	s_sub_co_i32 s7, s5, s2
	s_cmp_ge_u32 s5, s2
	s_cselect_b32 s3, s6, s3
	s_cselect_b32 s5, s7, s5
	s_add_co_i32 s6, s3, 1
	s_cmp_ge_u32 s5, s2
	s_cselect_b32 s28, s6, s3
	s_abs_i32 s3, s31
	s_lshl_b32 s4, s4, 1
	s_cvt_f32_u32 s2, s3
	s_sub_co_i32 s5, 0, s3
	s_mul_i32 s6, s28, s23
	s_abs_i32 s7, s23
	v_rcp_iflag_f32_e32 v1, s2
	v_nop
	s_delay_alu instid0(TRANS32_DEP_1) | instskip(SKIP_1) | instid1(SALU_CYCLE_3)
	v_readfirstlane_b32 s2, v1
	s_mul_f32 s2, s2, 0x4f7ffffe
	s_cvt_u32_f32 s2, s2
	s_delay_alu instid0(SALU_CYCLE_3) | instskip(NEXT) | instid1(SALU_CYCLE_1)
	s_mul_i32 s5, s5, s2
	s_mul_hi_u32 s5, s2, s5
	s_delay_alu instid0(SALU_CYCLE_1)
	s_add_co_i32 s5, s2, s5
	s_sub_co_i32 s2, s4, s6
	s_mul_hi_u32 s4, s7, s5
	s_xor_b32 s5, s23, s31
	s_mul_i32 s6, s4, s3
	s_ashr_i32 s25, s5, 31
	s_sub_co_i32 s5, s7, s6
	s_add_co_i32 s6, s4, 1
	s_sub_co_i32 s7, s5, s3
	s_cmp_ge_u32 s5, s3
	s_cselect_b32 s4, s6, s4
	s_cselect_b32 s5, s7, s5
	s_add_co_i32 s6, s4, 1
	s_cmp_ge_u32 s5, s3
	s_cselect_b32 s3, s6, s4
	s_load_b512 s[4:19], s[0:1], 0x0
	s_xor_b32 s3, s3, s25
	s_delay_alu instid0(SALU_CYCLE_1) | instskip(NEXT) | instid1(SALU_CYCLE_1)
	s_sub_co_i32 s29, s3, s25
	s_abs_i32 s3, s29
	s_delay_alu instid0(SALU_CYCLE_1) | instskip(NEXT) | instid1(SALU_CYCLE_3)
	s_cvt_f32_u32 s25, s3
	v_rcp_iflag_f32_e32 v1, s25
	v_nop
	s_delay_alu instid0(TRANS32_DEP_1)
	v_readfirstlane_b32 s36, v1
	s_wait_kmcnt 0x0
	s_cmp_eq_u64 s[10:11], 0
	s_cbranch_scc1 .LBB81_2
; %bb.1:
	s_abs_i32 s25, s38
	s_abs_i32 s31, s28
	s_cvt_f32_u32 s26, s25
	s_sub_co_i32 s27, 0, s25
	s_delay_alu instid0(SALU_CYCLE_2) | instskip(SKIP_1) | instid1(TRANS32_DEP_1)
	v_rcp_iflag_f32_e32 v1, s26
	v_nop
	v_readfirstlane_b32 s26, v1
	s_mul_f32 s26, s26, 0x4f7ffffe
	s_delay_alu instid0(SALU_CYCLE_3) | instskip(NEXT) | instid1(SALU_CYCLE_3)
	s_cvt_u32_f32 s26, s26
	s_mul_i32 s27, s27, s26
	s_delay_alu instid0(SALU_CYCLE_1) | instskip(NEXT) | instid1(SALU_CYCLE_1)
	s_mul_hi_u32 s27, s26, s27
	s_add_co_i32 s26, s26, s27
	s_delay_alu instid0(SALU_CYCLE_1) | instskip(SKIP_2) | instid1(SALU_CYCLE_1)
	s_mul_hi_u32 s33, s31, s26
	s_load_b64 s[26:27], s[0:1], 0xc8
	s_mul_i32 s33, s33, s25
	s_sub_co_i32 s31, s31, s33
	s_ashr_i32 s33, s28, 31
	s_sub_co_i32 s34, s31, s25
	s_cmp_ge_u32 s31, s25
	s_cselect_b32 s31, s34, s31
	s_delay_alu instid0(SALU_CYCLE_1) | instskip(SKIP_2) | instid1(SALU_CYCLE_1)
	s_sub_co_i32 s34, s31, s25
	s_cmp_ge_u32 s31, s25
	s_cselect_b32 s25, s34, s31
	s_xor_b32 s25, s25, s33
	s_delay_alu instid0(SALU_CYCLE_1) | instskip(NEXT) | instid1(SALU_CYCLE_1)
	s_sub_co_i32 s34, s25, s33
	s_ashr_i32 s35, s34, 31
	s_wait_kmcnt 0x0
	s_mul_u64 s[26:27], s[26:27], s[34:35]
	s_delay_alu instid0(SALU_CYCLE_1)
	s_add_nc_u64 s[34:35], s[10:11], s[26:27]
.LBB81_2:
	s_bfe_u32 s10, ttmp6, 0x4000c
	v_bfe_u32 v24, v0, 10, 10
	s_add_co_i32 s10, s10, 1
	s_and_b32 s11, ttmp6, 15
	s_mul_i32 s10, ttmp9, s10
	s_load_b96 s[40:42], s[0:1], 0x70
	v_dual_lshlrev_b32 v1, 2, v24 :: v_dual_lshlrev_b32 v97, 1, v24
	s_add_co_i32 s11, s11, s10
	s_cmp_eq_u32 s24, 0
	v_and_b32_e32 v98, 0x3ff, v0
	s_cselect_b32 s10, ttmp9, s11
	v_lshlrev_b32_e32 v0, 10, v24
	s_lshl_b32 s33, s10, 4
	v_or_b32_e32 v26, 3, v1
	v_dual_lshlrev_b32 v12, 4, v98 :: v_dual_bitop2_b32 v25, 2, v1 bitop3:0x54
	v_lshlrev_b32_e32 v100, 3, v98
	s_delay_alu instid0(VALU_DEP_2) | instskip(NEXT) | instid1(VALU_DEP_1)
	v_dual_lshrrev_b32 v92, 1, v26 :: v_dual_lshrrev_b32 v94, 1, v25
	v_dual_add_nc_u32 v93, s33, v92 :: v_dual_add_nc_u32 v95, s33, v94
	s_wait_kmcnt 0x0
	s_mul_i32 s26, s2, s41
	s_ashr_i32 s45, s41, 31
	s_mov_b32 s44, s41
	v_mul_hi_u32 v4, v93, s20
	v_mul_hi_u32 v3, v95, s20
	v_add_nc_u32_e32 v99, s33, v97
	s_ashr_i32 s41, s40, 31
	s_ashr_i32 s27, s26, 31
	s_lshr_b64 s[40:41], s[40:41], 2
	s_delay_alu instid0(VALU_DEP_2) | instskip(SKIP_1) | instid1(VALU_DEP_2)
	v_dual_add_nc_u32 v4, v93, v4 :: v_dual_add_nc_u32 v3, v95, v3
	v_mul_hi_u32 v2, v99, s20
	v_dual_lshrrev_b32 v4, s21, v4 :: v_dual_lshrrev_b32 v5, s21, v3
	v_mov_b32_e32 v3, 0
	s_delay_alu instid0(VALU_DEP_2) | instskip(NEXT) | instid1(VALU_DEP_3)
	v_mul_lo_u32 v10, v4, s22
	v_mul_lo_u32 v6, v5, s22
	s_delay_alu instid0(VALU_DEP_3) | instskip(SKIP_1) | instid1(VALU_DEP_1)
	v_dual_mov_b32 v5, v3 :: v_dual_mov_b32 v7, v3
	v_add_nc_u32_e32 v2, v99, v2
	v_dual_mov_b32 v13, v3 :: v_dual_lshrrev_b32 v2, s21, v2
	s_delay_alu instid0(VALU_DEP_4) | instskip(SKIP_1) | instid1(VALU_DEP_3)
	v_sub_nc_u32_e32 v4, v95, v6
	v_sub_nc_u32_e32 v6, v93, v10
	v_mul_lo_u32 v2, v2, s22
	s_delay_alu instid0(VALU_DEP_3) | instskip(NEXT) | instid1(VALU_DEP_3)
	v_mul_u64_e32 v[4:5], s[40:41], v[4:5]
	v_mul_u64_e32 v[6:7], s[40:41], v[6:7]
	s_delay_alu instid0(VALU_DEP_3) | instskip(NEXT) | instid1(VALU_DEP_1)
	v_sub_nc_u32_e32 v2, v99, v2
	v_mul_u64_e32 v[8:9], s[40:41], v[2:3]
	s_mul_i32 s40, s28, s42
	v_add_nc_u32_e32 v3, 0x6800, v100
	s_ashr_i32 s41, s40, 31
	s_delay_alu instid0(SALU_CYCLE_1)
	s_add_nc_u64 s[4:5], s[4:5], s[40:41]
	s_and_b64 s[40:41], s[44:45], -4
	s_add_nc_u64 s[4:5], s[4:5], s[26:27]
	s_cmp_eq_u64 s[14:15], 0
	s_add_nc_u64 s[26:27], s[4:5], s[40:41]
	v_lshl_add_u64 v[4:5], v[4:5], 2, s[4:5]
	v_lshl_add_u64 v[6:7], v[6:7], 2, s[26:27]
	s_delay_alu instid0(VALU_DEP_2) | instskip(NEXT) | instid1(VALU_DEP_2)
	v_add_nc_u64_e32 v[4:5], v[4:5], v[12:13]
	v_add_nc_u64_e32 v[14:15], v[6:7], v[12:13]
	global_load_b128 v[4:7], v[4:5], off
	v_lshlrev_b64_e32 v[8:9], 2, v[8:9]
	s_delay_alu instid0(VALU_DEP_1) | instskip(SKIP_2) | instid1(VALU_DEP_2)
	v_add_nc_u64_e32 v[10:11], s[4:5], v[8:9]
	v_add_nc_u64_e32 v[16:17], s[26:27], v[8:9]
	s_load_b32 s4, s[0:1], 0x40
	v_add_nc_u64_e32 v[20:21], v[10:11], v[12:13]
	s_delay_alu instid0(VALU_DEP_2)
	v_add_nc_u64_e32 v[22:23], v[16:17], v[12:13]
	s_clause 0x2
	global_load_b128 v[8:11], v[14:15], off
	global_load_b128 v[12:15], v[20:21], off
	;; [unrolled: 1-line block ×3, first 2 shown]
	s_wait_xcnt 0x1
	v_lshl_add_u32 v21, v25, 8, v3
	s_wait_loadcnt 0x3
	s_wait_kmcnt 0x0
	v_fma_mixlo_f16 v4, s4, v4, 0
	v_fma_mixlo_f16 v5, s4, v5, 0
	;; [unrolled: 1-line block ×4, first 2 shown]
	v_add_nc_u32_e32 v20, v3, v0
	v_lshl_add_u32 v3, v26, 8, v3
	v_lshlrev_b32_e32 v5, 16, v5
	v_and_b32_e32 v4, 0xffff, v4
	v_lshlrev_b32_e32 v7, 16, v7
	v_and_b32_e32 v6, 0xffff, v6
	s_delay_alu instid0(VALU_DEP_3) | instskip(NEXT) | instid1(VALU_DEP_2)
	v_or_b32_e32 v4, v5, v4
	v_or3_b32 v5, v7, v6, 0
	s_wait_loadcnt 0x2
	v_fma_mixlo_f16 v8, s4, v8, 0
	v_fma_mixlo_f16 v9, s4, v9, 0
	;; [unrolled: 1-line block ×4, first 2 shown]
	s_wait_loadcnt 0x1
	v_fma_mixlo_f16 v12, s4, v12, 0
	v_fma_mixlo_f16 v13, s4, v13, 0
	s_wait_loadcnt 0x0
	v_fma_mixlo_f16 v16, s4, v16, 0
	v_fma_mixlo_f16 v17, s4, v17, 0
	v_dual_lshlrev_b32 v9, 16, v9 :: v_dual_lshlrev_b32 v11, 16, v11
	v_and_b32_e32 v8, 0xffff, v8
	v_fma_mixlo_f16 v14, s4, v14, 0
	v_fma_mixlo_f16 v15, s4, v15, 0
	;; [unrolled: 1-line block ×4, first 2 shown]
	v_and_b32_e32 v10, 0xffff, v10
	s_delay_alu instid0(VALU_DEP_4) | instskip(SKIP_1) | instid1(VALU_DEP_4)
	v_dual_lshlrev_b32 v13, 16, v13 :: v_dual_lshlrev_b32 v15, 16, v15
	v_and_b32_e32 v12, 0xffff, v12
	v_dual_lshlrev_b32 v17, 16, v17 :: v_dual_lshlrev_b32 v19, 16, v19
	v_and_b32_e32 v16, 0xffff, v16
	v_or_b32_e32 v6, v9, v8
	v_and_b32_e32 v14, 0xffff, v14
	v_and_b32_e32 v18, 0xffff, v18
	v_or3_b32 v7, v11, v10, 0
	v_or_b32_e32 v8, v13, v12
	v_or_b32_e32 v10, v17, v16
	v_or3_b32 v4, 0, 0, v4
	v_or3_b32 v6, 0, 0, v6
	;; [unrolled: 1-line block ×6, first 2 shown]
	ds_store_b64 v21, v[4:5]
	ds_store_b64 v3, v[6:7]
	ds_store_2addr_b64 v20, v[8:9], v[10:11] offset1:32
	s_wait_dscnt 0x0
	s_barrier_signal -1
	s_barrier_wait -1
	s_cbranch_scc1 .LBB81_4
; %bb.3:
	s_load_b32 s4, s[0:1], 0xd0
	s_wait_kmcnt 0x0
	s_mul_i32 s4, s4, s28
	s_delay_alu instid0(SALU_CYCLE_1)
	s_add_co_i32 s4, s4, s10
	s_load_b32 s30, s[14:15], s4 offset:0x0 scale_offset
.LBB81_4:
	s_wait_xcnt 0x0
	s_bfe_u32 s4, ttmp6, 0x40010
	s_and_b32 s5, ttmp7, 0xffff
	s_add_co_i32 s4, s4, 1
	s_bfe_u32 s10, ttmp6, 0x40004
	s_mul_i32 s4, s5, s4
	v_mbcnt_lo_u32_b32 v101, -1, 0
	s_add_co_i32 s10, s10, s4
	s_cmp_eq_u32 s24, 0
	s_cselect_b32 s31, s5, s10
	s_mov_b32 s5, 0
	s_lshl_b32 s4, s31, 7
	s_wait_kmcnt 0x0
	s_cmp_lt_i32 s4, s30
	s_cbranch_scc1 .LBB81_7
; %bb.5:
	v_mbcnt_lo_u32_b32 v4, -1, 0
	s_delay_alu instid0(VALU_DEP_1)
	v_dual_mov_b32 v102, 32 :: v_dual_bitop2_b32 v120, 16, v4 bitop3:0x14
	v_xor_b32_e32 v119, 8, v4
	v_xor_b32_e32 v118, 4, v4
	;; [unrolled: 1-line block ×3, first 2 shown]
	v_dual_lshlrev_b32 v96, 2, v98 :: v_dual_bitop2_b32 v116, 1, v4 bitop3:0x14
	s_and_not1_b32 vcc_lo, exec_lo, s5
	s_cbranch_vccz .LBB81_8
; %bb.6:
	v_dual_mov_b32 v38, 0 :: v_dual_mov_b32 v71, 0
	v_dual_mov_b32 v3, 0xfeffffff :: v_dual_mov_b32 v2, 0xfeffffff
	;; [unrolled: 1-line block ×3, first 2 shown]
	s_delay_alu instid0(VALU_DEP_3)
	v_dual_mov_b32 v70, v71 :: v_dual_mov_b32 v73, v71
	v_dual_mov_b32 v72, v71 :: v_dual_mov_b32 v39, 0
	;; [unrolled: 1-line block ×5, first 2 shown]
	s_branch .LBB81_76
.LBB81_7:
                                        ; implicit-def: $vgpr4
                                        ; implicit-def: $vgpr102
                                        ; implicit-def: $vgpr120
                                        ; implicit-def: $vgpr119
                                        ; implicit-def: $vgpr118
                                        ; implicit-def: $vgpr117
                                        ; implicit-def: $vgpr116
	v_lshlrev_b32_e32 v96, 2, v98
.LBB81_8:
	s_clause 0x1
	s_load_b128 s[24:27], s[0:1], 0x98
	s_load_b64 s[14:15], s[0:1], 0x8c
	v_dual_mov_b32 v69, 0 :: v_dual_lshrrev_b32 v3, 3, v98
	v_add3_u32 v68, s33, v97, 1
	s_mul_f32 s5, s36, 0x4f7ffffe
	s_mov_b32 s40, s20
	s_mov_b32 s41, s37
	s_sub_co_i32 s10, 0, s3
	s_cvt_u32_f32 s5, s5
	v_mul_u64_e32 v[4:5], s[40:41], v[68:69]
	s_abs_i32 s36, s2
	s_mov_b32 s11, s37
	s_mul_i32 s10, s10, s5
	s_ashr_i32 s42, s2, 31
	s_mul_hi_u32 s10, s5, s10
	s_ashr_i32 s43, s29, 31
	s_add_co_i32 s10, s5, s10
	v_dual_add_nc_u32 v1, v3, v1 :: v_dual_bitop2_b32 v4, 28, v96 bitop3:0x40
	s_mul_u64 s[10:11], s[36:37], s[10:11]
	s_wait_kmcnt 0x0
	s_ashr_i32 s10, s26, 2
	s_mul_i32 s26, s11, s3
	s_ashr_i32 s20, s39, 1
	s_sub_co_i32 s26, s36, s26
	s_ashr_i32 s14, s14, 2
	s_ashr_i32 s29, s28, 31
	s_xor_b32 s5, s42, s43
	s_add_co_i32 s36, s11, 1
	s_sub_co_i32 s37, s26, s3
	s_cmp_ge_u32 s26, s3
	v_mul_lo_u32 v74, s14, v1
	s_cselect_b32 s11, s36, s11
	s_cselect_b32 s26, s37, s26
	s_add_co_i32 s36, s11, 1
	s_cmp_ge_u32 s26, s3
	v_dual_lshlrev_b32 v3, 2, v4 :: v_dual_lshrrev_b32 v6, 4, v98
	s_cselect_b32 s11, s36, s11
	s_mul_u64 s[24:25], s[24:25], s[28:29]
	s_xor_b32 s11, s11, s5
	s_add_nc_u64 s[6:7], s[6:7], s[24:25]
	s_sub_co_i32 s5, s11, s5
	v_mad_u32_u24 v103, 0x90, v1, v3
	s_mul_i32 s24, s5, s15
	s_mul_i32 s26, s5, s27
	s_lshl_b32 s5, s14, 5
	v_dual_ashrrev_i32 v75, 31, v74 :: v_dual_add_nc_u32 v1, v6, v97
	v_dual_add_nc_u32 v5, v68, v5 :: v_dual_add_nc_u32 v76, s5, v74
	s_clause 0x1
	s_load_b64 s[38:39], s[0:1], 0xa8
	s_load_b32 s3, s[0:1], 0x54
	v_mul_lo_u32 v6, s10, v1
	v_dual_lshrrev_b32 v3, s21, v5 :: v_dual_add_nc_u32 v78, s5, v76
	v_ashrrev_i32_e32 v77, 31, v76
	v_and_b32_e32 v8, 60, v96
	v_mul_lo_u32 v109, v2, s20
	s_delay_alu instid0(VALU_DEP_4) | instskip(SKIP_4) | instid1(VALU_DEP_3)
	v_mul_lo_u32 v3, v3, s22
	v_add_nc_u32_e32 v80, s5, v78
	s_lshl_b32 s5, s10, 4
	v_ashrrev_i32_e32 v79, 31, v78
	v_dual_mov_b32 v32, v69 :: v_dual_add_nc_u32 v107, 0x6800, v0
	v_dual_ashrrev_i32 v81, 31, v80 :: v_dual_add_nc_u32 v10, s5, v6
	v_lshlrev_b32_e32 v5, 2, v8
	v_dual_mov_b32 v35, v69 :: v_dual_add_nc_u32 v112, 0x4800, v0
	s_delay_alu instid0(VALU_DEP_3) | instskip(SKIP_1) | instid1(VALU_DEP_4)
	v_dual_sub_nc_u32 v3, v68, v3 :: v_dual_add_nc_u32 v2, s5, v10
	v_ashrrev_i32_e32 v11, 31, v10
	v_lshl_or_b32 v110, v1, 8, v5
	s_wait_kmcnt 0x0
	s_mul_u64 s[36:37], s[38:39], s[28:29]
	v_mul_lo_u32 v111, v3, s20
	v_dual_add_nc_u32 v0, s5, v2 :: v_dual_ashrrev_i32 v3, 31, v2
	v_ashrrev_i32_e32 v7, 31, v6
	v_lshlrev_b64_e32 v[86:87], 2, v[10:11]
	v_dual_mov_b32 v83, v69 :: v_dual_add_nc_u32 v104, 0x1200, v103
	s_delay_alu instid0(VALU_DEP_4) | instskip(NEXT) | instid1(VALU_DEP_4)
	v_ashrrev_i32_e32 v1, 31, v0
	v_lshlrev_b64_e32 v[84:85], 2, v[6:7]
	v_lshlrev_b64_e32 v[88:89], 2, v[2:3]
	v_dual_mov_b32 v102, 32 :: v_dual_add_nc_u32 v105, 0x2400, v103
	s_delay_alu instid0(VALU_DEP_4)
	v_lshlrev_b64_e32 v[90:91], 2, v[0:1]
	v_dual_mov_b32 v33, v69 :: v_dual_add_nc_u32 v106, 0x3600, v103
	v_mul_u32_u24_e32 v108, 0x90, v98
	v_dual_mov_b32 v34, v69 :: v_dual_add_nc_u32 v113, 0x1000, v110
	v_dual_mov_b32 v37, v69 :: v_dual_add_nc_u32 v114, 0x2000, v110
	;; [unrolled: 1-line block ×3, first 2 shown]
	v_dual_mov_b32 v42, 0xfeffffff :: v_dual_mov_b32 v39, v69
	v_dual_lshlrev_b32 v82, 2, v4 :: v_dual_mov_b32 v38, v69
	v_dual_mov_b32 v43, 0xfeffffff :: v_dual_lshlrev_b32 v68, 2, v8
	v_dual_mov_b32 v41, 0xfeffffff :: v_dual_mov_b32 v40, 0xfeffffff
	v_dual_mov_b32 v72, v69 :: v_dual_mov_b32 v73, v69
	;; [unrolled: 1-line block ×3, first 2 shown]
	s_ashr_i32 s25, s24, 31
	s_add_nc_u64 s[8:9], s[8:9], s[36:37]
	s_ashr_i32 s27, s26, 31
	s_add_nc_u64 s[6:7], s[6:7], s[24:25]
	s_add_nc_u64 s[8:9], s[8:9], s[26:27]
	s_ashr_i32 s15, s14, 31
	s_ashr_i32 s11, s10, 31
	s_add_nc_u64 s[20:21], s[0:1], 0xd0
	s_mov_b32 s24, 0xbbbac73d
.LBB81_9:                               ; =>This Inner Loop Header: Depth=1
	s_ashr_i32 s5, s4, 31
	v_dual_mov_b32 v56, 0 :: v_dual_mov_b32 v44, 0
	s_mul_u64 s[26:27], s[4:5], s[14:15]
	v_dual_mov_b32 v46, 0 :: v_dual_mov_b32 v49, 0
	s_lshl_b64 s[26:27], s[26:27], 2
	v_dual_mov_b32 v57, 0 :: v_dual_mov_b32 v45, 0
	s_add_nc_u64 s[26:27], s[6:7], s[26:27]
	v_dual_mov_b32 v51, 0 :: v_dual_mov_b32 v50, 0
	v_lshl_add_u64 v[0:1], v[74:75], 2, s[26:27]
	v_lshl_add_u64 v[2:3], v[76:77], 2, s[26:27]
	;; [unrolled: 1-line block ×4, first 2 shown]
	v_dual_mov_b32 v58, 0 :: v_dual_mov_b32 v47, 0
	v_add_nc_u64_e32 v[0:1], v[0:1], v[82:83]
	v_add_nc_u64_e32 v[2:3], v[2:3], v[82:83]
	;; [unrolled: 1-line block ×4, first 2 shown]
	s_clause 0x3
	global_load_b128 v[8:11], v[0:1], off
	global_load_b128 v[12:15], v[2:3], off
	;; [unrolled: 1-line block ×4, first 2 shown]
	v_dual_mov_b32 v52, 0 :: v_dual_mov_b32 v53, 0
	v_dual_mov_b32 v59, 0 :: v_dual_mov_b32 v48, 0
	;; [unrolled: 1-line block ×3, first 2 shown]
	s_wait_loadcnt 0x3
	ds_store_b128 v103, v[8:11]
	s_wait_loadcnt 0x2
	ds_store_b128 v104, v[12:15]
	;; [unrolled: 2-line block ×4, first 2 shown]
	s_wait_dscnt 0x0
	s_barrier_signal -1
	s_barrier_wait -1
	ds_load_b128 v[8:11], v108
	ds_load_b128 v[12:15], v107
	ds_load_b128 v[16:19], v107 offset:256
	ds_load_b128 v[20:23], v107 offset:512
	ds_load_b128 v[24:27], v107 offset:768
	ds_load_b128 v[28:31], v108 offset:4608
	ds_load_b128 v[60:63], v108 offset:9216
	ds_load_b128 v[64:67], v108 offset:13824
	s_wait_dscnt 0x6
	;;#ASMSTART
	v_dot2_f32_f16 v56, v8, v12, v56
	;;#ASMEND
	;;#ASMSTART
	v_dot2_f32_f16 v56, v9, v13, v56
	;;#ASMEND
	;;#ASMSTART
	v_dot2_f32_f16 v56, v10, v14, v56
	;;#ASMEND
	;;#ASMSTART
	v_dot2_f32_f16 v56, v11, v15, v56
	;;#ASMEND
	s_wait_dscnt 0x5
	;;#ASMSTART
	v_dot2_f32_f16 v44, v8, v16, v44
	;;#ASMEND
	;;#ASMSTART
	v_dot2_f32_f16 v44, v9, v17, v44
	;;#ASMEND
	;;#ASMSTART
	v_dot2_f32_f16 v44, v10, v18, v44
	;;#ASMEND
	;;#ASMSTART
	v_dot2_f32_f16 v44, v11, v19, v44
	;;#ASMEND
	;; [unrolled: 13-line block ×5, first 2 shown]
	;;#ASMSTART
	v_dot2_f32_f16 v45, v28, v16, v45
	;;#ASMEND
	;;#ASMSTART
	v_dot2_f32_f16 v45, v29, v17, v45
	;;#ASMEND
	;; [unrolled: 3-line block ×12, first 2 shown]
	s_wait_dscnt 0x1
	;;#ASMSTART
	v_dot2_f32_f16 v58, v60, v12, v58
	;;#ASMEND
	;;#ASMSTART
	v_dot2_f32_f16 v58, v61, v13, v58
	;;#ASMEND
	;; [unrolled: 3-line block ×16, first 2 shown]
	s_wait_dscnt 0x0
	;;#ASMSTART
	v_dot2_f32_f16 v59, v64, v12, v59
	;;#ASMEND
	;;#ASMSTART
	v_dot2_f32_f16 v59, v65, v13, v59
	;;#ASMEND
	;; [unrolled: 3-line block ×16, first 2 shown]
	ds_load_b128 v[8:11], v108 offset:16
	ds_load_b128 v[12:15], v107 offset:16
	;; [unrolled: 1-line block ×8, first 2 shown]
	s_wait_dscnt 0x6
	;;#ASMSTART
	v_dot2_f32_f16 v56, v8, v12, v56
	;;#ASMEND
	;;#ASMSTART
	v_dot2_f32_f16 v56, v9, v13, v56
	;;#ASMEND
	;;#ASMSTART
	v_dot2_f32_f16 v56, v10, v14, v56
	;;#ASMEND
	;;#ASMSTART
	v_dot2_f32_f16 v56, v11, v15, v56
	;;#ASMEND
	s_wait_dscnt 0x5
	;;#ASMSTART
	v_dot2_f32_f16 v44, v8, v16, v44
	;;#ASMEND
	;;#ASMSTART
	v_dot2_f32_f16 v44, v9, v17, v44
	;;#ASMEND
	;;#ASMSTART
	v_dot2_f32_f16 v44, v10, v18, v44
	;;#ASMEND
	;;#ASMSTART
	v_dot2_f32_f16 v44, v11, v19, v44
	;;#ASMEND
	;; [unrolled: 13-line block ×5, first 2 shown]
	;;#ASMSTART
	v_dot2_f32_f16 v45, v28, v16, v45
	;;#ASMEND
	;;#ASMSTART
	v_dot2_f32_f16 v45, v29, v17, v45
	;;#ASMEND
	;; [unrolled: 3-line block ×12, first 2 shown]
	s_wait_dscnt 0x1
	;;#ASMSTART
	v_dot2_f32_f16 v58, v60, v12, v58
	;;#ASMEND
	;;#ASMSTART
	v_dot2_f32_f16 v58, v61, v13, v58
	;;#ASMEND
	;; [unrolled: 3-line block ×16, first 2 shown]
	s_wait_dscnt 0x0
	;;#ASMSTART
	v_dot2_f32_f16 v59, v64, v12, v59
	;;#ASMEND
	;;#ASMSTART
	v_dot2_f32_f16 v59, v65, v13, v59
	;;#ASMEND
	;; [unrolled: 3-line block ×16, first 2 shown]
	ds_load_b128 v[8:11], v108 offset:32
	ds_load_b128 v[12:15], v107 offset:32
	;; [unrolled: 1-line block ×8, first 2 shown]
	s_wait_dscnt 0x6
	;;#ASMSTART
	v_dot2_f32_f16 v56, v8, v12, v56
	;;#ASMEND
	;;#ASMSTART
	v_dot2_f32_f16 v56, v9, v13, v56
	;;#ASMEND
	;;#ASMSTART
	v_dot2_f32_f16 v56, v10, v14, v56
	;;#ASMEND
	;;#ASMSTART
	v_dot2_f32_f16 v56, v11, v15, v56
	;;#ASMEND
	s_wait_dscnt 0x5
	;;#ASMSTART
	v_dot2_f32_f16 v44, v8, v16, v44
	;;#ASMEND
	;;#ASMSTART
	v_dot2_f32_f16 v44, v9, v17, v44
	;;#ASMEND
	;;#ASMSTART
	v_dot2_f32_f16 v44, v10, v18, v44
	;;#ASMEND
	;;#ASMSTART
	v_dot2_f32_f16 v44, v11, v19, v44
	;;#ASMEND
	;; [unrolled: 13-line block ×5, first 2 shown]
	;;#ASMSTART
	v_dot2_f32_f16 v45, v28, v16, v45
	;;#ASMEND
	;;#ASMSTART
	v_dot2_f32_f16 v45, v29, v17, v45
	;;#ASMEND
	;; [unrolled: 3-line block ×12, first 2 shown]
	s_wait_dscnt 0x1
	;;#ASMSTART
	v_dot2_f32_f16 v58, v60, v12, v58
	;;#ASMEND
	;;#ASMSTART
	v_dot2_f32_f16 v58, v61, v13, v58
	;;#ASMEND
	;; [unrolled: 3-line block ×16, first 2 shown]
	s_wait_dscnt 0x0
	;;#ASMSTART
	v_dot2_f32_f16 v59, v64, v12, v59
	;;#ASMEND
	;;#ASMSTART
	v_dot2_f32_f16 v59, v65, v13, v59
	;;#ASMEND
	;; [unrolled: 3-line block ×16, first 2 shown]
	ds_load_b128 v[8:11], v108 offset:48
	ds_load_b128 v[12:15], v107 offset:48
	;; [unrolled: 1-line block ×8, first 2 shown]
	s_wait_dscnt 0x6
	;;#ASMSTART
	v_dot2_f32_f16 v56, v8, v12, v56
	;;#ASMEND
	;;#ASMSTART
	v_dot2_f32_f16 v56, v9, v13, v56
	;;#ASMEND
	;;#ASMSTART
	v_dot2_f32_f16 v56, v10, v14, v56
	;;#ASMEND
	;;#ASMSTART
	v_dot2_f32_f16 v56, v11, v15, v56
	;;#ASMEND
	s_wait_dscnt 0x5
	;;#ASMSTART
	v_dot2_f32_f16 v44, v8, v16, v44
	;;#ASMEND
	;;#ASMSTART
	v_dot2_f32_f16 v44, v9, v17, v44
	;;#ASMEND
	;;#ASMSTART
	v_dot2_f32_f16 v44, v10, v18, v44
	;;#ASMEND
	;;#ASMSTART
	v_dot2_f32_f16 v44, v11, v19, v44
	;;#ASMEND
	;; [unrolled: 13-line block ×5, first 2 shown]
	;;#ASMSTART
	v_dot2_f32_f16 v45, v28, v16, v45
	;;#ASMEND
	;;#ASMSTART
	v_dot2_f32_f16 v45, v29, v17, v45
	;;#ASMEND
	;; [unrolled: 3-line block ×12, first 2 shown]
	s_wait_dscnt 0x1
	;;#ASMSTART
	v_dot2_f32_f16 v58, v60, v12, v58
	;;#ASMEND
	;;#ASMSTART
	v_dot2_f32_f16 v58, v61, v13, v58
	;;#ASMEND
	;; [unrolled: 3-line block ×16, first 2 shown]
	s_wait_dscnt 0x0
	;;#ASMSTART
	v_dot2_f32_f16 v59, v64, v12, v59
	;;#ASMEND
	;;#ASMSTART
	v_dot2_f32_f16 v59, v65, v13, v59
	;;#ASMEND
	;;#ASMSTART
	v_dot2_f32_f16 v59, v66, v14, v59
	;;#ASMEND
	;;#ASMSTART
	v_dot2_f32_f16 v59, v67, v15, v59
	;;#ASMEND
	;;#ASMSTART
	v_dot2_f32_f16 v48, v64, v16, v48
	;;#ASMEND
	;;#ASMSTART
	v_dot2_f32_f16 v48, v65, v17, v48
	;;#ASMEND
	;;#ASMSTART
	v_dot2_f32_f16 v48, v66, v18, v48
	;;#ASMEND
	;;#ASMSTART
	v_dot2_f32_f16 v48, v67, v19, v48
	;;#ASMEND
	;;#ASMSTART
	v_dot2_f32_f16 v55, v64, v20, v55
	;;#ASMEND
	;;#ASMSTART
	v_dot2_f32_f16 v55, v65, v21, v55
	;;#ASMEND
	;;#ASMSTART
	v_dot2_f32_f16 v55, v66, v22, v55
	;;#ASMEND
	;;#ASMSTART
	v_dot2_f32_f16 v55, v67, v23, v55
	;;#ASMEND
	;;#ASMSTART
	v_dot2_f32_f16 v54, v64, v24, v54
	;;#ASMEND
	;;#ASMSTART
	v_dot2_f32_f16 v54, v65, v25, v54
	;;#ASMEND
	;;#ASMSTART
	v_dot2_f32_f16 v54, v66, v26, v54
	;;#ASMEND
	;;#ASMSTART
	v_dot2_f32_f16 v54, v67, v27, v54
	;;#ASMEND
	ds_load_b128 v[8:11], v108 offset:64
	ds_load_b128 v[12:15], v107 offset:64
	ds_load_b128 v[16:19], v107 offset:320
	ds_load_b128 v[20:23], v107 offset:576
	ds_load_b128 v[24:27], v107 offset:832
	ds_load_b128 v[28:31], v108 offset:4672
	ds_load_b128 v[60:63], v108 offset:9280
	ds_load_b128 v[64:67], v108 offset:13888
	s_wait_dscnt 0x6
	;;#ASMSTART
	v_dot2_f32_f16 v56, v8, v12, v56
	;;#ASMEND
	;;#ASMSTART
	v_dot2_f32_f16 v56, v9, v13, v56
	;;#ASMEND
	;;#ASMSTART
	v_dot2_f32_f16 v56, v10, v14, v56
	;;#ASMEND
	;;#ASMSTART
	v_dot2_f32_f16 v56, v11, v15, v56
	;;#ASMEND
	s_wait_dscnt 0x5
	;;#ASMSTART
	v_dot2_f32_f16 v44, v8, v16, v44
	;;#ASMEND
	;;#ASMSTART
	v_dot2_f32_f16 v44, v9, v17, v44
	;;#ASMEND
	;;#ASMSTART
	v_dot2_f32_f16 v44, v10, v18, v44
	;;#ASMEND
	;;#ASMSTART
	v_dot2_f32_f16 v44, v11, v19, v44
	;;#ASMEND
	;; [unrolled: 13-line block ×5, first 2 shown]
	;;#ASMSTART
	v_dot2_f32_f16 v45, v28, v16, v45
	;;#ASMEND
	;;#ASMSTART
	v_dot2_f32_f16 v45, v29, v17, v45
	;;#ASMEND
	;; [unrolled: 3-line block ×12, first 2 shown]
	s_wait_dscnt 0x1
	;;#ASMSTART
	v_dot2_f32_f16 v58, v60, v12, v58
	;;#ASMEND
	;;#ASMSTART
	v_dot2_f32_f16 v58, v61, v13, v58
	;;#ASMEND
	;; [unrolled: 3-line block ×16, first 2 shown]
	s_wait_dscnt 0x0
	;;#ASMSTART
	v_dot2_f32_f16 v59, v64, v12, v59
	;;#ASMEND
	;;#ASMSTART
	v_dot2_f32_f16 v59, v65, v13, v59
	;;#ASMEND
	;; [unrolled: 3-line block ×16, first 2 shown]
	ds_load_b128 v[8:11], v108 offset:80
	ds_load_b128 v[12:15], v107 offset:80
	;; [unrolled: 1-line block ×8, first 2 shown]
	s_wait_dscnt 0x6
	;;#ASMSTART
	v_dot2_f32_f16 v56, v8, v12, v56
	;;#ASMEND
	;;#ASMSTART
	v_dot2_f32_f16 v56, v9, v13, v56
	;;#ASMEND
	;;#ASMSTART
	v_dot2_f32_f16 v56, v10, v14, v56
	;;#ASMEND
	;;#ASMSTART
	v_dot2_f32_f16 v56, v11, v15, v56
	;;#ASMEND
	s_wait_dscnt 0x5
	;;#ASMSTART
	v_dot2_f32_f16 v44, v8, v16, v44
	;;#ASMEND
	;;#ASMSTART
	v_dot2_f32_f16 v44, v9, v17, v44
	;;#ASMEND
	;;#ASMSTART
	v_dot2_f32_f16 v44, v10, v18, v44
	;;#ASMEND
	;;#ASMSTART
	v_dot2_f32_f16 v44, v11, v19, v44
	;;#ASMEND
	;; [unrolled: 13-line block ×5, first 2 shown]
	;;#ASMSTART
	v_dot2_f32_f16 v45, v28, v16, v45
	;;#ASMEND
	;;#ASMSTART
	v_dot2_f32_f16 v45, v29, v17, v45
	;;#ASMEND
	;; [unrolled: 3-line block ×12, first 2 shown]
	s_wait_dscnt 0x1
	;;#ASMSTART
	v_dot2_f32_f16 v58, v60, v12, v58
	;;#ASMEND
	;;#ASMSTART
	v_dot2_f32_f16 v58, v61, v13, v58
	;;#ASMEND
	;; [unrolled: 3-line block ×16, first 2 shown]
	s_wait_dscnt 0x0
	;;#ASMSTART
	v_dot2_f32_f16 v59, v64, v12, v59
	;;#ASMEND
	;;#ASMSTART
	v_dot2_f32_f16 v59, v65, v13, v59
	;;#ASMEND
	;; [unrolled: 3-line block ×16, first 2 shown]
	ds_load_b128 v[8:11], v108 offset:96
	ds_load_b128 v[12:15], v107 offset:96
	;; [unrolled: 1-line block ×8, first 2 shown]
	s_wait_dscnt 0x6
	;;#ASMSTART
	v_dot2_f32_f16 v56, v8, v12, v56
	;;#ASMEND
	;;#ASMSTART
	v_dot2_f32_f16 v56, v9, v13, v56
	;;#ASMEND
	;;#ASMSTART
	v_dot2_f32_f16 v56, v10, v14, v56
	;;#ASMEND
	;;#ASMSTART
	v_dot2_f32_f16 v56, v11, v15, v56
	;;#ASMEND
	s_wait_dscnt 0x5
	;;#ASMSTART
	v_dot2_f32_f16 v44, v8, v16, v44
	;;#ASMEND
	;;#ASMSTART
	v_dot2_f32_f16 v44, v9, v17, v44
	;;#ASMEND
	;;#ASMSTART
	v_dot2_f32_f16 v44, v10, v18, v44
	;;#ASMEND
	;;#ASMSTART
	v_dot2_f32_f16 v44, v11, v19, v44
	;;#ASMEND
	;; [unrolled: 13-line block ×5, first 2 shown]
	;;#ASMSTART
	v_dot2_f32_f16 v45, v28, v16, v45
	;;#ASMEND
	;;#ASMSTART
	v_dot2_f32_f16 v45, v29, v17, v45
	;;#ASMEND
	;; [unrolled: 3-line block ×12, first 2 shown]
	s_wait_dscnt 0x1
	;;#ASMSTART
	v_dot2_f32_f16 v58, v60, v12, v58
	;;#ASMEND
	;;#ASMSTART
	v_dot2_f32_f16 v58, v61, v13, v58
	;;#ASMEND
	;; [unrolled: 3-line block ×16, first 2 shown]
	s_wait_dscnt 0x0
	;;#ASMSTART
	v_dot2_f32_f16 v59, v64, v12, v59
	;;#ASMEND
	;;#ASMSTART
	v_dot2_f32_f16 v59, v65, v13, v59
	;;#ASMEND
	;;#ASMSTART
	v_dot2_f32_f16 v59, v66, v14, v59
	;;#ASMEND
	;;#ASMSTART
	v_dot2_f32_f16 v59, v67, v15, v59
	;;#ASMEND
	;;#ASMSTART
	v_dot2_f32_f16 v48, v64, v16, v48
	;;#ASMEND
	;;#ASMSTART
	v_dot2_f32_f16 v48, v65, v17, v48
	;;#ASMEND
	;;#ASMSTART
	v_dot2_f32_f16 v48, v66, v18, v48
	;;#ASMEND
	;;#ASMSTART
	v_dot2_f32_f16 v48, v67, v19, v48
	;;#ASMEND
	;;#ASMSTART
	v_dot2_f32_f16 v55, v64, v20, v55
	;;#ASMEND
	;;#ASMSTART
	v_dot2_f32_f16 v55, v65, v21, v55
	;;#ASMEND
	;;#ASMSTART
	v_dot2_f32_f16 v55, v66, v22, v55
	;;#ASMEND
	;;#ASMSTART
	v_dot2_f32_f16 v55, v67, v23, v55
	;;#ASMEND
	;;#ASMSTART
	v_dot2_f32_f16 v54, v64, v24, v54
	;;#ASMEND
	;;#ASMSTART
	v_dot2_f32_f16 v54, v65, v25, v54
	;;#ASMEND
	;;#ASMSTART
	v_dot2_f32_f16 v54, v66, v26, v54
	;;#ASMEND
	;;#ASMSTART
	v_dot2_f32_f16 v54, v67, v27, v54
	;;#ASMEND
	ds_load_b128 v[8:11], v108 offset:112
	ds_load_b128 v[12:15], v107 offset:112
	;; [unrolled: 1-line block ×8, first 2 shown]
	s_wait_dscnt 0x6
	;;#ASMSTART
	v_dot2_f32_f16 v56, v8, v12, v56
	;;#ASMEND
	;;#ASMSTART
	v_dot2_f32_f16 v56, v9, v13, v56
	;;#ASMEND
	;;#ASMSTART
	v_dot2_f32_f16 v56, v10, v14, v56
	;;#ASMEND
	;;#ASMSTART
	v_dot2_f32_f16 v56, v11, v15, v56
	;;#ASMEND
	s_wait_dscnt 0x5
	;;#ASMSTART
	v_dot2_f32_f16 v44, v8, v16, v44
	;;#ASMEND
	;;#ASMSTART
	v_dot2_f32_f16 v44, v9, v17, v44
	;;#ASMEND
	;;#ASMSTART
	v_dot2_f32_f16 v44, v10, v18, v44
	;;#ASMEND
	;;#ASMSTART
	v_dot2_f32_f16 v44, v11, v19, v44
	;;#ASMEND
	;; [unrolled: 13-line block ×5, first 2 shown]
	;;#ASMSTART
	v_dot2_f32_f16 v45, v28, v16, v45
	;;#ASMEND
	;;#ASMSTART
	v_dot2_f32_f16 v45, v29, v17, v45
	;;#ASMEND
	;; [unrolled: 3-line block ×12, first 2 shown]
	s_wait_dscnt 0x1
	;;#ASMSTART
	v_dot2_f32_f16 v58, v60, v12, v58
	;;#ASMEND
	;;#ASMSTART
	v_dot2_f32_f16 v58, v61, v13, v58
	;;#ASMEND
	;; [unrolled: 3-line block ×16, first 2 shown]
	s_wait_dscnt 0x0
	;;#ASMSTART
	v_dot2_f32_f16 v59, v64, v12, v59
	;;#ASMEND
	;;#ASMSTART
	v_dot2_f32_f16 v59, v65, v13, v59
	;;#ASMEND
	;; [unrolled: 3-line block ×16, first 2 shown]
	s_barrier_signal -1
	s_barrier_wait -1
	s_clause 0x3
	global_load_b128 v[8:11], v[0:1], off offset:128
	global_load_b128 v[12:15], v[2:3], off offset:128
	;; [unrolled: 1-line block ×4, first 2 shown]
	s_wait_loadcnt 0x3
	ds_store_b128 v103, v[8:11]
	s_wait_loadcnt 0x2
	ds_store_b128 v104, v[12:15]
	;; [unrolled: 2-line block ×4, first 2 shown]
	s_wait_dscnt 0x0
	s_barrier_signal -1
	s_barrier_wait -1
	ds_load_b128 v[0:3], v108
	ds_load_b128 v[4:7], v107 offset:128
	ds_load_b128 v[8:11], v107 offset:384
	ds_load_b128 v[12:15], v107 offset:640
	ds_load_b128 v[16:19], v107 offset:896
	ds_load_b128 v[20:23], v108 offset:4608
	ds_load_b128 v[24:27], v108 offset:9216
	ds_load_b128 v[28:31], v108 offset:13824
	s_wait_dscnt 0x6
	;;#ASMSTART
	v_dot2_f32_f16 v56, v0, v4, v56
	;;#ASMEND
	;;#ASMSTART
	v_dot2_f32_f16 v56, v1, v5, v56
	;;#ASMEND
	;;#ASMSTART
	v_dot2_f32_f16 v56, v2, v6, v56
	;;#ASMEND
	;;#ASMSTART
	v_dot2_f32_f16 v56, v3, v7, v56
	;;#ASMEND
	s_wait_dscnt 0x5
	;;#ASMSTART
	v_dot2_f32_f16 v44, v0, v8, v44
	;;#ASMEND
	;;#ASMSTART
	v_dot2_f32_f16 v44, v1, v9, v44
	;;#ASMEND
	;;#ASMSTART
	v_dot2_f32_f16 v44, v2, v10, v44
	;;#ASMEND
	;;#ASMSTART
	v_dot2_f32_f16 v44, v3, v11, v44
	;;#ASMEND
	;; [unrolled: 13-line block ×5, first 2 shown]
	;;#ASMSTART
	v_dot2_f32_f16 v45, v20, v8, v45
	;;#ASMEND
	;;#ASMSTART
	v_dot2_f32_f16 v45, v21, v9, v45
	;;#ASMEND
	;; [unrolled: 3-line block ×12, first 2 shown]
	s_wait_dscnt 0x1
	;;#ASMSTART
	v_dot2_f32_f16 v58, v24, v4, v58
	;;#ASMEND
	;;#ASMSTART
	v_dot2_f32_f16 v58, v25, v5, v58
	;;#ASMEND
	;; [unrolled: 3-line block ×16, first 2 shown]
	s_wait_dscnt 0x0
	;;#ASMSTART
	v_dot2_f32_f16 v59, v28, v4, v59
	;;#ASMEND
	;;#ASMSTART
	v_dot2_f32_f16 v59, v29, v5, v59
	;;#ASMEND
	;; [unrolled: 3-line block ×16, first 2 shown]
	ds_load_b128 v[0:3], v108 offset:16
	ds_load_b128 v[4:7], v107 offset:144
	;; [unrolled: 1-line block ×8, first 2 shown]
	s_wait_dscnt 0x6
	;;#ASMSTART
	v_dot2_f32_f16 v56, v0, v4, v56
	;;#ASMEND
	;;#ASMSTART
	v_dot2_f32_f16 v56, v1, v5, v56
	;;#ASMEND
	;;#ASMSTART
	v_dot2_f32_f16 v56, v2, v6, v56
	;;#ASMEND
	;;#ASMSTART
	v_dot2_f32_f16 v56, v3, v7, v56
	;;#ASMEND
	s_wait_dscnt 0x5
	;;#ASMSTART
	v_dot2_f32_f16 v44, v0, v8, v44
	;;#ASMEND
	;;#ASMSTART
	v_dot2_f32_f16 v44, v1, v9, v44
	;;#ASMEND
	;;#ASMSTART
	v_dot2_f32_f16 v44, v2, v10, v44
	;;#ASMEND
	;;#ASMSTART
	v_dot2_f32_f16 v44, v3, v11, v44
	;;#ASMEND
	;; [unrolled: 13-line block ×5, first 2 shown]
	;;#ASMSTART
	v_dot2_f32_f16 v45, v20, v8, v45
	;;#ASMEND
	;;#ASMSTART
	v_dot2_f32_f16 v45, v21, v9, v45
	;;#ASMEND
	;;#ASMSTART
	v_dot2_f32_f16 v45, v22, v10, v45
	;;#ASMEND
	;;#ASMSTART
	v_dot2_f32_f16 v45, v23, v11, v45
	;;#ASMEND
	;;#ASMSTART
	v_dot2_f32_f16 v51, v20, v12, v51
	;;#ASMEND
	;;#ASMSTART
	v_dot2_f32_f16 v51, v21, v13, v51
	;;#ASMEND
	;;#ASMSTART
	v_dot2_f32_f16 v51, v22, v14, v51
	;;#ASMEND
	;;#ASMSTART
	v_dot2_f32_f16 v51, v23, v15, v51
	;;#ASMEND
	;;#ASMSTART
	v_dot2_f32_f16 v50, v20, v16, v50
	;;#ASMEND
	;;#ASMSTART
	v_dot2_f32_f16 v50, v21, v17, v50
	;;#ASMEND
	;;#ASMSTART
	v_dot2_f32_f16 v50, v22, v18, v50
	;;#ASMEND
	;;#ASMSTART
	v_dot2_f32_f16 v50, v23, v19, v50
	;;#ASMEND
	s_wait_dscnt 0x1
	;;#ASMSTART
	v_dot2_f32_f16 v58, v24, v4, v58
	;;#ASMEND
	;;#ASMSTART
	v_dot2_f32_f16 v58, v25, v5, v58
	;;#ASMEND
	;; [unrolled: 3-line block ×16, first 2 shown]
	s_wait_dscnt 0x0
	;;#ASMSTART
	v_dot2_f32_f16 v59, v28, v4, v59
	;;#ASMEND
	;;#ASMSTART
	v_dot2_f32_f16 v59, v29, v5, v59
	;;#ASMEND
	;; [unrolled: 3-line block ×16, first 2 shown]
	ds_load_b128 v[0:3], v108 offset:32
	ds_load_b128 v[4:7], v107 offset:160
	;; [unrolled: 1-line block ×8, first 2 shown]
	s_wait_dscnt 0x6
	;;#ASMSTART
	v_dot2_f32_f16 v56, v0, v4, v56
	;;#ASMEND
	;;#ASMSTART
	v_dot2_f32_f16 v56, v1, v5, v56
	;;#ASMEND
	;;#ASMSTART
	v_dot2_f32_f16 v56, v2, v6, v56
	;;#ASMEND
	;;#ASMSTART
	v_dot2_f32_f16 v56, v3, v7, v56
	;;#ASMEND
	s_wait_dscnt 0x5
	;;#ASMSTART
	v_dot2_f32_f16 v44, v0, v8, v44
	;;#ASMEND
	;;#ASMSTART
	v_dot2_f32_f16 v44, v1, v9, v44
	;;#ASMEND
	;;#ASMSTART
	v_dot2_f32_f16 v44, v2, v10, v44
	;;#ASMEND
	;;#ASMSTART
	v_dot2_f32_f16 v44, v3, v11, v44
	;;#ASMEND
	;; [unrolled: 13-line block ×5, first 2 shown]
	;;#ASMSTART
	v_dot2_f32_f16 v45, v20, v8, v45
	;;#ASMEND
	;;#ASMSTART
	v_dot2_f32_f16 v45, v21, v9, v45
	;;#ASMEND
	;; [unrolled: 3-line block ×12, first 2 shown]
	s_wait_dscnt 0x1
	;;#ASMSTART
	v_dot2_f32_f16 v58, v24, v4, v58
	;;#ASMEND
	;;#ASMSTART
	v_dot2_f32_f16 v58, v25, v5, v58
	;;#ASMEND
	;; [unrolled: 3-line block ×16, first 2 shown]
	s_wait_dscnt 0x0
	;;#ASMSTART
	v_dot2_f32_f16 v59, v28, v4, v59
	;;#ASMEND
	;;#ASMSTART
	v_dot2_f32_f16 v59, v29, v5, v59
	;;#ASMEND
	;; [unrolled: 3-line block ×16, first 2 shown]
	ds_load_b128 v[0:3], v108 offset:48
	ds_load_b128 v[4:7], v107 offset:176
	;; [unrolled: 1-line block ×8, first 2 shown]
	s_wait_dscnt 0x6
	;;#ASMSTART
	v_dot2_f32_f16 v56, v0, v4, v56
	;;#ASMEND
	;;#ASMSTART
	v_dot2_f32_f16 v56, v1, v5, v56
	;;#ASMEND
	;;#ASMSTART
	v_dot2_f32_f16 v56, v2, v6, v56
	;;#ASMEND
	;;#ASMSTART
	v_dot2_f32_f16 v56, v3, v7, v56
	;;#ASMEND
	s_wait_dscnt 0x5
	;;#ASMSTART
	v_dot2_f32_f16 v44, v0, v8, v44
	;;#ASMEND
	;;#ASMSTART
	v_dot2_f32_f16 v44, v1, v9, v44
	;;#ASMEND
	;;#ASMSTART
	v_dot2_f32_f16 v44, v2, v10, v44
	;;#ASMEND
	;;#ASMSTART
	v_dot2_f32_f16 v44, v3, v11, v44
	;;#ASMEND
	;; [unrolled: 13-line block ×5, first 2 shown]
	;;#ASMSTART
	v_dot2_f32_f16 v45, v20, v8, v45
	;;#ASMEND
	;;#ASMSTART
	v_dot2_f32_f16 v45, v21, v9, v45
	;;#ASMEND
	;; [unrolled: 3-line block ×12, first 2 shown]
	s_wait_dscnt 0x1
	;;#ASMSTART
	v_dot2_f32_f16 v58, v24, v4, v58
	;;#ASMEND
	;;#ASMSTART
	v_dot2_f32_f16 v58, v25, v5, v58
	;;#ASMEND
	;; [unrolled: 3-line block ×16, first 2 shown]
	s_wait_dscnt 0x0
	;;#ASMSTART
	v_dot2_f32_f16 v59, v28, v4, v59
	;;#ASMEND
	;;#ASMSTART
	v_dot2_f32_f16 v59, v29, v5, v59
	;;#ASMEND
	;; [unrolled: 3-line block ×16, first 2 shown]
	ds_load_b128 v[0:3], v108 offset:64
	ds_load_b128 v[4:7], v107 offset:192
	;; [unrolled: 1-line block ×8, first 2 shown]
	s_wait_dscnt 0x6
	;;#ASMSTART
	v_dot2_f32_f16 v56, v0, v4, v56
	;;#ASMEND
	;;#ASMSTART
	v_dot2_f32_f16 v56, v1, v5, v56
	;;#ASMEND
	;;#ASMSTART
	v_dot2_f32_f16 v56, v2, v6, v56
	;;#ASMEND
	;;#ASMSTART
	v_dot2_f32_f16 v56, v3, v7, v56
	;;#ASMEND
	s_wait_dscnt 0x5
	;;#ASMSTART
	v_dot2_f32_f16 v44, v0, v8, v44
	;;#ASMEND
	;;#ASMSTART
	v_dot2_f32_f16 v44, v1, v9, v44
	;;#ASMEND
	;;#ASMSTART
	v_dot2_f32_f16 v44, v2, v10, v44
	;;#ASMEND
	;;#ASMSTART
	v_dot2_f32_f16 v44, v3, v11, v44
	;;#ASMEND
	;; [unrolled: 13-line block ×5, first 2 shown]
	;;#ASMSTART
	v_dot2_f32_f16 v45, v20, v8, v45
	;;#ASMEND
	;;#ASMSTART
	v_dot2_f32_f16 v45, v21, v9, v45
	;;#ASMEND
	;; [unrolled: 3-line block ×12, first 2 shown]
	s_wait_dscnt 0x1
	;;#ASMSTART
	v_dot2_f32_f16 v58, v24, v4, v58
	;;#ASMEND
	;;#ASMSTART
	v_dot2_f32_f16 v58, v25, v5, v58
	;;#ASMEND
	;; [unrolled: 3-line block ×16, first 2 shown]
	s_wait_dscnt 0x0
	;;#ASMSTART
	v_dot2_f32_f16 v59, v28, v4, v59
	;;#ASMEND
	;;#ASMSTART
	v_dot2_f32_f16 v59, v29, v5, v59
	;;#ASMEND
	;; [unrolled: 3-line block ×16, first 2 shown]
	ds_load_b128 v[0:3], v108 offset:80
	ds_load_b128 v[4:7], v107 offset:208
	;; [unrolled: 1-line block ×8, first 2 shown]
	s_wait_dscnt 0x6
	;;#ASMSTART
	v_dot2_f32_f16 v56, v0, v4, v56
	;;#ASMEND
	;;#ASMSTART
	v_dot2_f32_f16 v56, v1, v5, v56
	;;#ASMEND
	;;#ASMSTART
	v_dot2_f32_f16 v56, v2, v6, v56
	;;#ASMEND
	;;#ASMSTART
	v_dot2_f32_f16 v56, v3, v7, v56
	;;#ASMEND
	s_wait_dscnt 0x5
	;;#ASMSTART
	v_dot2_f32_f16 v44, v0, v8, v44
	;;#ASMEND
	;;#ASMSTART
	v_dot2_f32_f16 v44, v1, v9, v44
	;;#ASMEND
	;;#ASMSTART
	v_dot2_f32_f16 v44, v2, v10, v44
	;;#ASMEND
	;;#ASMSTART
	v_dot2_f32_f16 v44, v3, v11, v44
	;;#ASMEND
	s_wait_dscnt 0x4
	;;#ASMSTART
	v_dot2_f32_f16 v46, v0, v12, v46
	;;#ASMEND
	;;#ASMSTART
	v_dot2_f32_f16 v46, v1, v13, v46
	;;#ASMEND
	;;#ASMSTART
	v_dot2_f32_f16 v46, v2, v14, v46
	;;#ASMEND
	;;#ASMSTART
	v_dot2_f32_f16 v46, v3, v15, v46
	;;#ASMEND
	s_wait_dscnt 0x3
	;;#ASMSTART
	v_dot2_f32_f16 v49, v0, v16, v49
	;;#ASMEND
	;;#ASMSTART
	v_dot2_f32_f16 v49, v1, v17, v49
	;;#ASMEND
	;;#ASMSTART
	v_dot2_f32_f16 v49, v2, v18, v49
	;;#ASMEND
	;;#ASMSTART
	v_dot2_f32_f16 v49, v3, v19, v49
	;;#ASMEND
	s_wait_dscnt 0x2
	;;#ASMSTART
	v_dot2_f32_f16 v57, v20, v4, v57
	;;#ASMEND
	;;#ASMSTART
	v_dot2_f32_f16 v57, v21, v5, v57
	;;#ASMEND
	;;#ASMSTART
	v_dot2_f32_f16 v57, v22, v6, v57
	;;#ASMEND
	;;#ASMSTART
	v_dot2_f32_f16 v57, v23, v7, v57
	;;#ASMEND
	;;#ASMSTART
	v_dot2_f32_f16 v45, v20, v8, v45
	;;#ASMEND
	;;#ASMSTART
	v_dot2_f32_f16 v45, v21, v9, v45
	;;#ASMEND
	;; [unrolled: 3-line block ×12, first 2 shown]
	s_wait_dscnt 0x1
	;;#ASMSTART
	v_dot2_f32_f16 v58, v24, v4, v58
	;;#ASMEND
	;;#ASMSTART
	v_dot2_f32_f16 v58, v25, v5, v58
	;;#ASMEND
	;; [unrolled: 3-line block ×16, first 2 shown]
	s_wait_dscnt 0x0
	;;#ASMSTART
	v_dot2_f32_f16 v59, v28, v4, v59
	;;#ASMEND
	;;#ASMSTART
	v_dot2_f32_f16 v59, v29, v5, v59
	;;#ASMEND
	;; [unrolled: 3-line block ×16, first 2 shown]
	ds_load_b128 v[0:3], v108 offset:96
	ds_load_b128 v[4:7], v107 offset:224
	;; [unrolled: 1-line block ×8, first 2 shown]
	s_wait_dscnt 0x6
	;;#ASMSTART
	v_dot2_f32_f16 v56, v0, v4, v56
	;;#ASMEND
	;;#ASMSTART
	v_dot2_f32_f16 v56, v1, v5, v56
	;;#ASMEND
	;;#ASMSTART
	v_dot2_f32_f16 v56, v2, v6, v56
	;;#ASMEND
	;;#ASMSTART
	v_dot2_f32_f16 v56, v3, v7, v56
	;;#ASMEND
	s_wait_dscnt 0x5
	;;#ASMSTART
	v_dot2_f32_f16 v44, v0, v8, v44
	;;#ASMEND
	;;#ASMSTART
	v_dot2_f32_f16 v44, v1, v9, v44
	;;#ASMEND
	;;#ASMSTART
	v_dot2_f32_f16 v44, v2, v10, v44
	;;#ASMEND
	;;#ASMSTART
	v_dot2_f32_f16 v44, v3, v11, v44
	;;#ASMEND
	;; [unrolled: 13-line block ×5, first 2 shown]
	;;#ASMSTART
	v_dot2_f32_f16 v45, v20, v8, v45
	;;#ASMEND
	;;#ASMSTART
	v_dot2_f32_f16 v45, v21, v9, v45
	;;#ASMEND
	;; [unrolled: 3-line block ×12, first 2 shown]
	s_wait_dscnt 0x1
	;;#ASMSTART
	v_dot2_f32_f16 v58, v24, v4, v58
	;;#ASMEND
	;;#ASMSTART
	v_dot2_f32_f16 v58, v25, v5, v58
	;;#ASMEND
	;; [unrolled: 3-line block ×16, first 2 shown]
	s_wait_dscnt 0x0
	;;#ASMSTART
	v_dot2_f32_f16 v59, v28, v4, v59
	;;#ASMEND
	;;#ASMSTART
	v_dot2_f32_f16 v59, v29, v5, v59
	;;#ASMEND
	;; [unrolled: 3-line block ×16, first 2 shown]
	ds_load_b128 v[20:23], v108 offset:112
	ds_load_b128 v[0:3], v107 offset:240
	;; [unrolled: 1-line block ×8, first 2 shown]
	s_wait_dscnt 0x6
	;;#ASMSTART
	v_dot2_f32_f16 v56, v20, v0, v56
	;;#ASMEND
	;;#ASMSTART
	v_dot2_f32_f16 v56, v21, v1, v56
	;;#ASMEND
	;;#ASMSTART
	v_dot2_f32_f16 v56, v22, v2, v56
	;;#ASMEND
	;;#ASMSTART
	v_dot2_f32_f16 v56, v23, v3, v56
	;;#ASMEND
	s_wait_dscnt 0x5
	;;#ASMSTART
	v_dot2_f32_f16 v44, v20, v4, v44
	;;#ASMEND
	;;#ASMSTART
	v_dot2_f32_f16 v44, v21, v5, v44
	;;#ASMEND
	;;#ASMSTART
	v_dot2_f32_f16 v44, v22, v6, v44
	;;#ASMEND
	;;#ASMSTART
	v_dot2_f32_f16 v44, v23, v7, v44
	;;#ASMEND
	;; [unrolled: 13-line block ×5, first 2 shown]
	;;#ASMSTART
	v_dot2_f32_f16 v45, v28, v4, v45
	;;#ASMEND
	;;#ASMSTART
	v_dot2_f32_f16 v45, v29, v5, v45
	;;#ASMEND
	;; [unrolled: 3-line block ×12, first 2 shown]
	s_wait_dscnt 0x1
	;;#ASMSTART
	v_dot2_f32_f16 v58, v24, v0, v58
	;;#ASMEND
	;;#ASMSTART
	v_dot2_f32_f16 v58, v25, v1, v58
	;;#ASMEND
	;; [unrolled: 3-line block ×16, first 2 shown]
	s_wait_dscnt 0x0
	;;#ASMSTART
	v_dot2_f32_f16 v59, v16, v0, v59
	;;#ASMEND
	;;#ASMSTART
	v_dot2_f32_f16 v59, v17, v1, v59
	;;#ASMEND
	;; [unrolled: 3-line block ×9, first 2 shown]
	v_cmp_ngt_f32_e64 s25, 0x3f200000, |v56|
	;;#ASMSTART
	v_dot2_f32_f16 v55, v17, v9, v55
	;;#ASMEND
	;;#ASMSTART
	v_dot2_f32_f16 v55, v18, v10, v55
	;;#ASMEND
	;; [unrolled: 3-line block ×7, first 2 shown]
                                        ; implicit-def: $vgpr2
	s_and_saveexec_b32 s26, s25
	s_delay_alu instid0(SALU_CYCLE_1)
	s_xor_b32 s25, exec_lo, s26
	s_cbranch_execz .LBB81_11
; %bb.10:                               ;   in Loop: Header=BB81_9 Depth=1
	v_add_f32_e64 v0, |v56|, |v56|
	s_delay_alu instid0(VALU_DEP_1) | instskip(SKIP_1) | instid1(VALU_DEP_2)
	v_mul_f32_e32 v1, 0x3fb8aa3b, v0
	v_cmp_ngt_f32_e32 vcc_lo, 0xc2ce8ed0, v0
	v_rndne_f32_e32 v2, v1
	v_fma_f32 v3, 0x3fb8aa3b, v0, -v1
	s_delay_alu instid0(VALU_DEP_2) | instskip(NEXT) | instid1(VALU_DEP_2)
	v_sub_f32_e32 v1, v1, v2
	v_fmac_f32_e32 v3, 0x32a5705f, v0
	v_cvt_i32_f32_e32 v2, v2
	s_delay_alu instid0(VALU_DEP_2) | instskip(NEXT) | instid1(VALU_DEP_1)
	v_add_f32_e32 v1, v1, v3
	v_exp_f32_e32 v1, v1
	v_nop
	s_delay_alu instid0(TRANS32_DEP_1) | instskip(NEXT) | instid1(VALU_DEP_1)
	v_ldexp_f32 v1, v1, v2
	v_cndmask_b32_e32 v1, 0, v1, vcc_lo
	v_cmp_nlt_f32_e32 vcc_lo, 0x42b17218, v0
	s_delay_alu instid0(VALU_DEP_2) | instskip(NEXT) | instid1(VALU_DEP_1)
	v_cndmask_b32_e32 v0, 0x7f800000, v1, vcc_lo
	v_add_f32_e32 v0, 1.0, v0
	s_delay_alu instid0(VALU_DEP_1) | instskip(SKIP_1) | instid1(TRANS32_DEP_1)
	v_rcp_f32_e32 v0, v0
	v_nop
	v_fma_f32 v2, v0, -2.0, 1.0
.LBB81_11:                              ;   in Loop: Header=BB81_9 Depth=1
	s_and_not1_saveexec_b32 s25, s25
	s_cbranch_execz .LBB81_13
; %bb.12:                               ;   in Loop: Header=BB81_9 Depth=1
	v_mul_f32_e32 v0, v56, v56
	s_delay_alu instid0(VALU_DEP_1) | instskip(NEXT) | instid1(VALU_DEP_1)
	v_fmaak_f32 v1, s24, v0, 0x3ca908c9
	v_fmaak_f32 v1, v0, v1, 0xbd5c1c4e
	s_delay_alu instid0(VALU_DEP_1) | instskip(NEXT) | instid1(VALU_DEP_1)
	v_fmaak_f32 v1, v0, v1, 0x3e088382
	v_fmaak_f32 v1, v0, v1, 0xbeaaaa99
	s_delay_alu instid0(VALU_DEP_1) | instskip(NEXT) | instid1(VALU_DEP_1)
	v_mul_f32_e64 v1, |v56|, v1
	v_fma_f32 v2, v0, v1, |v56|
.LBB81_13:                              ;   in Loop: Header=BB81_9 Depth=1
	s_or_b32 exec_lo, exec_lo, s25
	v_add_nc_u32_e32 v6, s4, v98
	v_cmp_ngt_f32_e64 s25, 0x3f200000, |v57|
                                        ; implicit-def: $vgpr3
	s_delay_alu instid0(VALU_DEP_2) | instskip(SKIP_3) | instid1(SALU_CYCLE_1)
	v_add_nc_u32_e32 v0, v6, v109
	global_load_u16 v7, v0, s[34:35] scale_offset
	s_wait_xcnt 0x0
	s_and_saveexec_b32 s26, s25
	s_xor_b32 s25, exec_lo, s26
	s_cbranch_execz .LBB81_15
; %bb.14:                               ;   in Loop: Header=BB81_9 Depth=1
	v_add_f32_e64 v1, |v57|, |v57|
	s_delay_alu instid0(VALU_DEP_1) | instskip(SKIP_1) | instid1(VALU_DEP_2)
	v_mul_f32_e32 v3, 0x3fb8aa3b, v1
	v_cmp_ngt_f32_e32 vcc_lo, 0xc2ce8ed0, v1
	v_rndne_f32_e32 v4, v3
	v_fma_f32 v5, 0x3fb8aa3b, v1, -v3
	s_delay_alu instid0(VALU_DEP_2) | instskip(NEXT) | instid1(VALU_DEP_2)
	v_sub_f32_e32 v3, v3, v4
	v_fmac_f32_e32 v5, 0x32a5705f, v1
	v_cvt_i32_f32_e32 v4, v4
	s_delay_alu instid0(VALU_DEP_2) | instskip(NEXT) | instid1(VALU_DEP_1)
	v_add_f32_e32 v3, v3, v5
	v_exp_f32_e32 v3, v3
	v_nop
	s_delay_alu instid0(TRANS32_DEP_1) | instskip(NEXT) | instid1(VALU_DEP_1)
	v_ldexp_f32 v3, v3, v4
	v_cndmask_b32_e32 v3, 0, v3, vcc_lo
	v_cmp_nlt_f32_e32 vcc_lo, 0x42b17218, v1
	s_delay_alu instid0(VALU_DEP_2) | instskip(NEXT) | instid1(VALU_DEP_1)
	v_cndmask_b32_e32 v1, 0x7f800000, v3, vcc_lo
	v_add_f32_e32 v1, 1.0, v1
	s_delay_alu instid0(VALU_DEP_1) | instskip(SKIP_1) | instid1(TRANS32_DEP_1)
	v_rcp_f32_e32 v1, v1
	v_nop
	v_fma_f32 v3, v1, -2.0, 1.0
.LBB81_15:                              ;   in Loop: Header=BB81_9 Depth=1
	s_and_not1_saveexec_b32 s25, s25
	s_cbranch_execz .LBB81_17
; %bb.16:                               ;   in Loop: Header=BB81_9 Depth=1
	v_mul_f32_e32 v1, v57, v57
	s_delay_alu instid0(VALU_DEP_1) | instskip(NEXT) | instid1(VALU_DEP_1)
	v_fmaak_f32 v3, s24, v1, 0x3ca908c9
	v_fmaak_f32 v3, v1, v3, 0xbd5c1c4e
	s_delay_alu instid0(VALU_DEP_1) | instskip(NEXT) | instid1(VALU_DEP_1)
	v_fmaak_f32 v3, v1, v3, 0x3e088382
	v_fmaak_f32 v3, v1, v3, 0xbeaaaa99
	s_delay_alu instid0(VALU_DEP_1) | instskip(NEXT) | instid1(VALU_DEP_1)
	v_mul_f32_e64 v3, |v57|, v3
	v_fma_f32 v3, v1, v3, |v57|
.LBB81_17:                              ;   in Loop: Header=BB81_9 Depth=1
	s_or_b32 exec_lo, exec_lo, s25
	v_ashrrev_i32_e32 v1, 31, v0
	v_cmp_ngt_f32_e64 s25, 0x3f200000, |v58|
                                        ; implicit-def: $vgpr4
	s_delay_alu instid0(VALU_DEP_2) | instskip(SKIP_3) | instid1(SALU_CYCLE_1)
	v_lshl_add_u64 v[0:1], v[0:1], 1, s[34:35]
	global_load_u16 v8, v[0:1], off offset:64
	s_wait_xcnt 0x0
	s_and_saveexec_b32 s26, s25
	s_xor_b32 s25, exec_lo, s26
	s_cbranch_execz .LBB81_19
; %bb.18:                               ;   in Loop: Header=BB81_9 Depth=1
	v_add_f32_e64 v4, |v58|, |v58|
	s_delay_alu instid0(VALU_DEP_1) | instskip(SKIP_1) | instid1(VALU_DEP_2)
	v_mul_f32_e32 v5, 0x3fb8aa3b, v4
	v_cmp_ngt_f32_e32 vcc_lo, 0xc2ce8ed0, v4
	v_rndne_f32_e32 v9, v5
	v_fma_f32 v10, 0x3fb8aa3b, v4, -v5
	s_delay_alu instid0(VALU_DEP_1) | instskip(SKIP_1) | instid1(VALU_DEP_2)
	v_dual_sub_f32 v5, v5, v9 :: v_dual_fmac_f32 v10, 0x32a5705f, v4
	v_cvt_i32_f32_e32 v9, v9
	v_add_f32_e32 v5, v5, v10
	s_delay_alu instid0(VALU_DEP_1) | instskip(SKIP_1) | instid1(TRANS32_DEP_1)
	v_exp_f32_e32 v5, v5
	v_nop
	v_ldexp_f32 v5, v5, v9
	s_delay_alu instid0(VALU_DEP_1) | instskip(SKIP_1) | instid1(VALU_DEP_2)
	v_cndmask_b32_e32 v5, 0, v5, vcc_lo
	v_cmp_nlt_f32_e32 vcc_lo, 0x42b17218, v4
	v_cndmask_b32_e32 v4, 0x7f800000, v5, vcc_lo
	s_delay_alu instid0(VALU_DEP_1) | instskip(NEXT) | instid1(VALU_DEP_1)
	v_add_f32_e32 v4, 1.0, v4
	v_rcp_f32_e32 v4, v4
	v_nop
	s_delay_alu instid0(TRANS32_DEP_1)
	v_fma_f32 v4, v4, -2.0, 1.0
.LBB81_19:                              ;   in Loop: Header=BB81_9 Depth=1
	s_and_not1_saveexec_b32 s25, s25
	s_cbranch_execz .LBB81_21
; %bb.20:                               ;   in Loop: Header=BB81_9 Depth=1
	v_mul_f32_e32 v4, v58, v58
	s_delay_alu instid0(VALU_DEP_1) | instskip(NEXT) | instid1(VALU_DEP_1)
	v_fmaak_f32 v5, s24, v4, 0x3ca908c9
	v_fmaak_f32 v5, v4, v5, 0xbd5c1c4e
	s_delay_alu instid0(VALU_DEP_1) | instskip(NEXT) | instid1(VALU_DEP_1)
	v_fmaak_f32 v5, v4, v5, 0x3e088382
	v_fmaak_f32 v5, v4, v5, 0xbeaaaa99
	s_delay_alu instid0(VALU_DEP_1) | instskip(NEXT) | instid1(VALU_DEP_1)
	v_mul_f32_e64 v5, |v58|, v5
	v_fma_f32 v4, v4, v5, |v58|
.LBB81_21:                              ;   in Loop: Header=BB81_9 Depth=1
	s_or_b32 exec_lo, exec_lo, s25
	global_load_u16 v9, v[0:1], off offset:128
	v_cmp_ngt_f32_e64 s25, 0x3f200000, |v59|
                                        ; implicit-def: $vgpr5
	s_wait_xcnt 0x0
	s_and_saveexec_b32 s26, s25
	s_delay_alu instid0(SALU_CYCLE_1)
	s_xor_b32 s25, exec_lo, s26
	s_cbranch_execz .LBB81_23
; %bb.22:                               ;   in Loop: Header=BB81_9 Depth=1
	v_add_f32_e64 v5, |v59|, |v59|
	s_delay_alu instid0(VALU_DEP_1) | instskip(SKIP_1) | instid1(VALU_DEP_2)
	v_mul_f32_e32 v10, 0x3fb8aa3b, v5
	v_cmp_ngt_f32_e32 vcc_lo, 0xc2ce8ed0, v5
	v_rndne_f32_e32 v11, v10
	v_fma_f32 v12, 0x3fb8aa3b, v5, -v10
	s_delay_alu instid0(VALU_DEP_2) | instskip(NEXT) | instid1(VALU_DEP_2)
	v_sub_f32_e32 v10, v10, v11
	v_fmac_f32_e32 v12, 0x32a5705f, v5
	v_cvt_i32_f32_e32 v11, v11
	s_delay_alu instid0(VALU_DEP_2) | instskip(NEXT) | instid1(VALU_DEP_1)
	v_add_f32_e32 v10, v10, v12
	v_exp_f32_e32 v10, v10
	v_nop
	s_delay_alu instid0(TRANS32_DEP_1) | instskip(NEXT) | instid1(VALU_DEP_1)
	v_ldexp_f32 v10, v10, v11
	v_cndmask_b32_e32 v10, 0, v10, vcc_lo
	v_cmp_nlt_f32_e32 vcc_lo, 0x42b17218, v5
	s_delay_alu instid0(VALU_DEP_2) | instskip(NEXT) | instid1(VALU_DEP_1)
	v_cndmask_b32_e32 v5, 0x7f800000, v10, vcc_lo
	v_add_f32_e32 v5, 1.0, v5
	s_delay_alu instid0(VALU_DEP_1) | instskip(SKIP_1) | instid1(TRANS32_DEP_1)
	v_rcp_f32_e32 v5, v5
	v_nop
	v_fma_f32 v5, v5, -2.0, 1.0
.LBB81_23:                              ;   in Loop: Header=BB81_9 Depth=1
	s_and_not1_saveexec_b32 s25, s25
	s_cbranch_execz .LBB81_25
; %bb.24:                               ;   in Loop: Header=BB81_9 Depth=1
	v_mul_f32_e32 v5, v59, v59
	s_delay_alu instid0(VALU_DEP_1) | instskip(NEXT) | instid1(VALU_DEP_1)
	v_fmaak_f32 v10, s24, v5, 0x3ca908c9
	v_fmaak_f32 v10, v5, v10, 0xbd5c1c4e
	s_delay_alu instid0(VALU_DEP_1) | instskip(NEXT) | instid1(VALU_DEP_1)
	v_fmaak_f32 v10, v5, v10, 0x3e088382
	v_fmaak_f32 v10, v5, v10, 0xbeaaaa99
	s_delay_alu instid0(VALU_DEP_1) | instskip(NEXT) | instid1(VALU_DEP_1)
	v_mul_f32_e64 v10, |v59|, v10
	v_fma_f32 v5, v5, v10, |v59|
.LBB81_25:                              ;   in Loop: Header=BB81_9 Depth=1
	s_or_b32 exec_lo, exec_lo, s25
	global_load_u16 v0, v[0:1], off offset:192
	s_wait_xcnt 0x0
	v_bfi_b32 v1, 0x7fffffff, v2, v56
	v_bfi_b32 v2, 0x7fffffff, v3, v57
	;; [unrolled: 1-line block ×3, first 2 shown]
	v_xor_b32_e32 v120, 16, v101
	v_xor_b32_e32 v116, 1, v101
	s_wait_loadcnt 0x3
	v_fma_mix_f32 v22, s3, v1, v7 op_sel_hi:[0,0,1]
	s_wait_loadcnt 0x2
	v_fma_mix_f32 v23, s3, v2, v8 op_sel_hi:[0,0,1]
	v_bfi_b32 v1, 0x7fffffff, v4, v58
	v_cmp_gt_i32_e32 vcc_lo, 32, v120
	v_cmp_ngt_f32_e64 s25, 0x3f200000, |v44|
	v_xor_b32_e32 v119, 8, v101
	v_add_f32_e32 v4, 0x40051340, v23
	s_wait_loadcnt 0x1
	v_fma_mix_f32 v24, s3, v1, v9 op_sel_hi:[0,0,1]
	v_add_f32_e32 v2, 0x40051340, v22
	v_xor_b32_e32 v118, 4, v101
	s_wait_loadcnt 0x0
	v_fma_mix_f32 v25, s3, v3, v0 op_sel_hi:[0,0,1]
	v_add_f32_e32 v3, 0x40051340, v24
	v_max3_num_f32 v1, v42, v2, v4
	v_cndmask_b32_e32 v2, v101, v120, vcc_lo
	v_cmp_gt_i32_e32 vcc_lo, 32, v119
	v_add_f32_e32 v4, 0x40051340, v25
	s_delay_alu instid0(VALU_DEP_3) | instskip(NEXT) | instid1(VALU_DEP_2)
	v_lshlrev_b32_e32 v2, 2, v2
	v_max3_num_f32 v1, v1, v3, v4
	v_cndmask_b32_e32 v4, v101, v119, vcc_lo
	v_cmp_gt_i32_e32 vcc_lo, 32, v118
	ds_bpermute_b32 v3, v2, v1
	s_wait_dscnt 0x0
	v_dual_max_num_f32 v3, v3, v3 :: v_dual_lshlrev_b32 v26, 2, v4
	s_delay_alu instid0(VALU_DEP_1) | instskip(SKIP_3) | instid1(VALU_DEP_1)
	v_max_num_f32_e32 v1, v1, v3
	ds_bpermute_b32 v3, v26, v1
	s_wait_dscnt 0x0
	v_dual_cndmask_b32 v4, v101, v118 :: v_dual_max_num_f32 v3, v3, v3
	v_dual_lshlrev_b32 v21, 2, v4 :: v_dual_max_num_f32 v1, v1, v3
	ds_bpermute_b32 v3, v21, v1
	s_wait_dscnt 0x0
	v_dual_max_num_f32 v3, v3, v3 :: v_dual_bitop2_b32 v117, 2, v101 bitop3:0x14
	s_delay_alu instid0(VALU_DEP_1) | instskip(NEXT) | instid1(VALU_DEP_2)
	v_cmp_gt_i32_e32 vcc_lo, 32, v117
	v_max_num_f32_e32 v1, v1, v3
	v_cndmask_b32_e32 v4, v101, v117, vcc_lo
	v_cmp_gt_i32_e32 vcc_lo, 32, v116
	s_delay_alu instid0(VALU_DEP_2) | instskip(SKIP_4) | instid1(VALU_DEP_1)
	v_lshlrev_b32_e32 v20, 2, v4
	v_cndmask_b32_e32 v4, v101, v116, vcc_lo
	ds_bpermute_b32 v3, v20, v1
	s_wait_dscnt 0x0
	v_dual_max_num_f32 v5, v3, v3 :: v_dual_lshlrev_b32 v3, 2, v4
	v_max_num_f32_e32 v4, v1, v5
                                        ; implicit-def: $vgpr1
	ds_bpermute_b32 v5, v3, v4
	s_and_saveexec_b32 s26, s25
	s_delay_alu instid0(SALU_CYCLE_1)
	s_xor_b32 s25, exec_lo, s26
	s_cbranch_execz .LBB81_27
; %bb.26:                               ;   in Loop: Header=BB81_9 Depth=1
	v_add_f32_e64 v1, |v44|, |v44|
	s_delay_alu instid0(VALU_DEP_1) | instskip(SKIP_1) | instid1(VALU_DEP_2)
	v_mul_f32_e32 v10, 0x3fb8aa3b, v1
	v_cmp_ngt_f32_e32 vcc_lo, 0xc2ce8ed0, v1
	v_rndne_f32_e32 v11, v10
	v_fma_f32 v12, 0x3fb8aa3b, v1, -v10
	s_delay_alu instid0(VALU_DEP_2) | instskip(NEXT) | instid1(VALU_DEP_2)
	v_sub_f32_e32 v10, v10, v11
	v_fmac_f32_e32 v12, 0x32a5705f, v1
	v_cvt_i32_f32_e32 v11, v11
	s_delay_alu instid0(VALU_DEP_2) | instskip(NEXT) | instid1(VALU_DEP_1)
	v_add_f32_e32 v10, v10, v12
	v_exp_f32_e32 v10, v10
	v_nop
	s_delay_alu instid0(TRANS32_DEP_1) | instskip(NEXT) | instid1(VALU_DEP_1)
	v_ldexp_f32 v10, v10, v11
	v_cndmask_b32_e32 v10, 0, v10, vcc_lo
	v_cmp_nlt_f32_e32 vcc_lo, 0x42b17218, v1
	s_delay_alu instid0(VALU_DEP_2) | instskip(NEXT) | instid1(VALU_DEP_1)
	v_cndmask_b32_e32 v1, 0x7f800000, v10, vcc_lo
	v_add_f32_e32 v1, 1.0, v1
	s_delay_alu instid0(VALU_DEP_1) | instskip(SKIP_1) | instid1(TRANS32_DEP_1)
	v_rcp_f32_e32 v1, v1
	v_nop
	v_fma_f32 v1, v1, -2.0, 1.0
.LBB81_27:                              ;   in Loop: Header=BB81_9 Depth=1
	s_and_not1_saveexec_b32 s25, s25
	s_cbranch_execz .LBB81_29
; %bb.28:                               ;   in Loop: Header=BB81_9 Depth=1
	v_mul_f32_e32 v1, v44, v44
	s_delay_alu instid0(VALU_DEP_1) | instskip(NEXT) | instid1(VALU_DEP_1)
	v_fmaak_f32 v10, s24, v1, 0x3ca908c9
	v_fmaak_f32 v10, v1, v10, 0xbd5c1c4e
	s_delay_alu instid0(VALU_DEP_1) | instskip(NEXT) | instid1(VALU_DEP_1)
	v_fmaak_f32 v10, v1, v10, 0x3e088382
	v_fmaak_f32 v10, v1, v10, 0xbeaaaa99
	s_delay_alu instid0(VALU_DEP_1) | instskip(NEXT) | instid1(VALU_DEP_1)
	v_mul_f32_e64 v10, |v44|, v10
	v_fma_f32 v1, v1, v10, |v44|
.LBB81_29:                              ;   in Loop: Header=BB81_9 Depth=1
	s_or_b32 exec_lo, exec_lo, s25
	v_cmp_ngt_f32_e64 s25, 0x3f200000, |v45|
                                        ; implicit-def: $vgpr10
	s_and_saveexec_b32 s26, s25
	s_delay_alu instid0(SALU_CYCLE_1)
	s_xor_b32 s25, exec_lo, s26
	s_cbranch_execz .LBB81_31
; %bb.30:                               ;   in Loop: Header=BB81_9 Depth=1
	v_add_f32_e64 v10, |v45|, |v45|
	s_delay_alu instid0(VALU_DEP_1) | instskip(SKIP_1) | instid1(VALU_DEP_2)
	v_mul_f32_e32 v11, 0x3fb8aa3b, v10
	v_cmp_ngt_f32_e32 vcc_lo, 0xc2ce8ed0, v10
	v_rndne_f32_e32 v12, v11
	v_fma_f32 v13, 0x3fb8aa3b, v10, -v11
	s_delay_alu instid0(VALU_DEP_2) | instskip(NEXT) | instid1(VALU_DEP_2)
	v_sub_f32_e32 v11, v11, v12
	v_fmac_f32_e32 v13, 0x32a5705f, v10
	v_cvt_i32_f32_e32 v12, v12
	s_delay_alu instid0(VALU_DEP_2) | instskip(NEXT) | instid1(VALU_DEP_1)
	v_add_f32_e32 v11, v11, v13
	v_exp_f32_e32 v11, v11
	v_nop
	s_delay_alu instid0(TRANS32_DEP_1) | instskip(NEXT) | instid1(VALU_DEP_1)
	v_ldexp_f32 v11, v11, v12
	v_cndmask_b32_e32 v11, 0, v11, vcc_lo
	v_cmp_nlt_f32_e32 vcc_lo, 0x42b17218, v10
	s_delay_alu instid0(VALU_DEP_2) | instskip(NEXT) | instid1(VALU_DEP_1)
	v_cndmask_b32_e32 v10, 0x7f800000, v11, vcc_lo
	v_add_f32_e32 v10, 1.0, v10
	s_delay_alu instid0(VALU_DEP_1) | instskip(SKIP_1) | instid1(TRANS32_DEP_1)
	v_rcp_f32_e32 v10, v10
	v_nop
	v_fma_f32 v10, v10, -2.0, 1.0
.LBB81_31:                              ;   in Loop: Header=BB81_9 Depth=1
	s_and_not1_saveexec_b32 s25, s25
	s_cbranch_execz .LBB81_33
; %bb.32:                               ;   in Loop: Header=BB81_9 Depth=1
	v_mul_f32_e32 v10, v45, v45
	s_delay_alu instid0(VALU_DEP_1) | instskip(NEXT) | instid1(VALU_DEP_1)
	v_fmaak_f32 v11, s24, v10, 0x3ca908c9
	v_fmaak_f32 v11, v10, v11, 0xbd5c1c4e
	s_delay_alu instid0(VALU_DEP_1) | instskip(NEXT) | instid1(VALU_DEP_1)
	v_fmaak_f32 v11, v10, v11, 0x3e088382
	v_fmaak_f32 v11, v10, v11, 0xbeaaaa99
	s_delay_alu instid0(VALU_DEP_1) | instskip(NEXT) | instid1(VALU_DEP_1)
	v_mul_f32_e64 v11, |v45|, v11
	v_fma_f32 v10, v10, v11, |v45|
.LBB81_33:                              ;   in Loop: Header=BB81_9 Depth=1
	s_or_b32 exec_lo, exec_lo, s25
	v_cmp_ngt_f32_e64 s25, 0x3f200000, |v47|
                                        ; implicit-def: $vgpr11
	s_and_saveexec_b32 s26, s25
	s_delay_alu instid0(SALU_CYCLE_1)
	s_xor_b32 s25, exec_lo, s26
	s_cbranch_execz .LBB81_35
; %bb.34:                               ;   in Loop: Header=BB81_9 Depth=1
	v_add_f32_e64 v11, |v47|, |v47|
	s_delay_alu instid0(VALU_DEP_1) | instskip(SKIP_1) | instid1(VALU_DEP_2)
	v_mul_f32_e32 v12, 0x3fb8aa3b, v11
	v_cmp_ngt_f32_e32 vcc_lo, 0xc2ce8ed0, v11
	v_rndne_f32_e32 v13, v12
	v_fma_f32 v14, 0x3fb8aa3b, v11, -v12
	s_delay_alu instid0(VALU_DEP_2) | instskip(NEXT) | instid1(VALU_DEP_2)
	v_sub_f32_e32 v12, v12, v13
	v_fmac_f32_e32 v14, 0x32a5705f, v11
	v_cvt_i32_f32_e32 v13, v13
	s_delay_alu instid0(VALU_DEP_2) | instskip(NEXT) | instid1(VALU_DEP_1)
	v_add_f32_e32 v12, v12, v14
	v_exp_f32_e32 v12, v12
	v_nop
	s_delay_alu instid0(TRANS32_DEP_1) | instskip(NEXT) | instid1(VALU_DEP_1)
	v_ldexp_f32 v12, v12, v13
	v_cndmask_b32_e32 v12, 0, v12, vcc_lo
	v_cmp_nlt_f32_e32 vcc_lo, 0x42b17218, v11
	s_delay_alu instid0(VALU_DEP_2) | instskip(NEXT) | instid1(VALU_DEP_1)
	v_cndmask_b32_e32 v11, 0x7f800000, v12, vcc_lo
	v_add_f32_e32 v11, 1.0, v11
	s_delay_alu instid0(VALU_DEP_1) | instskip(SKIP_1) | instid1(TRANS32_DEP_1)
	v_rcp_f32_e32 v11, v11
	v_nop
	v_fma_f32 v11, v11, -2.0, 1.0
.LBB81_35:                              ;   in Loop: Header=BB81_9 Depth=1
	s_and_not1_saveexec_b32 s25, s25
	s_cbranch_execz .LBB81_37
; %bb.36:                               ;   in Loop: Header=BB81_9 Depth=1
	v_mul_f32_e32 v11, v47, v47
	s_delay_alu instid0(VALU_DEP_1) | instskip(NEXT) | instid1(VALU_DEP_1)
	v_fmaak_f32 v12, s24, v11, 0x3ca908c9
	v_fmaak_f32 v12, v11, v12, 0xbd5c1c4e
	s_delay_alu instid0(VALU_DEP_1) | instskip(NEXT) | instid1(VALU_DEP_1)
	v_fmaak_f32 v12, v11, v12, 0x3e088382
	v_fmaak_f32 v12, v11, v12, 0xbeaaaa99
	s_delay_alu instid0(VALU_DEP_1) | instskip(NEXT) | instid1(VALU_DEP_1)
	v_mul_f32_e64 v12, |v47|, v12
	v_fma_f32 v11, v11, v12, |v47|
.LBB81_37:                              ;   in Loop: Header=BB81_9 Depth=1
	s_or_b32 exec_lo, exec_lo, s25
	v_cmp_ngt_f32_e64 s25, 0x3f200000, |v48|
                                        ; implicit-def: $vgpr12
	s_and_saveexec_b32 s26, s25
	s_delay_alu instid0(SALU_CYCLE_1)
	s_xor_b32 s25, exec_lo, s26
	s_cbranch_execz .LBB81_39
; %bb.38:                               ;   in Loop: Header=BB81_9 Depth=1
	v_add_f32_e64 v12, |v48|, |v48|
	s_delay_alu instid0(VALU_DEP_1) | instskip(SKIP_1) | instid1(VALU_DEP_2)
	v_mul_f32_e32 v13, 0x3fb8aa3b, v12
	v_cmp_ngt_f32_e32 vcc_lo, 0xc2ce8ed0, v12
	v_rndne_f32_e32 v14, v13
	v_fma_f32 v15, 0x3fb8aa3b, v12, -v13
	s_delay_alu instid0(VALU_DEP_2) | instskip(NEXT) | instid1(VALU_DEP_2)
	v_sub_f32_e32 v13, v13, v14
	v_fmac_f32_e32 v15, 0x32a5705f, v12
	v_cvt_i32_f32_e32 v14, v14
	s_delay_alu instid0(VALU_DEP_2) | instskip(NEXT) | instid1(VALU_DEP_1)
	v_add_f32_e32 v13, v13, v15
	v_exp_f32_e32 v13, v13
	v_nop
	s_delay_alu instid0(TRANS32_DEP_1) | instskip(NEXT) | instid1(VALU_DEP_1)
	v_ldexp_f32 v13, v13, v14
	v_cndmask_b32_e32 v13, 0, v13, vcc_lo
	v_cmp_nlt_f32_e32 vcc_lo, 0x42b17218, v12
	s_delay_alu instid0(VALU_DEP_2) | instskip(NEXT) | instid1(VALU_DEP_1)
	v_cndmask_b32_e32 v12, 0x7f800000, v13, vcc_lo
	v_add_f32_e32 v12, 1.0, v12
	s_delay_alu instid0(VALU_DEP_1) | instskip(SKIP_1) | instid1(TRANS32_DEP_1)
	v_rcp_f32_e32 v12, v12
	v_nop
	v_fma_f32 v12, v12, -2.0, 1.0
.LBB81_39:                              ;   in Loop: Header=BB81_9 Depth=1
	s_and_not1_saveexec_b32 s25, s25
	s_cbranch_execz .LBB81_41
; %bb.40:                               ;   in Loop: Header=BB81_9 Depth=1
	v_mul_f32_e32 v12, v48, v48
	s_delay_alu instid0(VALU_DEP_1) | instskip(NEXT) | instid1(VALU_DEP_1)
	v_fmaak_f32 v13, s24, v12, 0x3ca908c9
	v_fmaak_f32 v13, v12, v13, 0xbd5c1c4e
	s_delay_alu instid0(VALU_DEP_1) | instskip(NEXT) | instid1(VALU_DEP_1)
	v_fmaak_f32 v13, v12, v13, 0x3e088382
	v_fmaak_f32 v13, v12, v13, 0xbeaaaa99
	s_delay_alu instid0(VALU_DEP_1) | instskip(NEXT) | instid1(VALU_DEP_1)
	v_mul_f32_e64 v13, |v48|, v13
	v_fma_f32 v12, v12, v13, |v48|
.LBB81_41:                              ;   in Loop: Header=BB81_9 Depth=1
	s_or_b32 exec_lo, exec_lo, s25
	v_cvt_f32_f16_e32 v30, v7
	v_bfi_b32 v1, 0x7fffffff, v1, v44
	v_cvt_f32_f16_e32 v31, v8
	v_bfi_b32 v7, 0x7fffffff, v10, v45
	v_cvt_f32_f16_e32 v44, v9
	v_cvt_f32_f16_e32 v45, v0
	v_fmac_f32_e32 v30, s3, v1
	v_bfi_b32 v0, 0x7fffffff, v11, v47
	v_fmac_f32_e32 v31, s3, v7
	v_bfi_b32 v1, 0x7fffffff, v12, v48
	v_cmp_ngt_f32_e64 s25, 0x3f200000, |v46|
	s_delay_alu instid0(VALU_DEP_4) | instskip(NEXT) | instid1(VALU_DEP_3)
	v_dual_add_f32 v7, 0x40051340, v30 :: v_dual_fmac_f32 v44, s3, v0
	v_dual_add_f32 v0, 0x40051340, v31 :: v_dual_fmac_f32 v45, s3, v1
                                        ; implicit-def: $vgpr10
	s_delay_alu instid0(VALU_DEP_2) | instskip(NEXT) | instid1(VALU_DEP_2)
	v_add_f32_e32 v1, 0x40051340, v44
	v_max3_num_f32 v0, v43, v7, v0
	s_delay_alu instid0(VALU_DEP_3) | instskip(NEXT) | instid1(VALU_DEP_1)
	v_add_f32_e32 v7, 0x40051340, v45
	v_max3_num_f32 v0, v0, v1, v7
	ds_bpermute_b32 v1, v2, v0
	s_wait_dscnt 0x0
	v_max_num_f32_e32 v1, v1, v1
	s_delay_alu instid0(VALU_DEP_1) | instskip(SKIP_3) | instid1(VALU_DEP_1)
	v_max_num_f32_e32 v0, v0, v1
	ds_bpermute_b32 v1, v26, v0
	s_wait_dscnt 0x0
	v_max_num_f32_e32 v1, v1, v1
	v_max_num_f32_e32 v0, v0, v1
	ds_bpermute_b32 v1, v21, v0
	s_wait_dscnt 0x0
	v_max_num_f32_e32 v1, v1, v1
	s_delay_alu instid0(VALU_DEP_1) | instskip(SKIP_3) | instid1(VALU_DEP_1)
	v_max_num_f32_e32 v0, v0, v1
	ds_bpermute_b32 v1, v20, v0
	s_wait_dscnt 0x0
	v_max_num_f32_e32 v1, v1, v1
	v_max_num_f32_e32 v47, v0, v1
	ds_bpermute_b32 v48, v3, v47
	s_and_saveexec_b32 s26, s25
	s_delay_alu instid0(SALU_CYCLE_1)
	s_xor_b32 s25, exec_lo, s26
	s_cbranch_execz .LBB81_43
; %bb.42:                               ;   in Loop: Header=BB81_9 Depth=1
	v_add_f32_e64 v0, |v46|, |v46|
	s_delay_alu instid0(VALU_DEP_1) | instskip(SKIP_1) | instid1(VALU_DEP_2)
	v_mul_f32_e32 v1, 0x3fb8aa3b, v0
	v_cmp_ngt_f32_e32 vcc_lo, 0xc2ce8ed0, v0
	v_rndne_f32_e32 v7, v1
	v_fma_f32 v8, 0x3fb8aa3b, v0, -v1
	s_delay_alu instid0(VALU_DEP_1) | instskip(SKIP_1) | instid1(VALU_DEP_2)
	v_dual_sub_f32 v1, v1, v7 :: v_dual_fmac_f32 v8, 0x32a5705f, v0
	v_cvt_i32_f32_e32 v7, v7
	v_add_f32_e32 v1, v1, v8
	s_delay_alu instid0(VALU_DEP_1) | instskip(SKIP_1) | instid1(TRANS32_DEP_1)
	v_exp_f32_e32 v1, v1
	v_nop
	v_ldexp_f32 v1, v1, v7
	s_delay_alu instid0(VALU_DEP_1) | instskip(SKIP_1) | instid1(VALU_DEP_2)
	v_cndmask_b32_e32 v1, 0, v1, vcc_lo
	v_cmp_nlt_f32_e32 vcc_lo, 0x42b17218, v0
	v_cndmask_b32_e32 v0, 0x7f800000, v1, vcc_lo
	s_delay_alu instid0(VALU_DEP_1) | instskip(NEXT) | instid1(VALU_DEP_1)
	v_add_f32_e32 v0, 1.0, v0
	v_rcp_f32_e32 v0, v0
	v_nop
	s_delay_alu instid0(TRANS32_DEP_1)
	v_fma_f32 v10, v0, -2.0, 1.0
.LBB81_43:                              ;   in Loop: Header=BB81_9 Depth=1
	s_and_not1_saveexec_b32 s25, s25
	s_cbranch_execz .LBB81_45
; %bb.44:                               ;   in Loop: Header=BB81_9 Depth=1
	v_mul_f32_e32 v0, v46, v46
	s_delay_alu instid0(VALU_DEP_1) | instskip(NEXT) | instid1(VALU_DEP_1)
	v_fmaak_f32 v1, s24, v0, 0x3ca908c9
	v_fmaak_f32 v1, v0, v1, 0xbd5c1c4e
	s_delay_alu instid0(VALU_DEP_1) | instskip(NEXT) | instid1(VALU_DEP_1)
	v_fmaak_f32 v1, v0, v1, 0x3e088382
	v_fmaak_f32 v1, v0, v1, 0xbeaaaa99
	s_delay_alu instid0(VALU_DEP_1) | instskip(NEXT) | instid1(VALU_DEP_1)
	v_mul_f32_e64 v1, |v46|, v1
	v_fma_f32 v10, v0, v1, |v46|
.LBB81_45:                              ;   in Loop: Header=BB81_9 Depth=1
	s_or_b32 exec_lo, exec_lo, s25
	v_add_nc_u32_e32 v0, v6, v111
	v_cmp_ngt_f32_e64 s25, 0x3f200000, |v51|
                                        ; implicit-def: $vgpr11
	global_load_u16 v6, v0, s[34:35] scale_offset
	s_wait_xcnt 0x0
	s_and_saveexec_b32 s26, s25
	s_delay_alu instid0(SALU_CYCLE_1)
	s_xor_b32 s25, exec_lo, s26
	s_cbranch_execz .LBB81_47
; %bb.46:                               ;   in Loop: Header=BB81_9 Depth=1
	v_add_f32_e64 v1, |v51|, |v51|
	s_delay_alu instid0(VALU_DEP_1) | instskip(SKIP_1) | instid1(VALU_DEP_2)
	v_mul_f32_e32 v7, 0x3fb8aa3b, v1
	v_cmp_ngt_f32_e32 vcc_lo, 0xc2ce8ed0, v1
	v_rndne_f32_e32 v8, v7
	v_fma_f32 v9, 0x3fb8aa3b, v1, -v7
	s_delay_alu instid0(VALU_DEP_2) | instskip(NEXT) | instid1(VALU_DEP_2)
	v_sub_f32_e32 v7, v7, v8
	v_fmac_f32_e32 v9, 0x32a5705f, v1
	v_cvt_i32_f32_e32 v8, v8
	s_delay_alu instid0(VALU_DEP_2) | instskip(NEXT) | instid1(VALU_DEP_1)
	v_add_f32_e32 v7, v7, v9
	v_exp_f32_e32 v7, v7
	v_nop
	s_delay_alu instid0(TRANS32_DEP_1) | instskip(NEXT) | instid1(VALU_DEP_1)
	v_ldexp_f32 v7, v7, v8
	v_cndmask_b32_e32 v7, 0, v7, vcc_lo
	v_cmp_nlt_f32_e32 vcc_lo, 0x42b17218, v1
	s_delay_alu instid0(VALU_DEP_2) | instskip(NEXT) | instid1(VALU_DEP_1)
	v_cndmask_b32_e32 v1, 0x7f800000, v7, vcc_lo
	v_add_f32_e32 v1, 1.0, v1
	s_delay_alu instid0(VALU_DEP_1) | instskip(SKIP_1) | instid1(TRANS32_DEP_1)
	v_rcp_f32_e32 v1, v1
	v_nop
	v_fma_f32 v11, v1, -2.0, 1.0
.LBB81_47:                              ;   in Loop: Header=BB81_9 Depth=1
	s_and_not1_saveexec_b32 s25, s25
	s_cbranch_execz .LBB81_49
; %bb.48:                               ;   in Loop: Header=BB81_9 Depth=1
	v_mul_f32_e32 v1, v51, v51
	s_delay_alu instid0(VALU_DEP_1) | instskip(NEXT) | instid1(VALU_DEP_1)
	v_fmaak_f32 v7, s24, v1, 0x3ca908c9
	v_fmaak_f32 v7, v1, v7, 0xbd5c1c4e
	s_delay_alu instid0(VALU_DEP_1) | instskip(NEXT) | instid1(VALU_DEP_1)
	v_fmaak_f32 v7, v1, v7, 0x3e088382
	v_fmaak_f32 v7, v1, v7, 0xbeaaaa99
	s_delay_alu instid0(VALU_DEP_1) | instskip(NEXT) | instid1(VALU_DEP_1)
	v_mul_f32_e64 v7, |v51|, v7
	v_fma_f32 v11, v1, v7, |v51|
.LBB81_49:                              ;   in Loop: Header=BB81_9 Depth=1
	s_or_b32 exec_lo, exec_lo, s25
	v_ashrrev_i32_e32 v1, 31, v0
	v_cmp_ngt_f32_e64 s25, 0x3f200000, |v52|
                                        ; implicit-def: $vgpr12
	s_delay_alu instid0(VALU_DEP_2) | instskip(SKIP_3) | instid1(SALU_CYCLE_1)
	v_lshl_add_u64 v[0:1], v[0:1], 1, s[34:35]
	global_load_u16 v7, v[0:1], off offset:64
	s_wait_xcnt 0x0
	s_and_saveexec_b32 s26, s25
	s_xor_b32 s25, exec_lo, s26
	s_cbranch_execz .LBB81_51
; %bb.50:                               ;   in Loop: Header=BB81_9 Depth=1
	v_add_f32_e64 v8, |v52|, |v52|
	s_delay_alu instid0(VALU_DEP_1) | instskip(SKIP_1) | instid1(VALU_DEP_2)
	v_mul_f32_e32 v9, 0x3fb8aa3b, v8
	v_cmp_ngt_f32_e32 vcc_lo, 0xc2ce8ed0, v8
	v_rndne_f32_e32 v12, v9
	v_fma_f32 v13, 0x3fb8aa3b, v8, -v9
	s_delay_alu instid0(VALU_DEP_2) | instskip(NEXT) | instid1(VALU_DEP_2)
	v_sub_f32_e32 v9, v9, v12
	v_fmac_f32_e32 v13, 0x32a5705f, v8
	v_cvt_i32_f32_e32 v12, v12
	s_delay_alu instid0(VALU_DEP_2) | instskip(NEXT) | instid1(VALU_DEP_1)
	v_add_f32_e32 v9, v9, v13
	v_exp_f32_e32 v9, v9
	v_nop
	s_delay_alu instid0(TRANS32_DEP_1) | instskip(NEXT) | instid1(VALU_DEP_1)
	v_ldexp_f32 v9, v9, v12
	v_cndmask_b32_e32 v9, 0, v9, vcc_lo
	v_cmp_nlt_f32_e32 vcc_lo, 0x42b17218, v8
	s_delay_alu instid0(VALU_DEP_2) | instskip(NEXT) | instid1(VALU_DEP_1)
	v_cndmask_b32_e32 v8, 0x7f800000, v9, vcc_lo
	v_add_f32_e32 v8, 1.0, v8
	s_delay_alu instid0(VALU_DEP_1) | instskip(SKIP_1) | instid1(TRANS32_DEP_1)
	v_rcp_f32_e32 v8, v8
	v_nop
	v_fma_f32 v12, v8, -2.0, 1.0
.LBB81_51:                              ;   in Loop: Header=BB81_9 Depth=1
	s_and_not1_saveexec_b32 s25, s25
	s_cbranch_execz .LBB81_53
; %bb.52:                               ;   in Loop: Header=BB81_9 Depth=1
	v_mul_f32_e32 v8, v52, v52
	s_delay_alu instid0(VALU_DEP_1) | instskip(NEXT) | instid1(VALU_DEP_1)
	v_fmaak_f32 v9, s24, v8, 0x3ca908c9
	v_fmaak_f32 v9, v8, v9, 0xbd5c1c4e
	s_delay_alu instid0(VALU_DEP_1) | instskip(NEXT) | instid1(VALU_DEP_1)
	v_fmaak_f32 v9, v8, v9, 0x3e088382
	v_fmaak_f32 v9, v8, v9, 0xbeaaaa99
	s_delay_alu instid0(VALU_DEP_1) | instskip(NEXT) | instid1(VALU_DEP_1)
	v_mul_f32_e64 v9, |v52|, v9
	v_fma_f32 v12, v8, v9, |v52|
.LBB81_53:                              ;   in Loop: Header=BB81_9 Depth=1
	s_or_b32 exec_lo, exec_lo, s25
	global_load_u16 v8, v[0:1], off offset:128
	v_cmp_ngt_f32_e64 s25, 0x3f200000, |v55|
                                        ; implicit-def: $vgpr13
	s_wait_xcnt 0x0
	s_and_saveexec_b32 s26, s25
	s_delay_alu instid0(SALU_CYCLE_1)
	s_xor_b32 s25, exec_lo, s26
	s_cbranch_execz .LBB81_55
; %bb.54:                               ;   in Loop: Header=BB81_9 Depth=1
	v_add_f32_e64 v9, |v55|, |v55|
	s_delay_alu instid0(VALU_DEP_1) | instskip(SKIP_1) | instid1(VALU_DEP_2)
	v_mul_f32_e32 v13, 0x3fb8aa3b, v9
	v_cmp_ngt_f32_e32 vcc_lo, 0xc2ce8ed0, v9
	v_rndne_f32_e32 v14, v13
	v_fma_f32 v15, 0x3fb8aa3b, v9, -v13
	s_delay_alu instid0(VALU_DEP_2) | instskip(NEXT) | instid1(VALU_DEP_2)
	v_sub_f32_e32 v13, v13, v14
	v_fmac_f32_e32 v15, 0x32a5705f, v9
	v_cvt_i32_f32_e32 v14, v14
	s_delay_alu instid0(VALU_DEP_2) | instskip(NEXT) | instid1(VALU_DEP_1)
	v_add_f32_e32 v13, v13, v15
	v_exp_f32_e32 v13, v13
	v_nop
	s_delay_alu instid0(TRANS32_DEP_1) | instskip(NEXT) | instid1(VALU_DEP_1)
	v_ldexp_f32 v13, v13, v14
	v_cndmask_b32_e32 v13, 0, v13, vcc_lo
	v_cmp_nlt_f32_e32 vcc_lo, 0x42b17218, v9
	s_delay_alu instid0(VALU_DEP_2) | instskip(NEXT) | instid1(VALU_DEP_1)
	v_cndmask_b32_e32 v9, 0x7f800000, v13, vcc_lo
	v_add_f32_e32 v9, 1.0, v9
	s_delay_alu instid0(VALU_DEP_1) | instskip(SKIP_1) | instid1(TRANS32_DEP_1)
	v_rcp_f32_e32 v9, v9
	v_nop
	v_fma_f32 v13, v9, -2.0, 1.0
.LBB81_55:                              ;   in Loop: Header=BB81_9 Depth=1
	s_and_not1_saveexec_b32 s25, s25
	s_cbranch_execz .LBB81_57
; %bb.56:                               ;   in Loop: Header=BB81_9 Depth=1
	v_mul_f32_e32 v9, v55, v55
	s_delay_alu instid0(VALU_DEP_1) | instskip(NEXT) | instid1(VALU_DEP_1)
	v_fmaak_f32 v13, s24, v9, 0x3ca908c9
	v_fmaak_f32 v13, v9, v13, 0xbd5c1c4e
	s_delay_alu instid0(VALU_DEP_1) | instskip(NEXT) | instid1(VALU_DEP_1)
	v_fmaak_f32 v13, v9, v13, 0x3e088382
	v_fmaak_f32 v13, v9, v13, 0xbeaaaa99
	s_delay_alu instid0(VALU_DEP_1) | instskip(NEXT) | instid1(VALU_DEP_1)
	v_mul_f32_e64 v13, |v55|, v13
	v_fma_f32 v13, v9, v13, |v55|
.LBB81_57:                              ;   in Loop: Header=BB81_9 Depth=1
	s_or_b32 exec_lo, exec_lo, s25
	global_load_u16 v9, v[0:1], off offset:192
	s_wait_xcnt 0x0
	v_bfi_b32 v0, 0x7fffffff, v10, v46
	v_bfi_b32 v1, 0x7fffffff, v11, v51
	v_cmp_ngt_f32_e64 s25, 0x3f200000, |v49|
	s_wait_loadcnt 0x3
	s_delay_alu instid0(VALU_DEP_3) | instskip(SKIP_4) | instid1(VALU_DEP_3)
	v_fma_mix_f32 v46, s3, v0, v6 op_sel_hi:[0,0,1]
	s_wait_loadcnt 0x2
	v_fma_mix_f32 v29, s3, v1, v7 op_sel_hi:[0,0,1]
	v_bfi_b32 v0, 0x7fffffff, v12, v52
	v_bfi_b32 v1, 0x7fffffff, v13, v55
	v_dual_add_f32 v10, 0x40051340, v46 :: v_dual_add_f32 v11, 0x40051340, v29
	s_wait_loadcnt 0x1
	s_delay_alu instid0(VALU_DEP_3) | instskip(NEXT) | instid1(VALU_DEP_2)
	v_fma_mix_f32 v28, s3, v0, v8 op_sel_hi:[0,0,1]
	v_max3_num_f32 v0, v41, v10, v11
	s_wait_loadcnt 0x0
	v_fma_mix_f32 v27, s3, v1, v9 op_sel_hi:[0,0,1]
	s_delay_alu instid0(VALU_DEP_1) | instskip(NEXT) | instid1(VALU_DEP_1)
	v_dual_add_f32 v1, 0x40051340, v28 :: v_dual_add_f32 v10, 0x40051340, v27
	v_max3_num_f32 v0, v0, v1, v10
                                        ; implicit-def: $vgpr10
	ds_bpermute_b32 v1, v2, v0
	s_wait_dscnt 0x0
	v_max_num_f32_e32 v1, v1, v1
	s_delay_alu instid0(VALU_DEP_1) | instskip(SKIP_3) | instid1(VALU_DEP_1)
	v_max_num_f32_e32 v0, v0, v1
	ds_bpermute_b32 v1, v26, v0
	s_wait_dscnt 0x0
	v_max_num_f32_e32 v1, v1, v1
	v_max_num_f32_e32 v0, v0, v1
	ds_bpermute_b32 v1, v21, v0
	s_wait_dscnt 0x0
	v_max_num_f32_e32 v1, v1, v1
	s_delay_alu instid0(VALU_DEP_1) | instskip(SKIP_3) | instid1(VALU_DEP_1)
	v_max_num_f32_e32 v0, v0, v1
	ds_bpermute_b32 v1, v20, v0
	s_wait_dscnt 0x0
	v_max_num_f32_e32 v1, v1, v1
	v_max_num_f32_e32 v0, v0, v1
	ds_bpermute_b32 v1, v3, v0
	s_and_saveexec_b32 s26, s25
	s_delay_alu instid0(SALU_CYCLE_1)
	s_xor_b32 s25, exec_lo, s26
	s_cbranch_execz .LBB81_59
; %bb.58:                               ;   in Loop: Header=BB81_9 Depth=1
	v_add_f32_e64 v10, |v49|, |v49|
	s_delay_alu instid0(VALU_DEP_1) | instskip(SKIP_1) | instid1(VALU_DEP_2)
	v_mul_f32_e32 v11, 0x3fb8aa3b, v10
	v_cmp_ngt_f32_e32 vcc_lo, 0xc2ce8ed0, v10
	v_rndne_f32_e32 v12, v11
	v_fma_f32 v13, 0x3fb8aa3b, v10, -v11
	s_delay_alu instid0(VALU_DEP_2) | instskip(NEXT) | instid1(VALU_DEP_2)
	v_sub_f32_e32 v11, v11, v12
	v_fmac_f32_e32 v13, 0x32a5705f, v10
	v_cvt_i32_f32_e32 v12, v12
	s_delay_alu instid0(VALU_DEP_2) | instskip(NEXT) | instid1(VALU_DEP_1)
	v_add_f32_e32 v11, v11, v13
	v_exp_f32_e32 v11, v11
	v_nop
	s_delay_alu instid0(TRANS32_DEP_1) | instskip(NEXT) | instid1(VALU_DEP_1)
	v_ldexp_f32 v11, v11, v12
	v_cndmask_b32_e32 v11, 0, v11, vcc_lo
	v_cmp_nlt_f32_e32 vcc_lo, 0x42b17218, v10
	s_delay_alu instid0(VALU_DEP_2) | instskip(NEXT) | instid1(VALU_DEP_1)
	v_cndmask_b32_e32 v10, 0x7f800000, v11, vcc_lo
	v_add_f32_e32 v10, 1.0, v10
	s_delay_alu instid0(VALU_DEP_1) | instskip(SKIP_1) | instid1(TRANS32_DEP_1)
	v_rcp_f32_e32 v10, v10
	v_nop
	v_fma_f32 v10, v10, -2.0, 1.0
.LBB81_59:                              ;   in Loop: Header=BB81_9 Depth=1
	s_and_not1_saveexec_b32 s25, s25
	s_cbranch_execz .LBB81_61
; %bb.60:                               ;   in Loop: Header=BB81_9 Depth=1
	v_mul_f32_e32 v10, v49, v49
	s_delay_alu instid0(VALU_DEP_1) | instskip(NEXT) | instid1(VALU_DEP_1)
	v_fmaak_f32 v11, s24, v10, 0x3ca908c9
	v_fmaak_f32 v11, v10, v11, 0xbd5c1c4e
	s_delay_alu instid0(VALU_DEP_1) | instskip(NEXT) | instid1(VALU_DEP_1)
	v_fmaak_f32 v11, v10, v11, 0x3e088382
	v_fmaak_f32 v11, v10, v11, 0xbeaaaa99
	s_delay_alu instid0(VALU_DEP_1) | instskip(NEXT) | instid1(VALU_DEP_1)
	v_mul_f32_e64 v11, |v49|, v11
	v_fma_f32 v10, v10, v11, |v49|
.LBB81_61:                              ;   in Loop: Header=BB81_9 Depth=1
	s_or_b32 exec_lo, exec_lo, s25
	v_cmp_ngt_f32_e64 s25, 0x3f200000, |v50|
                                        ; implicit-def: $vgpr11
	s_and_saveexec_b32 s26, s25
	s_delay_alu instid0(SALU_CYCLE_1)
	s_xor_b32 s25, exec_lo, s26
	s_cbranch_execz .LBB81_63
; %bb.62:                               ;   in Loop: Header=BB81_9 Depth=1
	v_add_f32_e64 v11, |v50|, |v50|
	s_delay_alu instid0(VALU_DEP_1) | instskip(SKIP_1) | instid1(VALU_DEP_2)
	v_mul_f32_e32 v12, 0x3fb8aa3b, v11
	v_cmp_ngt_f32_e32 vcc_lo, 0xc2ce8ed0, v11
	v_rndne_f32_e32 v13, v12
	v_fma_f32 v14, 0x3fb8aa3b, v11, -v12
	s_delay_alu instid0(VALU_DEP_2) | instskip(NEXT) | instid1(VALU_DEP_2)
	v_sub_f32_e32 v12, v12, v13
	v_fmac_f32_e32 v14, 0x32a5705f, v11
	v_cvt_i32_f32_e32 v13, v13
	s_delay_alu instid0(VALU_DEP_2) | instskip(NEXT) | instid1(VALU_DEP_1)
	v_add_f32_e32 v12, v12, v14
	v_exp_f32_e32 v12, v12
	v_nop
	s_delay_alu instid0(TRANS32_DEP_1) | instskip(NEXT) | instid1(VALU_DEP_1)
	v_ldexp_f32 v12, v12, v13
	v_cndmask_b32_e32 v12, 0, v12, vcc_lo
	v_cmp_nlt_f32_e32 vcc_lo, 0x42b17218, v11
	s_delay_alu instid0(VALU_DEP_2) | instskip(NEXT) | instid1(VALU_DEP_1)
	v_cndmask_b32_e32 v11, 0x7f800000, v12, vcc_lo
	v_add_f32_e32 v11, 1.0, v11
	s_delay_alu instid0(VALU_DEP_1) | instskip(SKIP_1) | instid1(TRANS32_DEP_1)
	v_rcp_f32_e32 v11, v11
	v_nop
	v_fma_f32 v11, v11, -2.0, 1.0
.LBB81_63:                              ;   in Loop: Header=BB81_9 Depth=1
	s_and_not1_saveexec_b32 s25, s25
	s_cbranch_execz .LBB81_65
; %bb.64:                               ;   in Loop: Header=BB81_9 Depth=1
	v_mul_f32_e32 v11, v50, v50
	s_delay_alu instid0(VALU_DEP_1) | instskip(NEXT) | instid1(VALU_DEP_1)
	v_fmaak_f32 v12, s24, v11, 0x3ca908c9
	v_fmaak_f32 v12, v11, v12, 0xbd5c1c4e
	s_delay_alu instid0(VALU_DEP_1) | instskip(NEXT) | instid1(VALU_DEP_1)
	v_fmaak_f32 v12, v11, v12, 0x3e088382
	v_fmaak_f32 v12, v11, v12, 0xbeaaaa99
	s_delay_alu instid0(VALU_DEP_1) | instskip(NEXT) | instid1(VALU_DEP_1)
	v_mul_f32_e64 v12, |v50|, v12
	v_fma_f32 v11, v11, v12, |v50|
.LBB81_65:                              ;   in Loop: Header=BB81_9 Depth=1
	s_or_b32 exec_lo, exec_lo, s25
	v_cmp_ngt_f32_e64 s25, 0x3f200000, |v53|
                                        ; implicit-def: $vgpr12
	s_and_saveexec_b32 s26, s25
	s_delay_alu instid0(SALU_CYCLE_1)
	s_xor_b32 s25, exec_lo, s26
	s_cbranch_execz .LBB81_67
; %bb.66:                               ;   in Loop: Header=BB81_9 Depth=1
	v_add_f32_e64 v12, |v53|, |v53|
	s_delay_alu instid0(VALU_DEP_1) | instskip(SKIP_1) | instid1(VALU_DEP_2)
	v_mul_f32_e32 v13, 0x3fb8aa3b, v12
	v_cmp_ngt_f32_e32 vcc_lo, 0xc2ce8ed0, v12
	v_rndne_f32_e32 v14, v13
	v_fma_f32 v15, 0x3fb8aa3b, v12, -v13
	s_delay_alu instid0(VALU_DEP_2) | instskip(NEXT) | instid1(VALU_DEP_2)
	v_sub_f32_e32 v13, v13, v14
	v_fmac_f32_e32 v15, 0x32a5705f, v12
	v_cvt_i32_f32_e32 v14, v14
	s_delay_alu instid0(VALU_DEP_2) | instskip(NEXT) | instid1(VALU_DEP_1)
	v_add_f32_e32 v13, v13, v15
	v_exp_f32_e32 v13, v13
	v_nop
	s_delay_alu instid0(TRANS32_DEP_1) | instskip(NEXT) | instid1(VALU_DEP_1)
	v_ldexp_f32 v13, v13, v14
	v_cndmask_b32_e32 v13, 0, v13, vcc_lo
	v_cmp_nlt_f32_e32 vcc_lo, 0x42b17218, v12
	s_delay_alu instid0(VALU_DEP_2) | instskip(NEXT) | instid1(VALU_DEP_1)
	v_cndmask_b32_e32 v12, 0x7f800000, v13, vcc_lo
	v_add_f32_e32 v12, 1.0, v12
	s_delay_alu instid0(VALU_DEP_1) | instskip(SKIP_1) | instid1(TRANS32_DEP_1)
	v_rcp_f32_e32 v12, v12
	v_nop
	v_fma_f32 v12, v12, -2.0, 1.0
.LBB81_67:                              ;   in Loop: Header=BB81_9 Depth=1
	s_and_not1_saveexec_b32 s25, s25
	s_cbranch_execz .LBB81_69
; %bb.68:                               ;   in Loop: Header=BB81_9 Depth=1
	v_mul_f32_e32 v12, v53, v53
	s_delay_alu instid0(VALU_DEP_1) | instskip(NEXT) | instid1(VALU_DEP_1)
	v_fmaak_f32 v13, s24, v12, 0x3ca908c9
	v_fmaak_f32 v13, v12, v13, 0xbd5c1c4e
	s_delay_alu instid0(VALU_DEP_1) | instskip(NEXT) | instid1(VALU_DEP_1)
	v_fmaak_f32 v13, v12, v13, 0x3e088382
	v_fmaak_f32 v13, v12, v13, 0xbeaaaa99
	s_delay_alu instid0(VALU_DEP_1) | instskip(NEXT) | instid1(VALU_DEP_1)
	v_mul_f32_e64 v13, |v53|, v13
	v_fma_f32 v12, v12, v13, |v53|
.LBB81_69:                              ;   in Loop: Header=BB81_9 Depth=1
	s_or_b32 exec_lo, exec_lo, s25
	v_cmp_ngt_f32_e64 s25, 0x3f200000, |v54|
                                        ; implicit-def: $vgpr13
	s_and_saveexec_b32 s26, s25
	s_delay_alu instid0(SALU_CYCLE_1)
	s_xor_b32 s25, exec_lo, s26
	s_cbranch_execz .LBB81_71
; %bb.70:                               ;   in Loop: Header=BB81_9 Depth=1
	v_add_f32_e64 v13, |v54|, |v54|
	s_delay_alu instid0(VALU_DEP_1) | instskip(SKIP_1) | instid1(VALU_DEP_2)
	v_mul_f32_e32 v14, 0x3fb8aa3b, v13
	v_cmp_ngt_f32_e32 vcc_lo, 0xc2ce8ed0, v13
	v_rndne_f32_e32 v15, v14
	v_fma_f32 v16, 0x3fb8aa3b, v13, -v14
	s_delay_alu instid0(VALU_DEP_2) | instskip(NEXT) | instid1(VALU_DEP_2)
	v_sub_f32_e32 v14, v14, v15
	v_fmac_f32_e32 v16, 0x32a5705f, v13
	v_cvt_i32_f32_e32 v15, v15
	s_delay_alu instid0(VALU_DEP_2) | instskip(NEXT) | instid1(VALU_DEP_1)
	v_add_f32_e32 v14, v14, v16
	v_exp_f32_e32 v14, v14
	v_nop
	s_delay_alu instid0(TRANS32_DEP_1) | instskip(NEXT) | instid1(VALU_DEP_1)
	v_ldexp_f32 v14, v14, v15
	v_cndmask_b32_e32 v14, 0, v14, vcc_lo
	v_cmp_nlt_f32_e32 vcc_lo, 0x42b17218, v13
	s_delay_alu instid0(VALU_DEP_2) | instskip(NEXT) | instid1(VALU_DEP_1)
	v_cndmask_b32_e32 v13, 0x7f800000, v14, vcc_lo
	v_add_f32_e32 v13, 1.0, v13
	s_delay_alu instid0(VALU_DEP_1) | instskip(SKIP_1) | instid1(TRANS32_DEP_1)
	v_rcp_f32_e32 v13, v13
	v_nop
	v_fma_f32 v13, v13, -2.0, 1.0
.LBB81_71:                              ;   in Loop: Header=BB81_9 Depth=1
	s_and_not1_saveexec_b32 s25, s25
	s_cbranch_execz .LBB81_73
; %bb.72:                               ;   in Loop: Header=BB81_9 Depth=1
	v_mul_f32_e32 v13, v54, v54
	s_delay_alu instid0(VALU_DEP_1) | instskip(NEXT) | instid1(VALU_DEP_1)
	v_fmaak_f32 v14, s24, v13, 0x3ca908c9
	v_fmaak_f32 v14, v13, v14, 0xbd5c1c4e
	s_delay_alu instid0(VALU_DEP_1) | instskip(NEXT) | instid1(VALU_DEP_1)
	v_fmaak_f32 v14, v13, v14, 0x3e088382
	v_fmaak_f32 v14, v13, v14, 0xbeaaaa99
	s_delay_alu instid0(VALU_DEP_1) | instskip(NEXT) | instid1(VALU_DEP_1)
	v_mul_f32_e64 v14, |v54|, v14
	v_fma_f32 v13, v13, v14, |v54|
.LBB81_73:                              ;   in Loop: Header=BB81_9 Depth=1
	s_or_b32 exec_lo, exec_lo, s25
	v_cvt_f32_f16_e32 v52, v6
	v_bfi_b32 v6, 0x7fffffff, v10, v49
	v_cvt_f32_f16_e32 v51, v7
	v_bfi_b32 v7, 0x7fffffff, v11, v50
	v_cvt_f32_f16_e32 v49, v8
	v_cvt_f32_f16_e32 v50, v9
	v_fmac_f32_e32 v52, s3, v6
	v_bfi_b32 v6, 0x7fffffff, v12, v53
	v_bfi_b32 v8, 0x7fffffff, v13, v54
	v_fmac_f32_e32 v51, s3, v7
	s_mul_u64 s[26:27], s[4:5], s[10:11]
	v_add_f32_e32 v7, 0x40051340, v52
	s_delay_alu instid0(VALU_DEP_3) | instskip(NEXT) | instid1(VALU_DEP_3)
	v_dual_fmac_f32 v49, s3, v6 :: v_dual_fmac_f32 v50, s3, v8
	v_add_f32_e32 v6, 0x40051340, v51
	s_lshl_b64 s[26:27], s[26:27], 2
	s_wait_dscnt 0x0
	v_dual_max_num_f32 v53, v1, v1 :: v_dual_max_num_f32 v61, v0, v0
	v_dual_add_f32 v8, 0x40051340, v49 :: v_dual_add_f32 v9, 0x40051340, v50
	v_max3_num_f32 v6, v40, v7, v6
	s_add_nc_u64 s[26:27], s[8:9], s[26:27]
	v_dual_max_num_f32 v62, v5, v5 :: v_dual_max_num_f32 v63, v4, v4
	v_add_nc_u64_e32 v[0:1], s[26:27], v[84:85]
	s_delay_alu instid0(VALU_DEP_3)
	v_max3_num_f32 v60, v6, v8, v9
	v_add_nc_u64_e32 v[6:7], s[26:27], v[86:87]
	v_add_nc_u64_e32 v[8:9], s[26:27], v[88:89]
	v_add_nc_u64_e32 v[10:11], s[26:27], v[90:91]
	ds_bpermute_b32 v2, v2, v60
	v_add_nc_u64_e32 v[0:1], v[0:1], v[68:69]
	s_barrier_signal -1
	v_add_nc_u64_e32 v[54:55], v[6:7], v[68:69]
	v_add_nc_u64_e32 v[56:57], v[8:9], v[68:69]
	;; [unrolled: 1-line block ×3, first 2 shown]
	s_barrier_wait -1
	s_wait_dscnt 0x0
	s_clause 0x3
	global_load_b128 v[4:7], v[0:1], off
	global_load_b128 v[8:11], v[54:55], off
	;; [unrolled: 1-line block ×4, first 2 shown]
	s_wait_xcnt 0x3
	v_dual_max_num_f32 v1, v48, v48 :: v_dual_max_num_f32 v47, v47, v47
	v_max_num_f32_e32 v0, v63, v62
	s_or_b32 s26, s4, 64
	s_delay_alu instid0(SALU_CYCLE_1) | instskip(NEXT) | instid1(VALU_DEP_2)
	s_ashr_i32 s27, s26, 31
	v_max_num_f32_e32 v1, v47, v1
	s_mul_u64 s[26:27], s[26:27], s[10:11]
	s_delay_alu instid0(SALU_CYCLE_1) | instskip(SKIP_3) | instid1(VALU_DEP_3)
	s_lshl_b64 s[26:27], s[26:27], 2
	v_dual_max_num_f32 v48, v2, v2 :: v_dual_max_num_f32 v2, v61, v53
	v_dual_sub_f32 v22, v22, v0 :: v_dual_sub_f32 v25, v25, v0
	v_dual_sub_f32 v42, v42, v0 :: v_dual_sub_f32 v23, v23, v0
	v_max_num_f32_e32 v47, v60, v48
	v_dual_sub_f32 v48, v24, v0 :: v_dual_sub_f32 v45, v45, v1
	s_wait_xcnt 0x1
	s_delay_alu instid0(VALU_DEP_3)
	v_dual_mul_f32 v56, 0x3fb8aa3b, v42 :: v_dual_sub_f32 v31, v31, v1
	v_sub_f32_e32 v44, v44, v1
	ds_bpermute_b32 v24, v26, v47
	v_dual_sub_f32 v26, v43, v1 :: v_dual_sub_f32 v43, v30, v1
	v_dual_mul_f32 v30, 0x3fb8aa3b, v22 :: v_dual_mul_f32 v55, 0x3fb8aa3b, v25
	v_rndne_f32_e32 v123, v56
	s_wait_xcnt 0x0
	s_delay_alu instid0(VALU_DEP_3)
	v_dual_mul_f32 v61, 0x3fb8aa3b, v26 :: v_dual_mul_f32 v58, 0x3fb8aa3b, v31
	v_mul_f32_e32 v59, 0x3fb8aa3b, v44
	v_rndne_f32_e32 v63, v30
	v_fma_f32 v62, 0x3fb8aa3b, v22, -v30
	v_dual_mul_f32 v53, 0x3fb8aa3b, v23 :: v_dual_mul_f32 v54, 0x3fb8aa3b, v48
	v_fma_f32 v126, 0x3fb8aa3b, v31, -v58
	v_dual_mul_f32 v57, 0x3fb8aa3b, v43 :: v_dual_mul_f32 v60, 0x3fb8aa3b, v45
	s_delay_alu instid0(VALU_DEP_3) | instskip(NEXT) | instid1(VALU_DEP_4)
	v_fma_f32 v64, 0x3fb8aa3b, v23, -v53
	v_fma_f32 v66, 0x3fb8aa3b, v48, -v54
	v_sub_f32_e32 v30, v30, v63
	v_rndne_f32_e32 v67, v54
	s_wait_dscnt 0x0
	v_max_num_f32_e32 v24, v24, v24
	v_rndne_f32_e32 v65, v53
	v_fma_f32 v121, 0x3fb8aa3b, v25, -v55
	v_rndne_f32_e32 v122, v55
	v_fmac_f32_e32 v62, 0x32a5705f, v22
	v_max_num_f32_e32 v24, v47, v24
	v_fma_f32 v47, 0x3fb8aa3b, v42, -v56
	s_delay_alu instid0(VALU_DEP_4)
	v_dual_fmac_f32 v66, 0x32a5705f, v48 :: v_dual_sub_f32 v55, v55, v122
	v_sub_f32_e32 v54, v54, v67
	ds_bpermute_b32 v21, v21, v24
	v_dual_sub_f32 v56, v56, v123 :: v_dual_fmac_f32 v47, 0x32a5705f, v42
	v_fma_f32 v124, 0x3fb8aa3b, v43, -v57
	v_rndne_f32_e32 v125, v57
	v_rndne_f32_e32 v127, v58
	v_dual_fmac_f32 v64, 0x32a5705f, v23 :: v_dual_fmac_f32 v121, 0x32a5705f, v25
	v_dual_sub_f32 v53, v53, v65 :: v_dual_add_f32 v30, v30, v62
	v_rndne_f32_e32 v129, v59
	v_dual_fmac_f32 v124, 0x32a5705f, v43 :: v_dual_sub_f32 v57, v57, v125
	s_delay_alu instid0(VALU_DEP_3) | instskip(NEXT) | instid1(VALU_DEP_4)
	v_add_f32_e32 v53, v53, v64
	v_exp_f32_e32 v30, v30
	v_fma_f32 v128, 0x3fb8aa3b, v44, -v59
	v_cvt_i32_f32_e32 v63, v63
	v_cvt_i32_f32_e32 v123, v123
	v_dual_fmac_f32 v126, 0x32a5705f, v31 :: v_dual_sub_f32 v59, v59, v129
	s_wait_dscnt 0x0
	v_dual_max_num_f32 v21, v21, v21 :: v_dual_add_f32 v54, v54, v66
	v_add_f32_e32 v47, v56, v47
	v_exp_f32_e32 v53, v53
	v_cvt_i32_f32_e32 v65, v65
	s_delay_alu instid0(VALU_DEP_3) | instskip(NEXT) | instid1(VALU_DEP_3)
	v_dual_max_num_f32 v21, v24, v21 :: v_dual_sub_f32 v24, v58, v127
	v_exp_f32_e32 v47, v47
	v_add_f32_e32 v56, v57, v124
	v_dual_fmac_f32 v128, 0x32a5705f, v44 :: v_dual_add_f32 v55, v55, v121
	ds_bpermute_b32 v20, v20, v21
	v_add_f32_e32 v24, v24, v126
	v_ldexp_f32 v30, v30, v63
	v_ldexp_f32 v47, v47, v123
	v_cmp_ngt_f32_e32 vcc_lo, 0xc2ce8ed0, v42
	v_cvt_i32_f32_e32 v58, v127
	v_exp_f32_e32 v24, v24
	v_add_f32_e32 v57, v59, v128
	v_ldexp_f32 v53, v53, v65
	v_exp_f32_e32 v54, v54
	v_cvt_i32_f32_e32 v67, v67
	v_exp_f32_e32 v55, v55
	v_cvt_i32_f32_e32 v122, v122
	v_ldexp_f32 v58, v24, v58
	v_exp_f32_e32 v56, v56
	v_cvt_i32_f32_e32 v125, v125
	v_ldexp_f32 v54, v54, v67
	v_fma_f32 v130, 0x3fb8aa3b, v45, -v60
	v_ldexp_f32 v55, v55, v122
	v_add_nc_u32_e32 v121, 0x800, v100
	s_wait_dscnt 0x0
	v_max_num_f32_e32 v20, v20, v20
	v_ldexp_f32 v56, v56, v125
	v_fmac_f32_e32 v130, 0x32a5705f, v45
	v_add_nc_u32_e32 v122, 0x1000, v100
	v_add_nc_u32_e32 v123, 0x1800, v100
	v_dual_max_num_f32 v21, v21, v20 :: v_dual_cndmask_b32 v20, 0, v47
	v_cmp_ngt_f32_e32 vcc_lo, 0xc2ce8ed0, v22
	v_add_nc_u32_e32 v124, 0x2000, v100
	v_add_nc_u32_e32 v126, 0x2800, v100
	s_add_nc_u64 s[26:27], s[8:9], s[26:27]
	v_dual_cndmask_b32 v24, 0, v30 :: v_dual_add_nc_u32 v125, 0x3000, v100
	v_cmp_ngt_f32_e32 vcc_lo, 0xc2ce8ed0, v23
	v_add_nc_u64_e32 v[148:149], s[26:27], v[84:85]
	v_add_nc_u64_e32 v[150:151], s[26:27], v[86:87]
	;; [unrolled: 1-line block ×4, first 2 shown]
	v_cndmask_b32_e32 v30, 0, v53, vcc_lo
	v_cmp_nlt_f32_e32 vcc_lo, 0x42b17218, v42
	ds_bpermute_b32 v3, v3, v21
	v_add_nc_u64_e32 v[148:149], v[148:149], v[68:69]
	v_add_nc_u64_e32 v[156:157], v[150:151], v[68:69]
	;; [unrolled: 1-line block ×3, first 2 shown]
	v_cndmask_b32_e32 v20, 0x7f800000, v20, vcc_lo
	v_cmp_ngt_f32_e32 vcc_lo, 0xc2ce8ed0, v48
	v_add_nc_u64_e32 v[160:161], v[154:155], v[68:69]
	v_sub_f32_e32 v27, v27, v2
	v_cndmask_b32_e32 v42, 0, v54, vcc_lo
	v_cmp_ngt_f32_e32 vcc_lo, 0xc2ce8ed0, v25
	v_cndmask_b32_e32 v47, 0, v55, vcc_lo
	v_cmp_ngt_f32_e32 vcc_lo, 0xc2ce8ed0, v43
	s_wait_dscnt 0x0
	v_max_num_f32_e32 v3, v3, v3
	v_cvt_f16_f32_e32 v53, v20
	v_cndmask_b32_e32 v54, 0, v56, vcc_lo
	v_cmp_nlt_f32_e32 vcc_lo, 0x42b17218, v22
	s_delay_alu instid0(VALU_DEP_4) | instskip(NEXT) | instid1(VALU_DEP_4)
	v_max_num_f32_e32 v3, v21, v3
	v_and_b32_e32 v53, 0xffff, v53
	v_cvt_i32_f32_e32 v21, v129
	v_cndmask_b32_e32 v22, 0x7f800000, v24, vcc_lo
	v_cmp_nlt_f32_e32 vcc_lo, 0x42b17218, v23
	v_sub_f32_e32 v49, v49, v3
	v_mul_u32_u24_e32 v56, 0x10001, v53
	v_dual_sub_f32 v50, v50, v3 :: v_dual_sub_f32 v51, v51, v3
	v_cndmask_b32_e32 v24, 0x7f800000, v30, vcc_lo
	v_cmp_nlt_f32_e32 vcc_lo, 0x42b17218, v48
	v_exp_f32_e32 v48, v57
	v_pk_mul_f16 v39, v39, v56
	v_cndmask_b32_e32 v30, 0x7f800000, v42, vcc_lo
	v_cmp_nlt_f32_e32 vcc_lo, 0x42b17218, v25
	v_rndne_f32_e32 v25, v60
	s_delay_alu instid0(TRANS32_DEP_1) | instskip(NEXT) | instid1(VALU_DEP_2)
	v_ldexp_f32 v21, v48, v21
	v_dual_sub_f32 v53, v60, v25 :: v_dual_cndmask_b32 v42, 0x7f800000, v47
	v_cmp_nlt_f32_e32 vcc_lo, 0x42b17218, v43
	v_fma_f32 v43, 0x3fb8aa3b, v26, -v61
	v_rndne_f32_e32 v47, v61
	v_cndmask_b32_e32 v23, 0x7f800000, v54, vcc_lo
	s_delay_alu instid0(VALU_DEP_2) | instskip(SKIP_1) | instid1(VALU_DEP_2)
	v_dual_fmac_f32 v43, 0x32a5705f, v26 :: v_dual_sub_f32 v54, v61, v47
	v_cmp_ngt_f32_e32 vcc_lo, 0xc2ce8ed0, v31
	v_dual_add_f32 v53, v53, v130 :: v_dual_add_f32 v43, v54, v43
	v_cndmask_b32_e32 v55, 0, v58, vcc_lo
	v_cmp_nlt_f32_e32 vcc_lo, 0x42b17218, v31
	s_delay_alu instid0(VALU_DEP_3)
	v_exp_f32_e32 v48, v53
	v_nop
	v_cvt_i32_f32_e32 v53, v25
	v_exp_f32_e32 v43, v43
	v_dual_sub_f32 v46, v46, v2 :: v_dual_cndmask_b32 v25, 0x7f800000, v55
	v_cvt_i32_f32_e32 v31, v47
	v_cmp_ngt_f32_e32 vcc_lo, 0xc2ce8ed0, v44
	v_ldexp_f32 v48, v48, v53
	s_delay_alu instid0(TRANS32_DEP_1) | instid1(VALU_DEP_3)
	v_ldexp_f32 v31, v43, v31
	v_cndmask_b32_e32 v21, 0, v21, vcc_lo
	v_cmp_ngt_f32_e32 vcc_lo, 0xc2ce8ed0, v26
	s_delay_alu instid0(VALU_DEP_3) | instskip(SKIP_1) | instid1(VALU_DEP_2)
	v_dual_mul_f32 v47, 0x3fb8aa3b, v46 :: v_dual_cndmask_b32 v54, 0, v31
	v_cmp_nlt_f32_e32 vcc_lo, 0x42b17218, v44
	v_fma_f32 v43, 0x3fb8aa3b, v46, -v47
	v_rndne_f32_e32 v53, v47
	v_cndmask_b32_e32 v31, 0x7f800000, v21, vcc_lo
	v_cmp_ngt_f32_e32 vcc_lo, 0xc2ce8ed0, v45
	s_delay_alu instid0(VALU_DEP_3) | instskip(SKIP_1) | instid1(VALU_DEP_2)
	v_dual_sub_f32 v29, v29, v2 :: v_dual_sub_f32 v47, v47, v53
	v_cvt_i32_f32_e32 v53, v53
	v_dual_cndmask_b32 v44, 0, v48 :: v_dual_mul_f32 v55, 0x3fb8aa3b, v29
	v_sub_f32_e32 v48, v28, v2
	v_cmp_nlt_f32_e32 vcc_lo, 0x42b17218, v26
	s_delay_alu instid0(VALU_DEP_3) | instskip(SKIP_3) | instid1(VALU_DEP_3)
	v_fma_f32 v26, 0x3fb8aa3b, v29, -v55
	v_fmac_f32_e32 v43, 0x32a5705f, v46
	v_cndmask_b32_e32 v21, 0x7f800000, v54, vcc_lo
	v_cmp_nlt_f32_e32 vcc_lo, 0x42b17218, v45
	v_dual_fmac_f32 v26, 0x32a5705f, v29 :: v_dual_add_f32 v43, v47, v43
	v_rndne_f32_e32 v47, v55
	s_delay_alu instid0(VALU_DEP_1) | instskip(SKIP_1) | instid1(VALU_DEP_2)
	v_dual_sub_f32 v54, v55, v47 :: v_dual_mul_f32 v55, 0x3fb8aa3b, v48
	v_cvt_i32_f32_e32 v47, v47
	v_add_f32_e32 v26, v54, v26
	v_exp_f32_e32 v28, v43
	v_nop
	v_cndmask_b32_e32 v43, 0x7f800000, v44, vcc_lo
	v_fma_f32 v44, 0x3fb8aa3b, v48, -v55
	v_rndne_f32_e32 v45, v55
	v_cmp_ngt_f32_e32 vcc_lo, 0xc2ce8ed0, v46
	v_exp_f32_e32 v54, v26
	v_ldexp_f32 v28, v28, v53
	s_delay_alu instid0(VALU_DEP_3) | instskip(SKIP_1) | instid1(VALU_DEP_3)
	v_dual_fmac_f32 v44, 0x32a5705f, v48 :: v_dual_sub_f32 v53, v55, v45
	v_cvt_i32_f32_e32 v45, v45
	v_cndmask_b32_e32 v28, 0, v28, vcc_lo
	v_cmp_nlt_f32_e32 vcc_lo, 0x42b17218, v46
	s_delay_alu instid0(VALU_DEP_4) | instskip(SKIP_3) | instid1(VALU_DEP_4)
	v_add_f32_e32 v44, v53, v44
	v_sub_f32_e32 v41, v41, v2
	v_cvt_f16_f32_e32 v57, v21
	v_cndmask_b32_e32 v26, 0x7f800000, v28, vcc_lo
	v_exp_f32_e32 v44, v44
	v_ldexp_f32 v28, v54, v47
	v_cmp_ngt_f32_e32 vcc_lo, 0xc2ce8ed0, v29
	v_mul_f32_e32 v53, 0x3fb8aa3b, v27
	v_and_b32_e32 v57, 0xffff, v57
	s_delay_alu instid0(TRANS32_DEP_1)
	v_ldexp_f32 v44, v44, v45
	v_cndmask_b32_e32 v28, 0, v28, vcc_lo
	v_cmp_ngt_f32_e32 vcc_lo, 0xc2ce8ed0, v48
	v_mul_f32_e32 v55, 0x3fb8aa3b, v41
	v_fma_f32 v46, 0x3fb8aa3b, v27, -v53
	v_rndne_f32_e32 v58, v53
	v_cndmask_b32_e32 v44, 0, v44, vcc_lo
	s_delay_alu instid0(VALU_DEP_4) | instskip(SKIP_3) | instid1(VALU_DEP_4)
	v_fma_f32 v47, 0x3fb8aa3b, v41, -v55
	v_rndne_f32_e32 v54, v55
	v_fmac_f32_e32 v46, 0x32a5705f, v27
	v_cmp_nlt_f32_e32 vcc_lo, 0x42b17218, v29
	v_fmac_f32_e32 v47, 0x32a5705f, v41
	s_delay_alu instid0(VALU_DEP_4) | instskip(SKIP_2) | instid1(VALU_DEP_3)
	v_sub_f32_e32 v55, v55, v54
	v_dual_sub_f32 v53, v53, v58 :: v_dual_cndmask_b32 v28, 0x7f800000, v28
	v_cmp_nlt_f32_e32 vcc_lo, 0x42b17218, v48
	v_add_f32_e32 v45, v55, v47
	v_sub_f32_e32 v47, v52, v3
	v_cvt_i32_f32_e32 v52, v54
	v_add_f32_e32 v46, v53, v46
	v_cvt_i32_f32_e32 v54, v58
	v_exp_f32_e32 v45, v45
	v_sub_f32_e32 v58, v40, v3
	s_delay_alu instid0(VALU_DEP_3) | instskip(NEXT) | instid1(TRANS32_DEP_2)
	v_exp_f32_e32 v46, v46
	v_ldexp_f32 v45, v45, v52
	v_mul_f32_e32 v52, 0x3fb8aa3b, v51
	v_mul_f32_e32 v53, 0x3fb8aa3b, v47
	s_delay_alu instid0(TRANS32_DEP_1) | instskip(SKIP_1) | instid1(VALU_DEP_3)
	v_ldexp_f32 v46, v46, v54
	v_mul_f32_e32 v54, 0x3fb8aa3b, v50
	v_fma_f32 v29, 0x3fb8aa3b, v47, -v53
	v_rndne_f32_e32 v55, v53
	s_delay_alu instid0(VALU_DEP_3) | instskip(NEXT) | instid1(VALU_DEP_3)
	v_rndne_f32_e32 v59, v54
	v_fmac_f32_e32 v29, 0x32a5705f, v47
	s_delay_alu instid0(VALU_DEP_3) | instskip(SKIP_2) | instid1(VALU_DEP_3)
	v_sub_f32_e32 v48, v53, v55
	v_cndmask_b32_e32 v44, 0x7f800000, v44, vcc_lo
	v_cmp_ngt_f32_e32 vcc_lo, 0xc2ce8ed0, v41
	v_add_f32_e32 v29, v48, v29
	v_cndmask_b32_e32 v45, 0, v45, vcc_lo
	v_cmp_ngt_f32_e32 vcc_lo, 0xc2ce8ed0, v27
	s_delay_alu instid0(VALU_DEP_3)
	v_exp_f32_e32 v29, v29
	v_cndmask_b32_e32 v53, 0, v46, vcc_lo
	v_cmp_nlt_f32_e32 vcc_lo, 0x42b17218, v41
	v_cndmask_b32_e32 v46, 0x7f800000, v45, vcc_lo
	v_cmp_nlt_f32_e32 vcc_lo, 0x42b17218, v27
	v_cvt_i32_f32_e32 v27, v55
	v_cndmask_b32_e32 v48, 0x7f800000, v53, vcc_lo
	v_mul_f32_e32 v53, 0x3fb8aa3b, v49
	v_fma_f32 v41, 0x3fb8aa3b, v51, -v52
	v_rndne_f32_e32 v45, v52
	v_ldexp_f32 v27, v29, v27
	v_cmp_ngt_f32_e32 vcc_lo, 0xc2ce8ed0, v47
	v_fma_f32 v29, 0x3fb8aa3b, v49, -v53
	s_delay_alu instid0(VALU_DEP_4) | instskip(SKIP_2) | instid1(VALU_DEP_3)
	v_dual_fmac_f32 v41, 0x32a5705f, v51 :: v_dual_sub_f32 v52, v52, v45
	v_cvt_i32_f32_e32 v45, v45
	v_rndne_f32_e32 v40, v53
	v_add_f32_e32 v41, v52, v41
	v_fma_f32 v55, 0x3fb8aa3b, v50, -v54
	s_delay_alu instid0(VALU_DEP_3) | instskip(SKIP_1) | instid1(VALU_DEP_4)
	v_dual_sub_f32 v52, v53, v40 :: v_dual_sub_f32 v53, v54, v59
	v_cvt_i32_f32_e32 v40, v40
	v_exp_f32_e32 v41, v41
	v_cvt_i32_f32_e32 v59, v59
	v_cvt_f16_f32_e32 v60, v46
	s_delay_alu instid0(TRANS32_DEP_1) | instskip(SKIP_2) | instid1(VALU_DEP_3)
	v_ldexp_f32 v41, v41, v45
	v_cndmask_b32_e32 v27, 0, v27, vcc_lo
	v_cmp_ngt_f32_e32 vcc_lo, 0xc2ce8ed0, v51
	v_cndmask_b32_e32 v41, 0, v41, vcc_lo
	v_cmp_ngt_f32_e32 vcc_lo, 0xc2ce8ed0, v49
	v_fmac_f32_e32 v55, 0x32a5705f, v50
	v_fmac_f32_e32 v29, 0x32a5705f, v49
	s_delay_alu instid0(VALU_DEP_1) | instskip(NEXT) | instid1(VALU_DEP_3)
	v_dual_mul_f32 v54, 0x3fb8aa3b, v58 :: v_dual_add_f32 v29, v52, v29
	v_add_f32_e32 v52, v53, v55
	s_delay_alu instid0(VALU_DEP_2) | instskip(SKIP_1) | instid1(VALU_DEP_4)
	v_fma_f32 v53, 0x3fb8aa3b, v58, -v54
	v_rndne_f32_e32 v55, v54
	v_exp_f32_e32 v29, v29
	s_delay_alu instid0(VALU_DEP_3) | instskip(NEXT) | instid1(VALU_DEP_1)
	v_exp_f32_e32 v52, v52
	v_dual_fmac_f32 v53, 0x32a5705f, v58 :: v_dual_sub_f32 v54, v54, v55
	s_delay_alu instid0(TRANS32_DEP_2) | instskip(NEXT) | instid1(TRANS32_DEP_1)
	v_ldexp_f32 v29, v29, v40
	v_ldexp_f32 v45, v52, v59
	s_delay_alu instid0(VALU_DEP_3) | instskip(SKIP_1) | instid1(VALU_DEP_4)
	v_add_f32_e32 v40, v54, v53
	v_cvt_i32_f32_e32 v54, v55
	v_dual_cndmask_b32 v52, 0, v29 :: v_dual_add_nc_u32 v59, v112, v100
	v_cmp_ngt_f32_e32 vcc_lo, 0xc2ce8ed0, v50
	s_delay_alu instid0(VALU_DEP_4) | instskip(SKIP_2) | instid1(TRANS32_DEP_1)
	v_exp_f32_e32 v40, v40
	v_cndmask_b32_e32 v53, 0, v45, vcc_lo
	v_cmp_nlt_f32_e32 vcc_lo, 0x42b17218, v47
	v_ldexp_f32 v47, v40, v54
	v_cvt_pk_f16_f32 v40, v22, v23
	v_cvt_pk_f16_f32 v54, v42, v43
	v_cndmask_b32_e32 v27, 0x7f800000, v27, vcc_lo
	v_cmp_nlt_f32_e32 vcc_lo, 0x42b17218, v51
	v_cndmask_b32_e32 v29, 0x7f800000, v41, vcc_lo
	v_cmp_nlt_f32_e32 vcc_lo, 0x42b17218, v49
	s_delay_alu instid0(VALU_DEP_4) | instskip(NEXT) | instid1(VALU_DEP_3)
	v_cvt_pk_f16_f32 v41, v26, v27
	v_cvt_pk_f16_f32 v51, v28, v29
	v_cndmask_b32_e32 v45, 0x7f800000, v52, vcc_lo
	v_cmp_nlt_f32_e32 vcc_lo, 0x42b17218, v50
	v_cvt_pk_f16_f32 v50, v24, v25
	v_cvt_pk_f16_f32 v52, v30, v31
	v_cndmask_b32_e32 v49, 0x7f800000, v53, vcc_lo
	v_cvt_pk_f16_f32 v53, v44, v45
	v_cmp_ngt_f32_e32 vcc_lo, 0xc2ce8ed0, v58
	s_delay_alu instid0(VALU_DEP_3)
	v_cvt_pk_f16_f32 v55, v48, v49
	ds_store_2addr_b64 v59, v[40:41], v[50:51] offset1:32
	ds_store_2addr_b64 v59, v[52:53], v[54:55] offset0:64 offset1:96
	s_wait_loadcnt 0x3
	ds_store_b128 v110, v[4:7]
	s_wait_loadcnt 0x2
	ds_store_b128 v113, v[8:11]
	;; [unrolled: 2-line block ×4, first 2 shown]
	s_wait_dscnt 0x0
	s_barrier_signal -1
	s_barrier_wait -1
	ds_load_b128 v[4:7], v112
	v_cndmask_b32_e32 v47, 0, v47, vcc_lo
	v_pk_add_f32 v[8:9], v[26:27], v[28:29]
	v_pk_add_f32 v[10:11], v[22:23], v[24:25]
	v_cmp_nlt_f32_e32 vcc_lo, 0x42b17218, v58
	v_and_b32_e32 v16, 0xffff, v60
	v_mul_u32_u24_e32 v24, 0x10001, v57
	v_pk_add_f32 v[12:13], v[44:45], v[8:9]
	v_pk_add_f32 v[14:15], v[30:31], v[10:11]
	v_cndmask_b32_e32 v47, 0x7f800000, v47, vcc_lo
	ds_load_2addr_b64 v[8:11], v100 offset1:32
	v_mul_u32_u24_e32 v25, 0x10001, v16
	v_pk_add_f32 v[12:13], v[48:49], v[12:13]
	v_pk_add_f32 v[14:15], v[42:43], v[14:15]
	v_cvt_f16_f32_e32 v17, v47
	v_pk_mul_f16 v26, v37, v24
	v_pk_mul_f16 v27, v35, v25
	v_pk_fma_f32 v[70:71], v[70:71], v[46:47], v[12:13]
	v_pk_fma_f32 v[72:73], v[72:73], v[20:21], v[14:15]
	v_and_b32_e32 v16, 0xffff, v17
	ds_load_b128 v[12:15], v112 offset:16
	s_wait_dscnt 0x2
	v_and_b32_e32 v17, 0xffff, v4
	v_lshrrev_b32_e32 v4, 16, v4
	v_and_b32_e32 v18, 0xffff, v5
	v_mul_u32_u24_e32 v16, 0x10001, v16
	v_lshrrev_b32_e32 v5, 16, v5
	v_mul_u32_u24_e32 v29, 0x10001, v17
	v_mul_u32_u24_e32 v4, 0x10001, v4
	;; [unrolled: 1-line block ×3, first 2 shown]
	v_pk_mul_f16 v31, v32, v16
	v_mul_u32_u24_e32 v32, 0x10001, v5
	s_wait_dscnt 0x1
	v_pk_mul_f16 v5, v8, v29
	v_pk_mul_f16 v28, v33, v16
	v_pk_mul_f16 v33, v8, v4
	v_pk_mul_f16 v35, v8, v30
	v_pk_fma_f16 v26, v9, v4, v26
	v_pk_fma_f16 v37, v38, v56, v5
	v_and_b32_e32 v4, 0xffff, v6
	v_lshrrev_b32_e32 v5, 16, v6
	ds_load_b128 v[16:19], v112 offset:32
	ds_load_b128 v[20:23], v112 offset:48
	v_pk_fma_f16 v24, v36, v24, v33
	v_pk_fma_f16 v25, v34, v25, v35
	;; [unrolled: 1-line block ×5, first 2 shown]
	v_and_b32_e32 v29, 0xffff, v7
	v_lshrrev_b32_e32 v30, 16, v7
	v_mul_u32_u24_e32 v33, 0x10001, v4
	v_pk_fma_f16 v9, v9, v32, v31
	s_wait_dscnt 0x2
	v_and_b32_e32 v32, 0xffff, v13
	v_lshrrev_b32_e32 v13, 16, v13
	v_mul_u32_u24_e32 v34, 0x10001, v5
	ds_load_2addr_b64 v[4:7], v100 offset0:64 offset1:96
	v_mul_u32_u24_e32 v29, 0x10001, v29
	v_mul_u32_u24_e32 v30, 0x10001, v30
	v_pk_fma_f16 v31, v10, v33, v37
	v_pk_fma_f16 v24, v10, v34, v24
	v_mul_u32_u24_e32 v13, 0x10001, v13
	v_pk_fma_f16 v25, v10, v29, v25
	v_pk_fma_f16 v8, v10, v30, v8
	;; [unrolled: 1-line block ×3, first 2 shown]
	v_and_b32_e32 v28, 0xffff, v12
	v_lshrrev_b32_e32 v12, 16, v12
	v_pk_fma_f16 v27, v11, v29, v27
	v_mul_u32_u24_e32 v29, 0x10001, v32
	v_pk_fma_f16 v26, v11, v34, v26
	v_mul_u32_u24_e32 v28, 0x10001, v28
	v_mul_u32_u24_e32 v12, 0x10001, v12
	v_pk_fma_f16 v30, v11, v30, v9
	v_lshrrev_b32_e32 v9, 16, v14
	s_wait_dscnt 0x0
	v_pk_fma_f16 v31, v4, v28, v31
	v_pk_fma_f16 v24, v4, v12, v24
	;; [unrolled: 1-line block ×4, first 2 shown]
	v_and_b32_e32 v8, 0xffff, v14
	v_pk_fma_f16 v28, v5, v28, v10
	v_pk_fma_f16 v12, v5, v12, v26
	;; [unrolled: 1-line block ×3, first 2 shown]
	v_and_b32_e32 v26, 0xffff, v15
	v_lshrrev_b32_e32 v15, 16, v15
	v_mul_u32_u24_e32 v27, 0x10001, v8
	v_mul_u32_u24_e32 v29, 0x10001, v9
	ds_load_2addr_b64 v[8:11], v100 offset0:128 offset1:160
	v_mul_u32_u24_e32 v26, 0x10001, v26
	v_mul_u32_u24_e32 v15, 0x10001, v15
	v_pk_fma_f16 v5, v5, v13, v30
	v_pk_fma_f16 v13, v6, v27, v31
	;; [unrolled: 1-line block ×6, first 2 shown]
	v_and_b32_e32 v27, 0xffff, v16
	v_lshrrev_b32_e32 v16, 16, v16
	v_and_b32_e32 v28, 0xffff, v17
	v_lshrrev_b32_e32 v17, 16, v17
	v_pk_fma_f16 v14, v7, v26, v14
	v_mul_u32_u24_e32 v26, 0x10001, v27
	v_mul_u32_u24_e32 v16, 0x10001, v16
	v_mul_u32_u24_e32 v27, 0x10001, v28
	v_pk_fma_f16 v15, v7, v15, v5
	v_lshrrev_b32_e32 v5, 16, v18
	v_mul_u32_u24_e32 v17, 0x10001, v17
	v_pk_fma_f16 v12, v7, v29, v12
	s_wait_dscnt 0x0
	v_pk_fma_f16 v13, v8, v26, v13
	v_pk_fma_f16 v24, v8, v16, v24
	;; [unrolled: 1-line block ×4, first 2 shown]
	v_and_b32_e32 v4, 0xffff, v18
	v_pk_fma_f16 v26, v9, v26, v6
	v_pk_fma_f16 v12, v9, v16, v12
	;; [unrolled: 1-line block ×3, first 2 shown]
	v_and_b32_e32 v16, 0xffff, v19
	v_lshrrev_b32_e32 v18, 16, v19
	v_mul_u32_u24_e32 v19, 0x10001, v4
	v_mul_u32_u24_e32 v27, 0x10001, v5
	ds_load_2addr_b64 v[4:7], v100 offset0:192 offset1:224
	v_mul_u32_u24_e32 v16, 0x10001, v16
	v_mul_u32_u24_e32 v18, 0x10001, v18
	v_pk_fma_f16 v9, v9, v17, v15
	v_pk_fma_f16 v13, v10, v19, v13
	;; [unrolled: 1-line block ×6, first 2 shown]
	v_and_b32_e32 v19, 0xffff, v20
	v_lshrrev_b32_e32 v20, 16, v20
	v_and_b32_e32 v24, 0xffff, v21
	v_lshrrev_b32_e32 v21, 16, v21
	v_pk_fma_f16 v14, v11, v16, v14
	v_mul_u32_u24_e32 v16, 0x10001, v19
	v_mul_u32_u24_e32 v19, 0x10001, v20
	;; [unrolled: 1-line block ×4, first 2 shown]
	v_pk_fma_f16 v12, v11, v27, v12
	v_pk_fma_f16 v18, v11, v18, v9
	s_wait_dscnt 0x0
	v_pk_fma_f16 v24, v4, v16, v13
	v_pk_fma_f16 v25, v4, v19, v15
	;; [unrolled: 1-line block ×5, first 2 shown]
	ds_load_b128 v[8:11], v112 offset:64
	v_pk_fma_f16 v19, v5, v19, v12
	v_pk_fma_f16 v20, v5, v20, v14
	v_and_b32_e32 v12, 0xffff, v22
	v_dual_lshrrev_b32 v13, 16, v22 :: v_dual_lshrrev_b32 v22, 16, v23
	v_and_b32_e32 v14, 0xffff, v23
	v_pk_fma_f16 v5, v5, v21, v18
	s_delay_alu instid0(VALU_DEP_4) | instskip(NEXT) | instid1(VALU_DEP_4)
	v_mul_u32_u24_e32 v23, 0x10001, v12
	v_mul_u32_u24_e32 v26, 0x10001, v13
	;; [unrolled: 1-line block ×4, first 2 shown]
	ds_load_2addr_b64 v[12:15], v121 offset1:32
	v_pk_fma_f16 v21, v6, v23, v24
	v_pk_fma_f16 v24, v6, v26, v25
	;; [unrolled: 1-line block ×6, first 2 shown]
	ds_load_b128 v[16:19], v112 offset:80
	s_wait_dscnt 0x2
	v_and_b32_e32 v26, 0xffff, v8
	v_lshrrev_b32_e32 v8, 16, v8
	v_and_b32_e32 v28, 0xffff, v9
	v_lshrrev_b32_e32 v9, 16, v9
	v_pk_fma_f16 v20, v7, v27, v20
	v_mul_u32_u24_e32 v26, 0x10001, v26
	v_mul_u32_u24_e32 v8, 0x10001, v8
	;; [unrolled: 1-line block ×4, first 2 shown]
	v_pk_fma_f16 v22, v7, v22, v5
	v_lshrrev_b32_e32 v5, 16, v10
	s_wait_dscnt 0x1
	v_pk_fma_f16 v21, v12, v26, v21
	v_pk_fma_f16 v24, v12, v8, v24
	;; [unrolled: 1-line block ×4, first 2 shown]
	v_and_b32_e32 v4, 0xffff, v10
	v_pk_fma_f16 v26, v13, v26, v6
	v_pk_fma_f16 v8, v13, v8, v23
	;; [unrolled: 1-line block ×3, first 2 shown]
	v_and_b32_e32 v20, 0xffff, v11
	v_lshrrev_b32_e32 v11, 16, v11
	v_mul_u32_u24_e32 v23, 0x10001, v4
	v_mul_u32_u24_e32 v27, 0x10001, v5
	ds_load_2addr_b64 v[4:7], v121 offset0:64 offset1:96
	v_mul_u32_u24_e32 v20, 0x10001, v20
	v_mul_u32_u24_e32 v11, 0x10001, v11
	v_pk_fma_f16 v9, v13, v9, v22
	v_pk_fma_f16 v13, v14, v23, v21
	;; [unrolled: 1-line block ×7, first 2 shown]
	s_wait_dscnt 0x1
	v_and_b32_e32 v8, 0xffff, v16
	v_lshrrev_b32_e32 v16, 16, v16
	v_and_b32_e32 v24, 0xffff, v17
	v_lshrrev_b32_e32 v17, 16, v17
	v_pk_fma_f16 v20, v15, v20, v10
	v_mul_u32_u24_e32 v8, 0x10001, v8
	v_mul_u32_u24_e32 v16, 0x10001, v16
	;; [unrolled: 1-line block ×4, first 2 shown]
	v_pk_fma_f16 v25, v15, v11, v9
	s_wait_dscnt 0x0
	v_pk_fma_f16 v26, v4, v8, v13
	v_pk_fma_f16 v27, v5, v8, v14
	ds_load_b128 v[8:11], v112 offset:96
	v_pk_fma_f16 v21, v4, v16, v21
	v_pk_fma_f16 v22, v4, v24, v22
	;; [unrolled: 1-line block ×3, first 2 shown]
	v_and_b32_e32 v12, 0xffff, v18
	v_dual_lshrrev_b32 v13, 16, v18 :: v_dual_lshrrev_b32 v18, 16, v19
	v_and_b32_e32 v14, 0xffff, v19
	v_pk_fma_f16 v16, v5, v16, v23
	v_pk_fma_f16 v20, v5, v24, v20
	v_mul_u32_u24_e32 v19, 0x10001, v12
	v_mul_u32_u24_e32 v23, 0x10001, v13
	;; [unrolled: 1-line block ×3, first 2 shown]
	ds_load_2addr_b64 v[12:15], v121 offset0:128 offset1:160
	v_mul_u32_u24_e32 v28, 0x10001, v18
	v_pk_fma_f16 v5, v5, v17, v25
	v_pk_fma_f16 v25, v6, v19, v26
	;; [unrolled: 1-line block ×7, first 2 shown]
	ds_load_b128 v[16:19], v112 offset:112
	s_wait_dscnt 0x2
	v_and_b32_e32 v26, 0xffff, v8
	v_lshrrev_b32_e32 v8, 16, v8
	v_and_b32_e32 v27, 0xffff, v9
	v_lshrrev_b32_e32 v9, 16, v9
	v_pk_fma_f16 v20, v7, v24, v20
	v_mul_u32_u24_e32 v24, 0x10001, v26
	v_mul_u32_u24_e32 v8, 0x10001, v8
	;; [unrolled: 1-line block ×4, first 2 shown]
	v_pk_fma_f16 v27, v7, v28, v5
	s_wait_dscnt 0x1
	v_pk_fma_f16 v25, v12, v24, v25
	v_pk_fma_f16 v21, v12, v8, v21
	;; [unrolled: 1-line block ×4, first 2 shown]
	v_and_b32_e32 v4, 0xffff, v10
	v_lshrrev_b32_e32 v5, 16, v10
	v_pk_fma_f16 v24, v13, v24, v6
	v_pk_fma_f16 v8, v13, v8, v23
	;; [unrolled: 1-line block ×3, first 2 shown]
	v_and_b32_e32 v20, 0xffff, v11
	v_lshrrev_b32_e32 v11, 16, v11
	v_mul_u32_u24_e32 v23, 0x10001, v4
	v_mul_u32_u24_e32 v26, 0x10001, v5
	ds_load_2addr_b64 v[4:7], v121 offset0:192 offset1:224
	v_mul_u32_u24_e32 v20, 0x10001, v20
	v_mul_u32_u24_e32 v11, 0x10001, v11
	v_pk_fma_f16 v9, v13, v9, v27
	v_pk_fma_f16 v13, v14, v23, v25
	;; [unrolled: 1-line block ×6, first 2 shown]
	s_wait_dscnt 0x1
	v_and_b32_e32 v23, 0xffff, v16
	v_lshrrev_b32_e32 v16, 16, v16
	v_pk_fma_f16 v8, v15, v26, v8
	v_and_b32_e32 v24, 0xffff, v17
	v_lshrrev_b32_e32 v17, 16, v17
	v_pk_fma_f16 v20, v15, v20, v10
	v_mul_u32_u24_e32 v10, 0x10001, v23
	v_mul_u32_u24_e32 v16, 0x10001, v16
	v_mul_u32_u24_e32 v23, 0x10001, v24
	v_mul_u32_u24_e32 v17, 0x10001, v17
	v_pk_fma_f16 v24, v15, v11, v9
	s_wait_dscnt 0x0
	v_pk_fma_f16 v25, v4, v10, v13
	v_pk_fma_f16 v21, v4, v16, v21
	;; [unrolled: 1-line block ×4, first 2 shown]
	ds_load_b128 v[8:11], v112 offset:128
	v_pk_fma_f16 v22, v4, v23, v22
	v_pk_fma_f16 v4, v4, v17, v12
	v_and_b32_e32 v12, 0xffff, v18
	v_dual_lshrrev_b32 v13, 16, v18 :: v_dual_lshrrev_b32 v18, 16, v19
	v_and_b32_e32 v14, 0xffff, v19
	v_pk_fma_f16 v20, v5, v23, v20
	s_delay_alu instid0(VALU_DEP_4) | instskip(NEXT) | instid1(VALU_DEP_4)
	v_mul_u32_u24_e32 v19, 0x10001, v12
	v_mul_u32_u24_e32 v23, 0x10001, v13
	;; [unrolled: 1-line block ×4, first 2 shown]
	ds_load_2addr_b64 v[12:15], v122 offset1:32
	v_pk_fma_f16 v5, v5, v17, v24
	v_pk_fma_f16 v24, v6, v19, v25
	;; [unrolled: 1-line block ×7, first 2 shown]
	ds_load_b128 v[16:19], v112 offset:144
	s_wait_dscnt 0x2
	v_and_b32_e32 v25, 0xffff, v8
	v_lshrrev_b32_e32 v8, 16, v8
	v_and_b32_e32 v26, 0xffff, v9
	v_lshrrev_b32_e32 v9, 16, v9
	v_pk_fma_f16 v20, v7, v27, v20
	v_mul_u32_u24_e32 v25, 0x10001, v25
	v_mul_u32_u24_e32 v8, 0x10001, v8
	;; [unrolled: 1-line block ×4, first 2 shown]
	v_pk_fma_f16 v27, v7, v28, v5
	v_lshrrev_b32_e32 v5, 16, v10
	s_wait_dscnt 0x1
	v_pk_fma_f16 v24, v12, v25, v24
	v_pk_fma_f16 v21, v12, v8, v21
	;; [unrolled: 1-line block ×4, first 2 shown]
	v_and_b32_e32 v4, 0xffff, v10
	v_pk_fma_f16 v25, v13, v25, v6
	v_pk_fma_f16 v8, v13, v8, v23
	;; [unrolled: 1-line block ×3, first 2 shown]
	v_and_b32_e32 v20, 0xffff, v11
	v_lshrrev_b32_e32 v11, 16, v11
	v_mul_u32_u24_e32 v23, 0x10001, v4
	v_mul_u32_u24_e32 v26, 0x10001, v5
	ds_load_2addr_b64 v[4:7], v122 offset0:64 offset1:96
	v_mul_u32_u24_e32 v20, 0x10001, v20
	v_mul_u32_u24_e32 v11, 0x10001, v11
	v_pk_fma_f16 v9, v13, v9, v27
	v_pk_fma_f16 v13, v14, v23, v24
	;; [unrolled: 1-line block ×7, first 2 shown]
	s_wait_dscnt 0x1
	v_and_b32_e32 v8, 0xffff, v16
	v_lshrrev_b32_e32 v16, 16, v16
	v_and_b32_e32 v24, 0xffff, v17
	v_lshrrev_b32_e32 v17, 16, v17
	v_pk_fma_f16 v20, v15, v20, v10
	v_mul_u32_u24_e32 v8, 0x10001, v8
	v_mul_u32_u24_e32 v16, 0x10001, v16
	;; [unrolled: 1-line block ×4, first 2 shown]
	v_pk_fma_f16 v25, v15, v11, v9
	s_wait_dscnt 0x0
	v_pk_fma_f16 v26, v4, v8, v13
	v_pk_fma_f16 v27, v5, v8, v14
	ds_load_b128 v[8:11], v112 offset:160
	v_pk_fma_f16 v21, v4, v16, v21
	v_pk_fma_f16 v22, v4, v24, v22
	;; [unrolled: 1-line block ×3, first 2 shown]
	v_and_b32_e32 v12, 0xffff, v18
	v_dual_lshrrev_b32 v13, 16, v18 :: v_dual_lshrrev_b32 v18, 16, v19
	v_and_b32_e32 v14, 0xffff, v19
	v_pk_fma_f16 v16, v5, v16, v23
	v_pk_fma_f16 v20, v5, v24, v20
	v_mul_u32_u24_e32 v19, 0x10001, v12
	v_mul_u32_u24_e32 v23, 0x10001, v13
	;; [unrolled: 1-line block ×3, first 2 shown]
	ds_load_2addr_b64 v[12:15], v122 offset0:128 offset1:160
	v_mul_u32_u24_e32 v28, 0x10001, v18
	v_pk_fma_f16 v5, v5, v17, v25
	v_pk_fma_f16 v25, v6, v19, v26
	;; [unrolled: 1-line block ×7, first 2 shown]
	ds_load_b128 v[16:19], v112 offset:176
	s_wait_dscnt 0x2
	v_and_b32_e32 v26, 0xffff, v8
	v_lshrrev_b32_e32 v8, 16, v8
	v_and_b32_e32 v27, 0xffff, v9
	v_lshrrev_b32_e32 v9, 16, v9
	v_pk_fma_f16 v20, v7, v24, v20
	v_mul_u32_u24_e32 v24, 0x10001, v26
	v_mul_u32_u24_e32 v8, 0x10001, v8
	;; [unrolled: 1-line block ×4, first 2 shown]
	v_pk_fma_f16 v27, v7, v28, v5
	s_wait_dscnt 0x1
	v_pk_fma_f16 v25, v12, v24, v25
	v_pk_fma_f16 v21, v12, v8, v21
	v_pk_fma_f16 v22, v12, v26, v22
	v_pk_fma_f16 v12, v12, v9, v4
	v_and_b32_e32 v4, 0xffff, v10
	v_lshrrev_b32_e32 v5, 16, v10
	v_pk_fma_f16 v24, v13, v24, v6
	v_pk_fma_f16 v8, v13, v8, v23
	;; [unrolled: 1-line block ×3, first 2 shown]
	v_and_b32_e32 v20, 0xffff, v11
	v_lshrrev_b32_e32 v11, 16, v11
	v_mul_u32_u24_e32 v23, 0x10001, v4
	v_mul_u32_u24_e32 v26, 0x10001, v5
	ds_load_2addr_b64 v[4:7], v122 offset0:192 offset1:224
	v_mul_u32_u24_e32 v20, 0x10001, v20
	v_mul_u32_u24_e32 v11, 0x10001, v11
	v_pk_fma_f16 v9, v13, v9, v27
	v_pk_fma_f16 v13, v14, v23, v25
	;; [unrolled: 1-line block ×6, first 2 shown]
	s_wait_dscnt 0x1
	v_and_b32_e32 v23, 0xffff, v16
	v_lshrrev_b32_e32 v16, 16, v16
	v_pk_fma_f16 v8, v15, v26, v8
	v_and_b32_e32 v24, 0xffff, v17
	v_lshrrev_b32_e32 v17, 16, v17
	v_pk_fma_f16 v20, v15, v20, v10
	v_mul_u32_u24_e32 v10, 0x10001, v23
	v_mul_u32_u24_e32 v16, 0x10001, v16
	;; [unrolled: 1-line block ×4, first 2 shown]
	v_pk_fma_f16 v24, v15, v11, v9
	s_wait_dscnt 0x0
	v_pk_fma_f16 v25, v4, v10, v13
	v_pk_fma_f16 v21, v4, v16, v21
	;; [unrolled: 1-line block ×4, first 2 shown]
	ds_load_b128 v[8:11], v112 offset:192
	v_pk_fma_f16 v22, v4, v23, v22
	v_pk_fma_f16 v4, v4, v17, v12
	v_and_b32_e32 v12, 0xffff, v18
	v_dual_lshrrev_b32 v13, 16, v18 :: v_dual_lshrrev_b32 v18, 16, v19
	v_and_b32_e32 v14, 0xffff, v19
	v_pk_fma_f16 v20, v5, v23, v20
	s_delay_alu instid0(VALU_DEP_4) | instskip(NEXT) | instid1(VALU_DEP_4)
	v_mul_u32_u24_e32 v19, 0x10001, v12
	v_mul_u32_u24_e32 v23, 0x10001, v13
	;; [unrolled: 1-line block ×4, first 2 shown]
	ds_load_2addr_b64 v[12:15], v123 offset1:32
	v_pk_fma_f16 v5, v5, v17, v24
	v_pk_fma_f16 v24, v6, v19, v25
	;; [unrolled: 1-line block ×7, first 2 shown]
	ds_load_b128 v[16:19], v112 offset:208
	s_wait_dscnt 0x2
	v_and_b32_e32 v25, 0xffff, v8
	v_lshrrev_b32_e32 v8, 16, v8
	v_and_b32_e32 v26, 0xffff, v9
	v_lshrrev_b32_e32 v9, 16, v9
	v_pk_fma_f16 v20, v7, v27, v20
	v_mul_u32_u24_e32 v25, 0x10001, v25
	v_mul_u32_u24_e32 v8, 0x10001, v8
	v_mul_u32_u24_e32 v26, 0x10001, v26
	v_mul_u32_u24_e32 v9, 0x10001, v9
	v_pk_fma_f16 v27, v7, v28, v5
	v_lshrrev_b32_e32 v5, 16, v10
	s_wait_dscnt 0x1
	v_pk_fma_f16 v24, v12, v25, v24
	v_pk_fma_f16 v21, v12, v8, v21
	v_pk_fma_f16 v22, v12, v26, v22
	v_pk_fma_f16 v12, v12, v9, v4
	v_and_b32_e32 v4, 0xffff, v10
	v_pk_fma_f16 v25, v13, v25, v6
	v_pk_fma_f16 v8, v13, v8, v23
	;; [unrolled: 1-line block ×3, first 2 shown]
	v_and_b32_e32 v20, 0xffff, v11
	v_lshrrev_b32_e32 v11, 16, v11
	v_mul_u32_u24_e32 v23, 0x10001, v4
	v_mul_u32_u24_e32 v26, 0x10001, v5
	ds_load_2addr_b64 v[4:7], v123 offset0:64 offset1:96
	v_mul_u32_u24_e32 v20, 0x10001, v20
	v_mul_u32_u24_e32 v11, 0x10001, v11
	v_pk_fma_f16 v9, v13, v9, v27
	v_pk_fma_f16 v13, v14, v23, v24
	;; [unrolled: 1-line block ×7, first 2 shown]
	s_wait_dscnt 0x1
	v_and_b32_e32 v8, 0xffff, v16
	v_lshrrev_b32_e32 v16, 16, v16
	v_and_b32_e32 v24, 0xffff, v17
	v_lshrrev_b32_e32 v17, 16, v17
	v_pk_fma_f16 v20, v15, v20, v10
	v_mul_u32_u24_e32 v8, 0x10001, v8
	v_mul_u32_u24_e32 v16, 0x10001, v16
	;; [unrolled: 1-line block ×4, first 2 shown]
	v_pk_fma_f16 v25, v15, v11, v9
	s_wait_dscnt 0x0
	v_pk_fma_f16 v26, v4, v8, v13
	v_pk_fma_f16 v27, v5, v8, v14
	ds_load_b128 v[8:11], v112 offset:224
	v_pk_fma_f16 v21, v4, v16, v21
	v_pk_fma_f16 v22, v4, v24, v22
	;; [unrolled: 1-line block ×3, first 2 shown]
	v_and_b32_e32 v12, 0xffff, v18
	v_dual_lshrrev_b32 v13, 16, v18 :: v_dual_lshrrev_b32 v18, 16, v19
	v_and_b32_e32 v14, 0xffff, v19
	v_pk_fma_f16 v16, v5, v16, v23
	v_pk_fma_f16 v20, v5, v24, v20
	v_mul_u32_u24_e32 v19, 0x10001, v12
	v_mul_u32_u24_e32 v23, 0x10001, v13
	;; [unrolled: 1-line block ×3, first 2 shown]
	ds_load_2addr_b64 v[12:15], v123 offset0:128 offset1:160
	v_mul_u32_u24_e32 v28, 0x10001, v18
	v_pk_fma_f16 v5, v5, v17, v25
	v_pk_fma_f16 v25, v6, v19, v26
	;; [unrolled: 1-line block ×7, first 2 shown]
	ds_load_b128 v[16:19], v112 offset:240
	s_wait_dscnt 0x2
	v_and_b32_e32 v26, 0xffff, v8
	v_lshrrev_b32_e32 v8, 16, v8
	v_and_b32_e32 v27, 0xffff, v9
	v_lshrrev_b32_e32 v9, 16, v9
	v_pk_fma_f16 v20, v7, v24, v20
	v_mul_u32_u24_e32 v24, 0x10001, v26
	v_mul_u32_u24_e32 v8, 0x10001, v8
	;; [unrolled: 1-line block ×4, first 2 shown]
	v_pk_fma_f16 v27, v7, v28, v5
	s_wait_dscnt 0x1
	v_pk_fma_f16 v25, v12, v24, v25
	v_pk_fma_f16 v21, v12, v8, v21
	;; [unrolled: 1-line block ×4, first 2 shown]
	v_and_b32_e32 v4, 0xffff, v10
	v_lshrrev_b32_e32 v5, 16, v10
	v_pk_fma_f16 v24, v13, v24, v6
	v_pk_fma_f16 v8, v13, v8, v23
	;; [unrolled: 1-line block ×3, first 2 shown]
	v_and_b32_e32 v20, 0xffff, v11
	v_lshrrev_b32_e32 v11, 16, v11
	v_mul_u32_u24_e32 v23, 0x10001, v4
	v_mul_u32_u24_e32 v26, 0x10001, v5
	ds_load_2addr_b64 v[4:7], v123 offset0:192 offset1:224
	v_mul_u32_u24_e32 v20, 0x10001, v20
	v_mul_u32_u24_e32 v11, 0x10001, v11
	v_pk_fma_f16 v9, v13, v9, v27
	v_pk_fma_f16 v13, v14, v23, v25
	;; [unrolled: 1-line block ×6, first 2 shown]
	s_wait_dscnt 0x1
	v_and_b32_e32 v23, 0xffff, v16
	v_lshrrev_b32_e32 v16, 16, v16
	v_pk_fma_f16 v8, v15, v26, v8
	v_and_b32_e32 v24, 0xffff, v17
	v_lshrrev_b32_e32 v17, 16, v17
	v_pk_fma_f16 v20, v15, v20, v10
	v_mul_u32_u24_e32 v10, 0x10001, v23
	v_mul_u32_u24_e32 v16, 0x10001, v16
	;; [unrolled: 1-line block ×4, first 2 shown]
	v_pk_fma_f16 v24, v15, v11, v9
	s_wait_dscnt 0x0
	v_pk_fma_f16 v25, v4, v10, v13
	v_pk_fma_f16 v21, v4, v16, v21
	;; [unrolled: 1-line block ×4, first 2 shown]
	ds_load_b128 v[8:11], v112 offset:256
	v_pk_fma_f16 v22, v4, v23, v22
	v_pk_fma_f16 v4, v4, v17, v12
	v_and_b32_e32 v12, 0xffff, v18
	v_dual_lshrrev_b32 v13, 16, v18 :: v_dual_lshrrev_b32 v18, 16, v19
	v_and_b32_e32 v14, 0xffff, v19
	v_pk_fma_f16 v20, v5, v23, v20
	s_delay_alu instid0(VALU_DEP_4) | instskip(NEXT) | instid1(VALU_DEP_4)
	v_mul_u32_u24_e32 v19, 0x10001, v12
	v_mul_u32_u24_e32 v23, 0x10001, v13
	v_mul_u32_u24_e32 v28, 0x10001, v18
	v_mul_u32_u24_e32 v27, 0x10001, v14
	ds_load_2addr_b64 v[12:15], v124 offset1:32
	v_pk_fma_f16 v5, v5, v17, v24
	v_pk_fma_f16 v24, v6, v19, v25
	;; [unrolled: 1-line block ×7, first 2 shown]
	ds_load_b128 v[16:19], v112 offset:272
	s_wait_dscnt 0x2
	v_and_b32_e32 v25, 0xffff, v8
	v_lshrrev_b32_e32 v8, 16, v8
	v_and_b32_e32 v26, 0xffff, v9
	v_lshrrev_b32_e32 v9, 16, v9
	v_pk_fma_f16 v20, v7, v27, v20
	v_mul_u32_u24_e32 v25, 0x10001, v25
	v_mul_u32_u24_e32 v8, 0x10001, v8
	;; [unrolled: 1-line block ×4, first 2 shown]
	v_pk_fma_f16 v27, v7, v28, v5
	v_lshrrev_b32_e32 v5, 16, v10
	s_wait_dscnt 0x1
	v_pk_fma_f16 v24, v12, v25, v24
	v_pk_fma_f16 v21, v12, v8, v21
	;; [unrolled: 1-line block ×4, first 2 shown]
	v_and_b32_e32 v4, 0xffff, v10
	v_pk_fma_f16 v25, v13, v25, v6
	v_pk_fma_f16 v8, v13, v8, v23
	;; [unrolled: 1-line block ×3, first 2 shown]
	v_and_b32_e32 v20, 0xffff, v11
	v_lshrrev_b32_e32 v11, 16, v11
	v_mul_u32_u24_e32 v23, 0x10001, v4
	v_mul_u32_u24_e32 v26, 0x10001, v5
	ds_load_2addr_b64 v[4:7], v124 offset0:64 offset1:96
	v_mul_u32_u24_e32 v20, 0x10001, v20
	v_mul_u32_u24_e32 v11, 0x10001, v11
	v_pk_fma_f16 v9, v13, v9, v27
	v_pk_fma_f16 v13, v14, v23, v24
	;; [unrolled: 1-line block ×7, first 2 shown]
	s_wait_dscnt 0x1
	v_and_b32_e32 v8, 0xffff, v16
	v_lshrrev_b32_e32 v16, 16, v16
	v_and_b32_e32 v24, 0xffff, v17
	v_lshrrev_b32_e32 v17, 16, v17
	v_pk_fma_f16 v20, v15, v20, v10
	v_mul_u32_u24_e32 v8, 0x10001, v8
	v_mul_u32_u24_e32 v16, 0x10001, v16
	v_mul_u32_u24_e32 v24, 0x10001, v24
	v_mul_u32_u24_e32 v17, 0x10001, v17
	v_pk_fma_f16 v25, v15, v11, v9
	s_wait_dscnt 0x0
	v_pk_fma_f16 v26, v4, v8, v13
	v_pk_fma_f16 v27, v5, v8, v14
	ds_load_b128 v[8:11], v112 offset:288
	v_pk_fma_f16 v21, v4, v16, v21
	v_pk_fma_f16 v22, v4, v24, v22
	;; [unrolled: 1-line block ×3, first 2 shown]
	v_and_b32_e32 v12, 0xffff, v18
	v_dual_lshrrev_b32 v13, 16, v18 :: v_dual_lshrrev_b32 v18, 16, v19
	v_and_b32_e32 v14, 0xffff, v19
	v_pk_fma_f16 v16, v5, v16, v23
	v_pk_fma_f16 v20, v5, v24, v20
	v_mul_u32_u24_e32 v19, 0x10001, v12
	v_mul_u32_u24_e32 v23, 0x10001, v13
	;; [unrolled: 1-line block ×3, first 2 shown]
	ds_load_2addr_b64 v[12:15], v124 offset0:128 offset1:160
	v_mul_u32_u24_e32 v28, 0x10001, v18
	v_pk_fma_f16 v5, v5, v17, v25
	v_pk_fma_f16 v25, v6, v19, v26
	;; [unrolled: 1-line block ×7, first 2 shown]
	ds_load_b128 v[16:19], v112 offset:304
	s_wait_dscnt 0x2
	v_and_b32_e32 v26, 0xffff, v8
	v_lshrrev_b32_e32 v8, 16, v8
	v_and_b32_e32 v27, 0xffff, v9
	v_lshrrev_b32_e32 v9, 16, v9
	v_pk_fma_f16 v20, v7, v24, v20
	v_mul_u32_u24_e32 v24, 0x10001, v26
	v_mul_u32_u24_e32 v8, 0x10001, v8
	;; [unrolled: 1-line block ×4, first 2 shown]
	v_pk_fma_f16 v27, v7, v28, v5
	s_wait_dscnt 0x1
	v_pk_fma_f16 v25, v12, v24, v25
	v_pk_fma_f16 v21, v12, v8, v21
	;; [unrolled: 1-line block ×4, first 2 shown]
	v_and_b32_e32 v4, 0xffff, v10
	v_lshrrev_b32_e32 v5, 16, v10
	v_pk_fma_f16 v24, v13, v24, v6
	v_pk_fma_f16 v8, v13, v8, v23
	;; [unrolled: 1-line block ×3, first 2 shown]
	v_and_b32_e32 v20, 0xffff, v11
	v_lshrrev_b32_e32 v11, 16, v11
	v_mul_u32_u24_e32 v23, 0x10001, v4
	v_mul_u32_u24_e32 v26, 0x10001, v5
	ds_load_2addr_b64 v[4:7], v124 offset0:192 offset1:224
	v_mul_u32_u24_e32 v20, 0x10001, v20
	v_mul_u32_u24_e32 v11, 0x10001, v11
	v_pk_fma_f16 v9, v13, v9, v27
	v_pk_fma_f16 v13, v14, v23, v25
	v_pk_fma_f16 v21, v14, v26, v21
	v_pk_fma_f16 v22, v14, v20, v22
	v_pk_fma_f16 v12, v14, v11, v12
	v_pk_fma_f16 v14, v15, v23, v24
	s_wait_dscnt 0x1
	v_and_b32_e32 v23, 0xffff, v16
	v_lshrrev_b32_e32 v16, 16, v16
	v_pk_fma_f16 v8, v15, v26, v8
	v_and_b32_e32 v24, 0xffff, v17
	v_lshrrev_b32_e32 v17, 16, v17
	v_pk_fma_f16 v20, v15, v20, v10
	v_mul_u32_u24_e32 v10, 0x10001, v23
	v_mul_u32_u24_e32 v16, 0x10001, v16
	;; [unrolled: 1-line block ×4, first 2 shown]
	v_pk_fma_f16 v24, v15, v11, v9
	s_wait_dscnt 0x0
	v_pk_fma_f16 v25, v4, v10, v13
	v_pk_fma_f16 v21, v4, v16, v21
	;; [unrolled: 1-line block ×4, first 2 shown]
	ds_load_b128 v[8:11], v112 offset:320
	v_pk_fma_f16 v22, v4, v23, v22
	v_pk_fma_f16 v4, v4, v17, v12
	v_and_b32_e32 v12, 0xffff, v18
	v_dual_lshrrev_b32 v13, 16, v18 :: v_dual_lshrrev_b32 v18, 16, v19
	v_and_b32_e32 v14, 0xffff, v19
	v_pk_fma_f16 v20, v5, v23, v20
	s_delay_alu instid0(VALU_DEP_4) | instskip(NEXT) | instid1(VALU_DEP_4)
	v_mul_u32_u24_e32 v19, 0x10001, v12
	v_mul_u32_u24_e32 v23, 0x10001, v13
	;; [unrolled: 1-line block ×4, first 2 shown]
	ds_load_2addr_b64 v[12:15], v126 offset1:32
	v_pk_fma_f16 v5, v5, v17, v24
	v_pk_fma_f16 v24, v6, v19, v25
	;; [unrolled: 1-line block ×7, first 2 shown]
	ds_load_b128 v[16:19], v112 offset:336
	s_wait_dscnt 0x2
	v_and_b32_e32 v25, 0xffff, v8
	v_lshrrev_b32_e32 v8, 16, v8
	v_and_b32_e32 v26, 0xffff, v9
	v_lshrrev_b32_e32 v9, 16, v9
	v_pk_fma_f16 v20, v7, v27, v20
	v_mul_u32_u24_e32 v25, 0x10001, v25
	v_mul_u32_u24_e32 v8, 0x10001, v8
	;; [unrolled: 1-line block ×4, first 2 shown]
	v_pk_fma_f16 v27, v7, v28, v5
	v_lshrrev_b32_e32 v5, 16, v10
	s_wait_dscnt 0x1
	v_pk_fma_f16 v24, v12, v25, v24
	v_pk_fma_f16 v21, v12, v8, v21
	;; [unrolled: 1-line block ×4, first 2 shown]
	v_and_b32_e32 v4, 0xffff, v10
	v_pk_fma_f16 v25, v13, v25, v6
	v_pk_fma_f16 v8, v13, v8, v23
	;; [unrolled: 1-line block ×3, first 2 shown]
	v_and_b32_e32 v20, 0xffff, v11
	v_lshrrev_b32_e32 v11, 16, v11
	v_mul_u32_u24_e32 v23, 0x10001, v4
	v_mul_u32_u24_e32 v26, 0x10001, v5
	ds_load_2addr_b64 v[4:7], v126 offset0:64 offset1:96
	v_mul_u32_u24_e32 v20, 0x10001, v20
	v_mul_u32_u24_e32 v11, 0x10001, v11
	v_pk_fma_f16 v9, v13, v9, v27
	v_pk_fma_f16 v13, v14, v23, v24
	;; [unrolled: 1-line block ×6, first 2 shown]
	s_wait_dscnt 0x1
	v_and_b32_e32 v23, 0xffff, v16
	v_lshrrev_b32_e32 v16, 16, v16
	v_and_b32_e32 v24, 0xffff, v17
	v_lshrrev_b32_e32 v17, 16, v17
	v_pk_fma_f16 v127, v15, v20, v10
	v_mul_u32_u24_e32 v10, 0x10001, v23
	v_mul_u32_u24_e32 v16, 0x10001, v16
	;; [unrolled: 1-line block ×4, first 2 shown]
	v_pk_fma_f16 v8, v15, v26, v8
	v_pk_fma_f16 v166, v15, v11, v9
	s_wait_dscnt 0x0
	v_pk_fma_f16 v167, v4, v10, v13
	v_pk_fma_f16 v168, v4, v16, v21
	;; [unrolled: 1-line block ×4, first 2 shown]
	v_add_nc_u32_e32 v4, 0x3800, v100
	v_pk_fma_f16 v171, v5, v10, v14
	v_pk_fma_f16 v172, v5, v16, v8
	v_and_b32_e32 v173, 0xffff, v18
	v_dual_lshrrev_b32 v174, 16, v18 :: v_dual_lshrrev_b32 v176, 16, v19
	v_and_b32_e32 v175, 0xffff, v19
	ds_load_2addr_b64 v[36:39], v126 offset0:128 offset1:160
	ds_load_b128 v[52:55], v112 offset:352
	ds_load_b128 v[28:31], v112 offset:368
	ds_load_2addr_b64 v[20:23], v126 offset0:192 offset1:224
	ds_load_2addr_b64 v[8:11], v125 offset1:32
	ds_load_2addr_b64 v[12:15], v125 offset0:64 offset1:96
	ds_load_b128 v[40:43], v112 offset:384
	ds_load_b128 v[24:27], v112 offset:400
	ds_load_2addr_b64 v[16:19], v125 offset0:128 offset1:160
	ds_load_2addr_b64 v[32:35], v125 offset0:192 offset1:224
	ds_load_b128 v[56:59], v112 offset:416
	ds_load_b128 v[48:51], v112 offset:432
	ds_load_2addr_b64 v[128:131], v4 offset1:32
	ds_load_2addr_b64 v[132:135], v4 offset0:64 offset1:96
	ds_load_b128 v[136:139], v112 offset:448
	ds_load_b128 v[140:143], v112 offset:464
	ds_load_2addr_b64 v[64:67], v4 offset0:128 offset1:160
	ds_load_2addr_b64 v[44:47], v4 offset0:192 offset1:224
	ds_load_b128 v[144:147], v112 offset:480
	ds_load_b128 v[60:63], v112 offset:496
	s_wait_dscnt 0x0
	s_barrier_signal -1
	s_barrier_wait -1
	s_clause 0x3
	global_load_b128 v[148:151], v[148:149], off
	global_load_b128 v[152:155], v[156:157], off
	;; [unrolled: 1-line block ×4, first 2 shown]
	v_pk_fma_f16 v127, v5, v164, v127
	v_mul_u32_u24_e32 v164, 0x10001, v173
	v_mul_u32_u24_e32 v173, 0x10001, v174
	v_mul_u32_u24_e32 v174, 0x10001, v175
	v_mul_u32_u24_e32 v175, 0x10001, v176
	v_pk_fma_f16 v5, v5, v165, v166
	v_pk_fma_f16 v165, v6, v164, v167
	;; [unrolled: 1-line block ×5, first 2 shown]
	v_and_b32_e32 v169, 0xffff, v52
	v_lshrrev_b32_e32 v52, 16, v52
	v_and_b32_e32 v170, 0xffff, v53
	v_lshrrev_b32_e32 v53, 16, v53
	v_pk_fma_f16 v164, v7, v164, v171
	v_mul_u32_u24_e32 v169, 0x10001, v169
	v_mul_u32_u24_e32 v52, 0x10001, v52
	;; [unrolled: 1-line block ×4, first 2 shown]
	v_pk_fma_f16 v168, v7, v173, v172
	v_pk_fma_f16 v127, v7, v174, v127
	;; [unrolled: 1-line block ×7, first 2 shown]
	v_and_b32_e32 v36, 0xffff, v54
	v_lshrrev_b32_e32 v54, 16, v54
	v_and_b32_e32 v167, 0xffff, v55
	v_lshrrev_b32_e32 v55, 16, v55
	v_pk_fma_f16 v164, v37, v169, v164
	v_pk_fma_f16 v52, v37, v52, v168
	;; [unrolled: 1-line block ×3, first 2 shown]
	v_mul_u32_u24_e32 v36, 0x10001, v36
	v_mul_u32_u24_e32 v54, 0x10001, v54
	v_pk_fma_f16 v5, v37, v53, v5
	v_mul_u32_u24_e32 v37, 0x10001, v167
	v_mul_u32_u24_e32 v53, 0x10001, v55
	v_pk_fma_f16 v7, v38, v36, v7
	v_pk_fma_f16 v55, v38, v54, v165
	;; [unrolled: 1-line block ×6, first 2 shown]
	v_and_b32_e32 v38, 0xffff, v28
	v_lshrrev_b32_e32 v28, 16, v28
	v_and_b32_e32 v164, 0xffff, v29
	v_lshrrev_b32_e32 v29, 16, v29
	v_pk_fma_f16 v37, v39, v37, v127
	v_mul_u32_u24_e32 v38, 0x10001, v38
	v_mul_u32_u24_e32 v28, 0x10001, v28
	;; [unrolled: 1-line block ×4, first 2 shown]
	v_pk_fma_f16 v5, v39, v53, v5
	v_pk_fma_f16 v7, v20, v38, v7
	;; [unrolled: 1-line block ×6, first 2 shown]
	v_and_b32_e32 v36, 0xffff, v30
	v_lshrrev_b32_e32 v30, 16, v30
	v_and_b32_e32 v38, 0xffff, v31
	v_pk_fma_f16 v28, v21, v28, v52
	v_pk_fma_f16 v37, v21, v127, v37
	v_mul_u32_u24_e32 v36, 0x10001, v36
	v_pk_fma_f16 v5, v21, v29, v5
	v_mul_u32_u24_e32 v38, 0x10001, v38
	v_lshrrev_b32_e32 v21, 16, v31
	v_mul_u32_u24_e32 v30, 0x10001, v30
	v_pk_fma_f16 v7, v22, v36, v7
	v_pk_fma_f16 v20, v23, v36, v20
	;; [unrolled: 1-line block ×3, first 2 shown]
	v_mul_u32_u24_e32 v21, 0x10001, v21
	v_pk_fma_f16 v29, v22, v30, v39
	v_pk_fma_f16 v28, v23, v30, v28
	;; [unrolled: 1-line block ×3, first 2 shown]
	v_and_b32_e32 v36, 0xffff, v40
	v_dual_lshrrev_b32 v37, 16, v40 :: v_dual_lshrrev_b32 v39, 16, v41
	v_and_b32_e32 v38, 0xffff, v41
	v_pk_fma_f16 v6, v22, v21, v6
	s_delay_alu instid0(VALU_DEP_4) | instskip(NEXT) | instid1(VALU_DEP_4)
	v_mul_u32_u24_e32 v22, 0x10001, v36
	v_mul_u32_u24_e32 v36, 0x10001, v37
	v_pk_fma_f16 v5, v23, v21, v5
	v_mul_u32_u24_e32 v37, 0x10001, v38
	v_mul_u32_u24_e32 v38, 0x10001, v39
	v_pk_fma_f16 v7, v8, v22, v7
	v_pk_fma_f16 v21, v8, v36, v29
	v_and_b32_e32 v29, 0xffff, v43
	v_pk_fma_f16 v23, v8, v37, v31
	v_pk_fma_f16 v6, v8, v38, v6
	;; [unrolled: 1-line block ×4, first 2 shown]
	v_and_b32_e32 v22, 0xffff, v42
	v_dual_lshrrev_b32 v28, 16, v42 :: v_dual_lshrrev_b32 v31, 16, v43
	v_mul_u32_u24_e32 v29, 0x10001, v29
	v_pk_fma_f16 v30, v9, v37, v30
	s_delay_alu instid0(VALU_DEP_4) | instskip(NEXT) | instid1(VALU_DEP_4)
	v_mul_u32_u24_e32 v22, 0x10001, v22
	v_mul_u32_u24_e32 v28, 0x10001, v28
	;; [unrolled: 1-line block ×3, first 2 shown]
	v_pk_fma_f16 v5, v9, v38, v5
	s_wait_loadcnt 0x3
	ds_store_b128 v110, v[148:151]
	s_wait_loadcnt 0x2
	ds_store_b128 v113, v[152:155]
	;; [unrolled: 2-line block ×4, first 2 shown]
	v_pk_fma_f16 v7, v10, v22, v7
	v_pk_fma_f16 v9, v10, v28, v21
	;; [unrolled: 1-line block ×6, first 2 shown]
	v_and_b32_e32 v20, 0xffff, v24
	v_dual_lshrrev_b32 v22, 16, v24 :: v_dual_lshrrev_b32 v24, 16, v25
	v_and_b32_e32 v23, 0xffff, v25
	v_pk_fma_f16 v25, v11, v29, v30
	s_delay_alu instid0(VALU_DEP_4) | instskip(NEXT) | instid1(VALU_DEP_4)
	v_mul_u32_u24_e32 v20, 0x10001, v20
	v_mul_u32_u24_e32 v22, 0x10001, v22
	;; [unrolled: 1-line block ×4, first 2 shown]
	v_pk_fma_f16 v5, v11, v31, v5
	v_pk_fma_f16 v7, v12, v20, v7
	;; [unrolled: 1-line block ×5, first 2 shown]
	v_and_b32_e32 v12, 0xffff, v26
	v_pk_fma_f16 v8, v13, v20, v8
	v_pk_fma_f16 v10, v13, v22, v10
	v_dual_lshrrev_b32 v20, 16, v26 :: v_dual_lshrrev_b32 v22, 16, v27
	v_and_b32_e32 v21, 0xffff, v27
	v_mul_u32_u24_e32 v12, 0x10001, v12
	v_pk_fma_f16 v23, v13, v23, v25
	s_delay_alu instid0(VALU_DEP_4)
	v_mul_u32_u24_e32 v20, 0x10001, v20
	v_mul_u32_u24_e32 v22, 0x10001, v22
	;; [unrolled: 1-line block ×3, first 2 shown]
	v_pk_fma_f16 v5, v13, v24, v5
	v_pk_fma_f16 v7, v14, v12, v7
	;; [unrolled: 1-line block ×3, first 2 shown]
	v_and_b32_e32 v12, 0xffff, v56
	v_lshrrev_b32_e32 v13, 16, v56
	v_pk_fma_f16 v9, v14, v20, v9
	v_pk_fma_f16 v11, v14, v21, v11
	;; [unrolled: 1-line block ×4, first 2 shown]
	v_and_b32_e32 v14, 0xffff, v57
	v_lshrrev_b32_e32 v20, 16, v57
	v_mul_u32_u24_e32 v12, 0x10001, v12
	v_mul_u32_u24_e32 v13, 0x10001, v13
	v_pk_fma_f16 v21, v15, v21, v23
	v_mul_u32_u24_e32 v14, 0x10001, v14
	v_mul_u32_u24_e32 v20, 0x10001, v20
	v_pk_fma_f16 v7, v16, v12, v7
	v_pk_fma_f16 v9, v16, v13, v9
	;; [unrolled: 1-line block ×4, first 2 shown]
	v_and_b32_e32 v12, 0xffff, v58
	v_lshrrev_b32_e32 v13, 16, v58
	v_pk_fma_f16 v5, v15, v22, v5
	v_pk_fma_f16 v11, v16, v14, v11
	;; [unrolled: 1-line block ×3, first 2 shown]
	v_and_b32_e32 v15, 0xffff, v59
	v_lshrrev_b32_e32 v16, 16, v59
	v_mul_u32_u24_e32 v12, 0x10001, v12
	v_mul_u32_u24_e32 v13, 0x10001, v13
	v_pk_fma_f16 v14, v17, v14, v21
	v_mul_u32_u24_e32 v15, 0x10001, v15
	v_mul_u32_u24_e32 v16, 0x10001, v16
	v_pk_fma_f16 v7, v18, v12, v7
	v_pk_fma_f16 v9, v18, v13, v9
	;; [unrolled: 1-line block ×4, first 2 shown]
	v_and_b32_e32 v12, 0xffff, v48
	v_lshrrev_b32_e32 v13, 16, v48
	v_pk_fma_f16 v11, v18, v15, v11
	v_pk_fma_f16 v6, v18, v16, v6
	v_lshrrev_b32_e32 v18, 16, v49
	v_mul_u32_u24_e32 v12, 0x10001, v12
	v_mul_u32_u24_e32 v13, 0x10001, v13
	v_pk_fma_f16 v5, v17, v20, v5
	v_and_b32_e32 v17, 0xffff, v49
	v_pk_fma_f16 v14, v19, v15, v14
	v_pk_fma_f16 v7, v32, v12, v7
	;; [unrolled: 1-line block ×5, first 2 shown]
	v_and_b32_e32 v12, 0xffff, v50
	v_lshrrev_b32_e32 v13, 16, v50
	v_mul_u32_u24_e32 v15, 0x10001, v17
	v_mul_u32_u24_e32 v17, 0x10001, v18
	v_lshrrev_b32_e32 v18, 16, v51
	v_mul_u32_u24_e32 v12, 0x10001, v12
	v_mul_u32_u24_e32 v13, 0x10001, v13
	v_pk_fma_f16 v5, v19, v16, v5
	v_and_b32_e32 v16, 0xffff, v51
	v_pk_fma_f16 v11, v32, v15, v11
	v_pk_fma_f16 v7, v34, v12, v7
	;; [unrolled: 1-line block ×5, first 2 shown]
	v_and_b32_e32 v12, 0xffff, v136
	v_lshrrev_b32_e32 v13, 16, v136
	v_pk_fma_f16 v14, v33, v15, v14
	v_mul_u32_u24_e32 v15, 0x10001, v16
	v_mul_u32_u24_e32 v16, 0x10001, v18
	v_lshrrev_b32_e32 v18, 16, v137
	v_mul_u32_u24_e32 v12, 0x10001, v12
	v_mul_u32_u24_e32 v13, 0x10001, v13
	v_pk_fma_f16 v6, v32, v17, v6
	v_pk_fma_f16 v5, v33, v17, v5
	v_and_b32_e32 v17, 0xffff, v137
	v_pk_fma_f16 v7, v128, v12, v7
	v_pk_fma_f16 v9, v128, v13, v9
	v_pk_fma_f16 v8, v129, v12, v8
	v_pk_fma_f16 v10, v129, v13, v10
	v_and_b32_e32 v12, 0xffff, v138
	v_lshrrev_b32_e32 v13, 16, v138
	v_pk_fma_f16 v11, v34, v15, v11
	v_pk_fma_f16 v14, v35, v15, v14
	v_mul_u32_u24_e32 v15, 0x10001, v17
	v_mul_u32_u24_e32 v17, 0x10001, v18
	v_lshrrev_b32_e32 v18, 16, v139
	v_mul_u32_u24_e32 v12, 0x10001, v12
	v_mul_u32_u24_e32 v13, 0x10001, v13
	v_pk_fma_f16 v6, v34, v16, v6
	v_pk_fma_f16 v5, v35, v16, v5
	v_and_b32_e32 v16, 0xffff, v139
	v_pk_fma_f16 v7, v130, v12, v7
	v_pk_fma_f16 v9, v130, v13, v9
	v_pk_fma_f16 v8, v131, v12, v8
	v_pk_fma_f16 v10, v131, v13, v10
	v_and_b32_e32 v12, 0xffff, v140
	v_lshrrev_b32_e32 v13, 16, v140
	v_pk_fma_f16 v11, v128, v15, v11
	;; [unrolled: 16-line block ×5, first 2 shown]
	v_pk_fma_f16 v6, v134, v16, v6
	v_pk_fma_f16 v14, v135, v15, v14
	v_mul_u32_u24_e32 v15, 0x10001, v17
	v_mul_u32_u24_e32 v17, 0x10001, v18
	v_pk_fma_f16 v5, v135, v16, v5
	v_and_b32_e32 v16, 0xffff, v147
	v_lshrrev_b32_e32 v18, 16, v147
	v_mul_u32_u24_e32 v12, 0x10001, v12
	v_mul_u32_u24_e32 v13, 0x10001, v13
	v_pk_fma_f16 v11, v64, v15, v11
	v_pk_fma_f16 v6, v64, v17, v6
	;; [unrolled: 1-line block ×3, first 2 shown]
	v_mul_u32_u24_e32 v15, 0x10001, v16
	v_mul_u32_u24_e32 v16, 0x10001, v18
	v_pk_fma_f16 v5, v65, v17, v5
	v_pk_fma_f16 v7, v66, v12, v7
	;; [unrolled: 1-line block ×5, first 2 shown]
	v_and_b32_e32 v12, 0xffff, v60
	v_dual_lshrrev_b32 v13, 16, v60 :: v_dual_lshrrev_b32 v18, 16, v61
	v_and_b32_e32 v17, 0xffff, v61
	v_pk_fma_f16 v11, v66, v15, v11
	v_pk_fma_f16 v6, v66, v16, v6
	v_pk_fma_f16 v14, v67, v15, v14
	v_mul_u32_u24_e32 v12, 0x10001, v12
	v_mul_u32_u24_e32 v13, 0x10001, v13
	;; [unrolled: 1-line block ×4, first 2 shown]
	v_pk_fma_f16 v5, v67, v16, v5
	v_pk_fma_f16 v16, v44, v12, v7
	;; [unrolled: 1-line block ×5, first 2 shown]
	s_wait_dscnt 0x0
	s_barrier_signal -1
	s_barrier_wait -1
	ds_load_b128 v[6:9], v112 offset:512
	v_pk_fma_f16 v19, v44, v15, v11
	v_pk_fma_f16 v22, v45, v13, v10
	v_and_b32_e32 v10, 0xffff, v62
	v_dual_lshrrev_b32 v11, 16, v62 :: v_dual_lshrrev_b32 v13, 16, v63
	v_and_b32_e32 v12, 0xffff, v63
	v_pk_fma_f16 v14, v45, v15, v14
	v_pk_fma_f16 v5, v45, v17, v5
	v_mul_u32_u24_e32 v15, 0x10001, v10
	v_mul_u32_u24_e32 v17, 0x10001, v11
	;; [unrolled: 1-line block ×4, first 2 shown]
	ds_load_2addr_b64 v[10:13], v100 offset1:32
	v_pk_fma_f16 v26, v46, v15, v16
	v_pk_fma_f16 v27, v46, v17, v18
	;; [unrolled: 1-line block ×6, first 2 shown]
	ds_load_b128 v[14:17], v112 offset:528
	s_wait_dscnt 0x2
	v_and_b32_e32 v18, 0xffff, v6
	v_lshrrev_b32_e32 v6, 16, v6
	v_and_b32_e32 v19, 0xffff, v7
	v_lshrrev_b32_e32 v7, 16, v7
	v_pk_fma_f16 v29, v46, v24, v20
	v_mul_u32_u24_e32 v33, 0x10001, v18
	v_mul_u32_u24_e32 v6, 0x10001, v6
	;; [unrolled: 1-line block ×4, first 2 shown]
	v_lshrrev_b32_e32 v7, 16, v8
	v_pk_fma_f16 v5, v47, v24, v5
	ds_load_b128 v[18:21], v112 offset:544
	ds_load_b128 v[22:25], v112 offset:560
	s_wait_dscnt 0x3
	v_pk_fma_f16 v26, v10, v33, v26
	v_pk_fma_f16 v27, v10, v6, v27
	;; [unrolled: 1-line block ×6, first 2 shown]
	v_and_b32_e32 v6, 0xffff, v8
	v_pk_fma_f16 v31, v11, v34, v32
	v_and_b32_e32 v32, 0xffff, v9
	v_lshrrev_b32_e32 v33, 16, v9
	v_mul_u32_u24_e32 v36, 0x10001, v7
	v_mul_u32_u24_e32 v34, 0x10001, v6
	ds_load_2addr_b64 v[6:9], v100 offset0:64 offset1:96
	v_mul_u32_u24_e32 v32, 0x10001, v32
	v_mul_u32_u24_e32 v33, 0x10001, v33
	v_pk_fma_f16 v5, v11, v35, v5
	v_pk_fma_f16 v11, v12, v34, v26
	;; [unrolled: 1-line block ×7, first 2 shown]
	s_wait_dscnt 0x3
	v_and_b32_e32 v29, 0xffff, v14
	v_lshrrev_b32_e32 v14, 16, v14
	v_and_b32_e32 v30, 0xffff, v15
	v_lshrrev_b32_e32 v15, 16, v15
	v_pk_fma_f16 v31, v13, v32, v31
	v_mul_u32_u24_e32 v29, 0x10001, v29
	v_mul_u32_u24_e32 v14, 0x10001, v14
	;; [unrolled: 1-line block ×4, first 2 shown]
	v_pk_fma_f16 v5, v13, v33, v5
	s_wait_dscnt 0x0
	v_pk_fma_f16 v32, v6, v29, v11
	v_pk_fma_f16 v26, v6, v14, v26
	;; [unrolled: 1-line block ×4, first 2 shown]
	v_and_b32_e32 v10, 0xffff, v16
	v_lshrrev_b32_e32 v11, 16, v16
	v_pk_fma_f16 v29, v7, v29, v12
	v_pk_fma_f16 v14, v7, v14, v28
	;; [unrolled: 1-line block ×3, first 2 shown]
	v_and_b32_e32 v28, 0xffff, v17
	v_lshrrev_b32_e32 v17, 16, v17
	v_mul_u32_u24_e32 v30, 0x10001, v10
	v_mul_u32_u24_e32 v31, 0x10001, v11
	ds_load_2addr_b64 v[10:13], v100 offset0:128 offset1:160
	v_mul_u32_u24_e32 v28, 0x10001, v28
	v_mul_u32_u24_e32 v17, 0x10001, v17
	v_pk_fma_f16 v5, v7, v15, v5
	v_pk_fma_f16 v7, v8, v30, v32
	;; [unrolled: 1-line block ×6, first 2 shown]
	v_and_b32_e32 v27, 0xffff, v18
	v_lshrrev_b32_e32 v18, 16, v18
	v_and_b32_e32 v29, 0xffff, v19
	v_lshrrev_b32_e32 v19, 16, v19
	v_pk_fma_f16 v16, v9, v28, v16
	v_mul_u32_u24_e32 v27, 0x10001, v27
	v_mul_u32_u24_e32 v18, 0x10001, v18
	;; [unrolled: 1-line block ×4, first 2 shown]
	v_pk_fma_f16 v14, v9, v31, v14
	v_pk_fma_f16 v5, v9, v17, v5
	s_wait_dscnt 0x0
	v_pk_fma_f16 v17, v10, v27, v7
	v_pk_fma_f16 v15, v10, v18, v15
	;; [unrolled: 1-line block ×4, first 2 shown]
	v_and_b32_e32 v6, 0xffff, v20
	v_dual_lshrrev_b32 v7, 16, v20 :: v_dual_lshrrev_b32 v20, 16, v21
	v_pk_fma_f16 v27, v11, v27, v8
	v_pk_fma_f16 v14, v11, v18, v14
	;; [unrolled: 1-line block ×3, first 2 shown]
	v_and_b32_e32 v18, 0xffff, v21
	v_mul_u32_u24_e32 v21, 0x10001, v6
	v_mul_u32_u24_e32 v28, 0x10001, v7
	ds_load_2addr_b64 v[6:9], v100 offset0:192 offset1:224
	v_mul_u32_u24_e32 v20, 0x10001, v20
	v_mul_u32_u24_e32 v18, 0x10001, v18
	v_pk_fma_f16 v5, v11, v19, v5
	v_pk_fma_f16 v11, v12, v21, v17
	;; [unrolled: 1-line block ×6, first 2 shown]
	v_and_b32_e32 v19, 0xffff, v22
	v_lshrrev_b32_e32 v21, 16, v22
	v_and_b32_e32 v22, 0xffff, v23
	v_lshrrev_b32_e32 v23, 16, v23
	v_pk_fma_f16 v16, v13, v18, v16
	v_mul_u32_u24_e32 v18, 0x10001, v19
	v_mul_u32_u24_e32 v19, 0x10001, v21
	;; [unrolled: 1-line block ×4, first 2 shown]
	v_pk_fma_f16 v14, v13, v28, v14
	v_pk_fma_f16 v5, v13, v20, v5
	s_wait_dscnt 0x0
	v_pk_fma_f16 v20, v6, v18, v11
	v_pk_fma_f16 v23, v6, v19, v15
	v_pk_fma_f16 v26, v6, v21, v17
	v_pk_fma_f16 v6, v6, v22, v10
	v_pk_fma_f16 v18, v7, v18, v12
	ds_load_b128 v[10:13], v112 offset:576
	v_pk_fma_f16 v19, v7, v19, v14
	v_and_b32_e32 v14, 0xffff, v24
	v_lshrrev_b32_e32 v15, 16, v24
	v_and_b32_e32 v17, 0xffff, v25
	v_pk_fma_f16 v24, v7, v21, v16
	v_lshrrev_b32_e32 v21, 16, v25
	v_mul_u32_u24_e32 v25, 0x10001, v14
	v_mul_u32_u24_e32 v27, 0x10001, v15
	;; [unrolled: 1-line block ×3, first 2 shown]
	ds_load_2addr_b64 v[14:17], v121 offset1:32
	v_mul_u32_u24_e32 v29, 0x10001, v21
	v_pk_fma_f16 v5, v7, v22, v5
	v_pk_fma_f16 v7, v8, v25, v20
	;; [unrolled: 1-line block ×7, first 2 shown]
	ds_load_b128 v[18:21], v112 offset:592
	s_wait_dscnt 0x2
	v_and_b32_e32 v26, 0xffff, v10
	v_lshrrev_b32_e32 v10, 16, v10
	v_and_b32_e32 v27, 0xffff, v11
	v_lshrrev_b32_e32 v11, 16, v11
	v_pk_fma_f16 v24, v9, v28, v24
	v_mul_u32_u24_e32 v26, 0x10001, v26
	v_mul_u32_u24_e32 v10, 0x10001, v10
	;; [unrolled: 1-line block ×4, first 2 shown]
	v_pk_fma_f16 v5, v9, v29, v5
	s_wait_dscnt 0x1
	v_pk_fma_f16 v28, v14, v26, v7
	v_pk_fma_f16 v22, v14, v10, v22
	;; [unrolled: 1-line block ×4, first 2 shown]
	v_and_b32_e32 v6, 0xffff, v12
	v_lshrrev_b32_e32 v7, 16, v12
	v_pk_fma_f16 v26, v15, v26, v8
	v_pk_fma_f16 v10, v15, v10, v25
	;; [unrolled: 1-line block ×3, first 2 shown]
	v_and_b32_e32 v24, 0xffff, v13
	v_lshrrev_b32_e32 v13, 16, v13
	v_mul_u32_u24_e32 v25, 0x10001, v6
	v_mul_u32_u24_e32 v27, 0x10001, v7
	ds_load_2addr_b64 v[6:9], v121 offset0:64 offset1:96
	v_mul_u32_u24_e32 v24, 0x10001, v24
	v_mul_u32_u24_e32 v13, 0x10001, v13
	v_pk_fma_f16 v5, v15, v11, v5
	v_pk_fma_f16 v15, v16, v27, v22
	;; [unrolled: 1-line block ×5, first 2 shown]
	s_wait_dscnt 0x1
	v_and_b32_e32 v10, 0xffff, v18
	v_pk_fma_f16 v14, v16, v13, v14
	v_pk_fma_f16 v16, v17, v25, v26
	v_lshrrev_b32_e32 v18, 16, v18
	v_and_b32_e32 v25, 0xffff, v19
	v_lshrrev_b32_e32 v19, 16, v19
	v_mul_u32_u24_e32 v10, 0x10001, v10
	v_pk_fma_f16 v24, v17, v24, v12
	v_mul_u32_u24_e32 v18, 0x10001, v18
	v_mul_u32_u24_e32 v25, 0x10001, v25
	;; [unrolled: 1-line block ×3, first 2 shown]
	v_pk_fma_f16 v5, v17, v13, v5
	s_wait_dscnt 0x0
	v_pk_fma_f16 v26, v6, v10, v11
	v_pk_fma_f16 v28, v7, v10, v16
	ds_load_b128 v[10:13], v112 offset:608
	v_pk_fma_f16 v27, v6, v18, v15
	v_pk_fma_f16 v22, v6, v25, v22
	;; [unrolled: 1-line block ×3, first 2 shown]
	v_and_b32_e32 v14, 0xffff, v20
	v_dual_lshrrev_b32 v15, 16, v20 :: v_dual_lshrrev_b32 v20, 16, v21
	v_and_b32_e32 v16, 0xffff, v21
	v_pk_fma_f16 v18, v7, v18, v23
	v_pk_fma_f16 v23, v7, v25, v24
	v_mul_u32_u24_e32 v21, 0x10001, v14
	v_mul_u32_u24_e32 v24, 0x10001, v15
	;; [unrolled: 1-line block ×3, first 2 shown]
	ds_load_2addr_b64 v[14:17], v121 offset0:128 offset1:160
	v_mul_u32_u24_e32 v29, 0x10001, v20
	v_pk_fma_f16 v5, v7, v19, v5
	v_pk_fma_f16 v7, v8, v21, v26
	;; [unrolled: 1-line block ×7, first 2 shown]
	ds_load_b128 v[18:21], v112 offset:624
	s_wait_dscnt 0x2
	v_and_b32_e32 v27, 0xffff, v10
	v_lshrrev_b32_e32 v10, 16, v10
	v_and_b32_e32 v28, 0xffff, v11
	v_lshrrev_b32_e32 v11, 16, v11
	v_pk_fma_f16 v23, v9, v25, v23
	v_mul_u32_u24_e32 v25, 0x10001, v27
	v_mul_u32_u24_e32 v10, 0x10001, v10
	;; [unrolled: 1-line block ×4, first 2 shown]
	v_pk_fma_f16 v5, v9, v29, v5
	s_wait_dscnt 0x1
	v_pk_fma_f16 v28, v14, v25, v7
	v_pk_fma_f16 v26, v14, v10, v26
	;; [unrolled: 1-line block ×4, first 2 shown]
	v_and_b32_e32 v6, 0xffff, v12
	v_lshrrev_b32_e32 v7, 16, v12
	v_pk_fma_f16 v25, v15, v25, v8
	v_pk_fma_f16 v10, v15, v10, v24
	;; [unrolled: 1-line block ×3, first 2 shown]
	v_and_b32_e32 v23, 0xffff, v13
	v_lshrrev_b32_e32 v13, 16, v13
	v_mul_u32_u24_e32 v24, 0x10001, v6
	v_mul_u32_u24_e32 v27, 0x10001, v7
	ds_load_2addr_b64 v[6:9], v121 offset0:192 offset1:224
	v_mul_u32_u24_e32 v23, 0x10001, v23
	v_mul_u32_u24_e32 v13, 0x10001, v13
	v_pk_fma_f16 v5, v15, v11, v5
	v_pk_fma_f16 v11, v16, v24, v28
	;; [unrolled: 1-line block ×7, first 2 shown]
	s_wait_dscnt 0x1
	v_and_b32_e32 v10, 0xffff, v18
	v_lshrrev_b32_e32 v18, 16, v18
	v_and_b32_e32 v25, 0xffff, v19
	v_lshrrev_b32_e32 v19, 16, v19
	v_pk_fma_f16 v23, v17, v23, v12
	v_mul_u32_u24_e32 v10, 0x10001, v10
	v_mul_u32_u24_e32 v18, 0x10001, v18
	;; [unrolled: 1-line block ×4, first 2 shown]
	v_pk_fma_f16 v5, v17, v13, v5
	s_wait_dscnt 0x0
	v_pk_fma_f16 v26, v6, v10, v11
	v_pk_fma_f16 v28, v7, v10, v16
	ds_load_b128 v[10:13], v112 offset:640
	v_pk_fma_f16 v27, v6, v18, v15
	v_pk_fma_f16 v22, v6, v25, v22
	;; [unrolled: 1-line block ×3, first 2 shown]
	v_and_b32_e32 v14, 0xffff, v20
	v_dual_lshrrev_b32 v15, 16, v20 :: v_dual_lshrrev_b32 v20, 16, v21
	v_and_b32_e32 v16, 0xffff, v21
	v_pk_fma_f16 v18, v7, v18, v24
	v_pk_fma_f16 v23, v7, v25, v23
	v_mul_u32_u24_e32 v21, 0x10001, v14
	v_mul_u32_u24_e32 v24, 0x10001, v15
	;; [unrolled: 1-line block ×3, first 2 shown]
	ds_load_2addr_b64 v[14:17], v122 offset1:32
	v_mul_u32_u24_e32 v29, 0x10001, v20
	v_pk_fma_f16 v5, v7, v19, v5
	v_pk_fma_f16 v7, v8, v21, v26
	;; [unrolled: 1-line block ×7, first 2 shown]
	ds_load_b128 v[18:21], v112 offset:656
	s_wait_dscnt 0x2
	v_and_b32_e32 v27, 0xffff, v10
	v_lshrrev_b32_e32 v10, 16, v10
	v_and_b32_e32 v28, 0xffff, v11
	v_lshrrev_b32_e32 v11, 16, v11
	v_pk_fma_f16 v23, v9, v25, v23
	v_mul_u32_u24_e32 v25, 0x10001, v27
	v_mul_u32_u24_e32 v10, 0x10001, v10
	;; [unrolled: 1-line block ×4, first 2 shown]
	v_pk_fma_f16 v5, v9, v29, v5
	s_wait_dscnt 0x1
	v_pk_fma_f16 v28, v14, v25, v7
	v_pk_fma_f16 v26, v14, v10, v26
	;; [unrolled: 1-line block ×4, first 2 shown]
	v_and_b32_e32 v6, 0xffff, v12
	v_lshrrev_b32_e32 v7, 16, v12
	v_pk_fma_f16 v25, v15, v25, v8
	v_pk_fma_f16 v10, v15, v10, v24
	;; [unrolled: 1-line block ×3, first 2 shown]
	v_and_b32_e32 v23, 0xffff, v13
	v_lshrrev_b32_e32 v13, 16, v13
	v_mul_u32_u24_e32 v24, 0x10001, v6
	v_mul_u32_u24_e32 v27, 0x10001, v7
	ds_load_2addr_b64 v[6:9], v122 offset0:64 offset1:96
	v_mul_u32_u24_e32 v23, 0x10001, v23
	v_mul_u32_u24_e32 v13, 0x10001, v13
	v_pk_fma_f16 v5, v15, v11, v5
	v_pk_fma_f16 v11, v16, v24, v28
	;; [unrolled: 1-line block ×7, first 2 shown]
	s_wait_dscnt 0x1
	v_and_b32_e32 v10, 0xffff, v18
	v_lshrrev_b32_e32 v18, 16, v18
	v_and_b32_e32 v25, 0xffff, v19
	v_lshrrev_b32_e32 v19, 16, v19
	v_pk_fma_f16 v23, v17, v23, v12
	v_mul_u32_u24_e32 v10, 0x10001, v10
	v_mul_u32_u24_e32 v18, 0x10001, v18
	;; [unrolled: 1-line block ×4, first 2 shown]
	v_pk_fma_f16 v5, v17, v13, v5
	s_wait_dscnt 0x0
	v_pk_fma_f16 v26, v6, v10, v11
	v_pk_fma_f16 v28, v7, v10, v16
	ds_load_b128 v[10:13], v112 offset:672
	v_pk_fma_f16 v27, v6, v18, v15
	v_pk_fma_f16 v22, v6, v25, v22
	;; [unrolled: 1-line block ×3, first 2 shown]
	v_and_b32_e32 v14, 0xffff, v20
	v_dual_lshrrev_b32 v15, 16, v20 :: v_dual_lshrrev_b32 v20, 16, v21
	v_and_b32_e32 v16, 0xffff, v21
	v_pk_fma_f16 v18, v7, v18, v24
	v_pk_fma_f16 v23, v7, v25, v23
	v_mul_u32_u24_e32 v21, 0x10001, v14
	v_mul_u32_u24_e32 v24, 0x10001, v15
	;; [unrolled: 1-line block ×3, first 2 shown]
	ds_load_2addr_b64 v[14:17], v122 offset0:128 offset1:160
	v_mul_u32_u24_e32 v29, 0x10001, v20
	v_pk_fma_f16 v5, v7, v19, v5
	v_pk_fma_f16 v7, v8, v21, v26
	;; [unrolled: 1-line block ×7, first 2 shown]
	ds_load_b128 v[18:21], v112 offset:688
	s_wait_dscnt 0x2
	v_and_b32_e32 v27, 0xffff, v10
	v_lshrrev_b32_e32 v10, 16, v10
	v_and_b32_e32 v28, 0xffff, v11
	v_lshrrev_b32_e32 v11, 16, v11
	v_pk_fma_f16 v23, v9, v25, v23
	v_mul_u32_u24_e32 v25, 0x10001, v27
	v_mul_u32_u24_e32 v10, 0x10001, v10
	;; [unrolled: 1-line block ×4, first 2 shown]
	v_pk_fma_f16 v5, v9, v29, v5
	s_wait_dscnt 0x1
	v_pk_fma_f16 v28, v14, v25, v7
	v_pk_fma_f16 v26, v14, v10, v26
	;; [unrolled: 1-line block ×4, first 2 shown]
	v_and_b32_e32 v6, 0xffff, v12
	v_lshrrev_b32_e32 v7, 16, v12
	v_pk_fma_f16 v25, v15, v25, v8
	v_pk_fma_f16 v10, v15, v10, v24
	;; [unrolled: 1-line block ×3, first 2 shown]
	v_and_b32_e32 v23, 0xffff, v13
	v_lshrrev_b32_e32 v13, 16, v13
	v_mul_u32_u24_e32 v24, 0x10001, v6
	v_mul_u32_u24_e32 v27, 0x10001, v7
	ds_load_2addr_b64 v[6:9], v122 offset0:192 offset1:224
	v_mul_u32_u24_e32 v23, 0x10001, v23
	v_mul_u32_u24_e32 v13, 0x10001, v13
	v_pk_fma_f16 v5, v15, v11, v5
	v_pk_fma_f16 v11, v16, v24, v28
	;; [unrolled: 1-line block ×7, first 2 shown]
	s_wait_dscnt 0x1
	v_and_b32_e32 v10, 0xffff, v18
	v_lshrrev_b32_e32 v18, 16, v18
	v_and_b32_e32 v25, 0xffff, v19
	v_lshrrev_b32_e32 v19, 16, v19
	v_pk_fma_f16 v23, v17, v23, v12
	v_mul_u32_u24_e32 v10, 0x10001, v10
	v_mul_u32_u24_e32 v18, 0x10001, v18
	;; [unrolled: 1-line block ×4, first 2 shown]
	v_pk_fma_f16 v5, v17, v13, v5
	s_wait_dscnt 0x0
	v_pk_fma_f16 v26, v6, v10, v11
	v_pk_fma_f16 v28, v7, v10, v16
	ds_load_b128 v[10:13], v112 offset:704
	v_pk_fma_f16 v27, v6, v18, v15
	v_pk_fma_f16 v22, v6, v25, v22
	;; [unrolled: 1-line block ×3, first 2 shown]
	v_and_b32_e32 v14, 0xffff, v20
	v_dual_lshrrev_b32 v15, 16, v20 :: v_dual_lshrrev_b32 v20, 16, v21
	v_and_b32_e32 v16, 0xffff, v21
	v_pk_fma_f16 v18, v7, v18, v24
	v_pk_fma_f16 v23, v7, v25, v23
	v_mul_u32_u24_e32 v21, 0x10001, v14
	v_mul_u32_u24_e32 v24, 0x10001, v15
	;; [unrolled: 1-line block ×3, first 2 shown]
	ds_load_2addr_b64 v[14:17], v123 offset1:32
	v_mul_u32_u24_e32 v29, 0x10001, v20
	v_pk_fma_f16 v5, v7, v19, v5
	v_pk_fma_f16 v7, v8, v21, v26
	;; [unrolled: 1-line block ×7, first 2 shown]
	ds_load_b128 v[18:21], v112 offset:720
	s_wait_dscnt 0x2
	v_and_b32_e32 v27, 0xffff, v10
	v_lshrrev_b32_e32 v10, 16, v10
	v_and_b32_e32 v28, 0xffff, v11
	v_lshrrev_b32_e32 v11, 16, v11
	v_pk_fma_f16 v23, v9, v25, v23
	v_mul_u32_u24_e32 v25, 0x10001, v27
	v_mul_u32_u24_e32 v10, 0x10001, v10
	;; [unrolled: 1-line block ×4, first 2 shown]
	v_pk_fma_f16 v5, v9, v29, v5
	s_wait_dscnt 0x1
	v_pk_fma_f16 v28, v14, v25, v7
	v_pk_fma_f16 v26, v14, v10, v26
	;; [unrolled: 1-line block ×4, first 2 shown]
	v_and_b32_e32 v6, 0xffff, v12
	v_lshrrev_b32_e32 v7, 16, v12
	v_pk_fma_f16 v25, v15, v25, v8
	v_pk_fma_f16 v10, v15, v10, v24
	;; [unrolled: 1-line block ×3, first 2 shown]
	v_and_b32_e32 v23, 0xffff, v13
	v_lshrrev_b32_e32 v13, 16, v13
	v_mul_u32_u24_e32 v24, 0x10001, v6
	v_mul_u32_u24_e32 v27, 0x10001, v7
	ds_load_2addr_b64 v[6:9], v123 offset0:64 offset1:96
	v_mul_u32_u24_e32 v23, 0x10001, v23
	v_mul_u32_u24_e32 v13, 0x10001, v13
	v_pk_fma_f16 v5, v15, v11, v5
	v_pk_fma_f16 v11, v16, v24, v28
	;; [unrolled: 1-line block ×7, first 2 shown]
	s_wait_dscnt 0x1
	v_and_b32_e32 v10, 0xffff, v18
	v_lshrrev_b32_e32 v18, 16, v18
	v_and_b32_e32 v25, 0xffff, v19
	v_lshrrev_b32_e32 v19, 16, v19
	v_pk_fma_f16 v23, v17, v23, v12
	v_mul_u32_u24_e32 v10, 0x10001, v10
	v_mul_u32_u24_e32 v18, 0x10001, v18
	;; [unrolled: 1-line block ×4, first 2 shown]
	v_pk_fma_f16 v5, v17, v13, v5
	s_wait_dscnt 0x0
	v_pk_fma_f16 v26, v6, v10, v11
	v_pk_fma_f16 v28, v7, v10, v16
	ds_load_b128 v[10:13], v112 offset:736
	v_pk_fma_f16 v27, v6, v18, v15
	v_pk_fma_f16 v22, v6, v25, v22
	;; [unrolled: 1-line block ×3, first 2 shown]
	v_and_b32_e32 v14, 0xffff, v20
	v_dual_lshrrev_b32 v15, 16, v20 :: v_dual_lshrrev_b32 v20, 16, v21
	v_and_b32_e32 v16, 0xffff, v21
	v_pk_fma_f16 v18, v7, v18, v24
	v_pk_fma_f16 v23, v7, v25, v23
	v_mul_u32_u24_e32 v21, 0x10001, v14
	v_mul_u32_u24_e32 v24, 0x10001, v15
	;; [unrolled: 1-line block ×3, first 2 shown]
	ds_load_2addr_b64 v[14:17], v123 offset0:128 offset1:160
	v_mul_u32_u24_e32 v29, 0x10001, v20
	v_pk_fma_f16 v5, v7, v19, v5
	v_pk_fma_f16 v7, v8, v21, v26
	;; [unrolled: 1-line block ×7, first 2 shown]
	ds_load_b128 v[18:21], v112 offset:752
	s_wait_dscnt 0x2
	v_and_b32_e32 v27, 0xffff, v10
	v_lshrrev_b32_e32 v10, 16, v10
	v_and_b32_e32 v28, 0xffff, v11
	v_lshrrev_b32_e32 v11, 16, v11
	v_pk_fma_f16 v23, v9, v25, v23
	v_mul_u32_u24_e32 v25, 0x10001, v27
	v_mul_u32_u24_e32 v10, 0x10001, v10
	;; [unrolled: 1-line block ×4, first 2 shown]
	v_pk_fma_f16 v5, v9, v29, v5
	s_wait_dscnt 0x1
	v_pk_fma_f16 v28, v14, v25, v7
	v_pk_fma_f16 v26, v14, v10, v26
	;; [unrolled: 1-line block ×4, first 2 shown]
	v_and_b32_e32 v6, 0xffff, v12
	v_lshrrev_b32_e32 v7, 16, v12
	v_pk_fma_f16 v25, v15, v25, v8
	v_pk_fma_f16 v10, v15, v10, v24
	;; [unrolled: 1-line block ×3, first 2 shown]
	v_and_b32_e32 v23, 0xffff, v13
	v_lshrrev_b32_e32 v13, 16, v13
	v_mul_u32_u24_e32 v24, 0x10001, v6
	v_mul_u32_u24_e32 v27, 0x10001, v7
	ds_load_2addr_b64 v[6:9], v123 offset0:192 offset1:224
	v_mul_u32_u24_e32 v23, 0x10001, v23
	v_mul_u32_u24_e32 v13, 0x10001, v13
	v_pk_fma_f16 v5, v15, v11, v5
	v_pk_fma_f16 v11, v16, v24, v28
	;; [unrolled: 1-line block ×7, first 2 shown]
	s_wait_dscnt 0x1
	v_and_b32_e32 v10, 0xffff, v18
	v_lshrrev_b32_e32 v18, 16, v18
	v_and_b32_e32 v25, 0xffff, v19
	v_lshrrev_b32_e32 v19, 16, v19
	v_pk_fma_f16 v23, v17, v23, v12
	v_mul_u32_u24_e32 v10, 0x10001, v10
	v_mul_u32_u24_e32 v18, 0x10001, v18
	v_mul_u32_u24_e32 v25, 0x10001, v25
	v_mul_u32_u24_e32 v19, 0x10001, v19
	v_pk_fma_f16 v5, v17, v13, v5
	s_wait_dscnt 0x0
	v_pk_fma_f16 v26, v6, v10, v11
	v_pk_fma_f16 v28, v7, v10, v16
	ds_load_b128 v[10:13], v112 offset:768
	v_pk_fma_f16 v27, v6, v18, v15
	v_pk_fma_f16 v22, v6, v25, v22
	;; [unrolled: 1-line block ×3, first 2 shown]
	v_and_b32_e32 v14, 0xffff, v20
	v_dual_lshrrev_b32 v15, 16, v20 :: v_dual_lshrrev_b32 v20, 16, v21
	v_and_b32_e32 v16, 0xffff, v21
	v_pk_fma_f16 v18, v7, v18, v24
	v_pk_fma_f16 v23, v7, v25, v23
	v_mul_u32_u24_e32 v21, 0x10001, v14
	v_mul_u32_u24_e32 v24, 0x10001, v15
	;; [unrolled: 1-line block ×3, first 2 shown]
	ds_load_2addr_b64 v[14:17], v124 offset1:32
	v_mul_u32_u24_e32 v29, 0x10001, v20
	v_pk_fma_f16 v5, v7, v19, v5
	v_pk_fma_f16 v7, v8, v21, v26
	;; [unrolled: 1-line block ×7, first 2 shown]
	ds_load_b128 v[18:21], v112 offset:784
	s_wait_dscnt 0x2
	v_and_b32_e32 v27, 0xffff, v10
	v_lshrrev_b32_e32 v10, 16, v10
	v_and_b32_e32 v28, 0xffff, v11
	v_lshrrev_b32_e32 v11, 16, v11
	v_pk_fma_f16 v23, v9, v25, v23
	v_mul_u32_u24_e32 v25, 0x10001, v27
	v_mul_u32_u24_e32 v10, 0x10001, v10
	;; [unrolled: 1-line block ×4, first 2 shown]
	v_pk_fma_f16 v5, v9, v29, v5
	s_wait_dscnt 0x1
	v_pk_fma_f16 v28, v14, v25, v7
	v_pk_fma_f16 v26, v14, v10, v26
	;; [unrolled: 1-line block ×4, first 2 shown]
	v_and_b32_e32 v6, 0xffff, v12
	v_lshrrev_b32_e32 v7, 16, v12
	v_pk_fma_f16 v25, v15, v25, v8
	v_pk_fma_f16 v10, v15, v10, v24
	;; [unrolled: 1-line block ×3, first 2 shown]
	v_and_b32_e32 v23, 0xffff, v13
	v_lshrrev_b32_e32 v13, 16, v13
	v_mul_u32_u24_e32 v24, 0x10001, v6
	v_mul_u32_u24_e32 v27, 0x10001, v7
	ds_load_2addr_b64 v[6:9], v124 offset0:64 offset1:96
	v_mul_u32_u24_e32 v23, 0x10001, v23
	v_mul_u32_u24_e32 v13, 0x10001, v13
	v_pk_fma_f16 v5, v15, v11, v5
	v_pk_fma_f16 v11, v16, v24, v28
	;; [unrolled: 1-line block ×7, first 2 shown]
	s_wait_dscnt 0x1
	v_and_b32_e32 v10, 0xffff, v18
	v_lshrrev_b32_e32 v18, 16, v18
	v_and_b32_e32 v25, 0xffff, v19
	v_lshrrev_b32_e32 v19, 16, v19
	v_pk_fma_f16 v23, v17, v23, v12
	v_mul_u32_u24_e32 v10, 0x10001, v10
	v_mul_u32_u24_e32 v18, 0x10001, v18
	;; [unrolled: 1-line block ×4, first 2 shown]
	v_pk_fma_f16 v5, v17, v13, v5
	s_wait_dscnt 0x0
	v_pk_fma_f16 v26, v6, v10, v11
	v_pk_fma_f16 v28, v7, v10, v16
	ds_load_b128 v[10:13], v112 offset:800
	v_pk_fma_f16 v27, v6, v18, v15
	v_pk_fma_f16 v22, v6, v25, v22
	;; [unrolled: 1-line block ×3, first 2 shown]
	v_and_b32_e32 v14, 0xffff, v20
	v_dual_lshrrev_b32 v15, 16, v20 :: v_dual_lshrrev_b32 v20, 16, v21
	v_and_b32_e32 v16, 0xffff, v21
	v_pk_fma_f16 v18, v7, v18, v24
	v_pk_fma_f16 v23, v7, v25, v23
	v_mul_u32_u24_e32 v21, 0x10001, v14
	v_mul_u32_u24_e32 v24, 0x10001, v15
	;; [unrolled: 1-line block ×3, first 2 shown]
	ds_load_2addr_b64 v[14:17], v124 offset0:128 offset1:160
	v_mul_u32_u24_e32 v29, 0x10001, v20
	v_pk_fma_f16 v5, v7, v19, v5
	v_pk_fma_f16 v7, v8, v21, v26
	;; [unrolled: 1-line block ×7, first 2 shown]
	ds_load_b128 v[18:21], v112 offset:816
	s_wait_dscnt 0x2
	v_and_b32_e32 v27, 0xffff, v10
	v_lshrrev_b32_e32 v10, 16, v10
	v_and_b32_e32 v28, 0xffff, v11
	v_lshrrev_b32_e32 v11, 16, v11
	v_pk_fma_f16 v23, v9, v25, v23
	v_mul_u32_u24_e32 v25, 0x10001, v27
	v_mul_u32_u24_e32 v10, 0x10001, v10
	;; [unrolled: 1-line block ×4, first 2 shown]
	v_pk_fma_f16 v5, v9, v29, v5
	s_wait_dscnt 0x1
	v_pk_fma_f16 v28, v14, v25, v7
	v_pk_fma_f16 v26, v14, v10, v26
	;; [unrolled: 1-line block ×4, first 2 shown]
	v_and_b32_e32 v6, 0xffff, v12
	v_lshrrev_b32_e32 v7, 16, v12
	v_pk_fma_f16 v25, v15, v25, v8
	v_pk_fma_f16 v10, v15, v10, v24
	;; [unrolled: 1-line block ×3, first 2 shown]
	v_and_b32_e32 v23, 0xffff, v13
	v_lshrrev_b32_e32 v13, 16, v13
	v_mul_u32_u24_e32 v24, 0x10001, v6
	v_mul_u32_u24_e32 v27, 0x10001, v7
	ds_load_2addr_b64 v[6:9], v124 offset0:192 offset1:224
	v_mul_u32_u24_e32 v23, 0x10001, v23
	v_mul_u32_u24_e32 v13, 0x10001, v13
	v_pk_fma_f16 v5, v15, v11, v5
	v_pk_fma_f16 v11, v16, v24, v28
	;; [unrolled: 1-line block ×7, first 2 shown]
	s_wait_dscnt 0x1
	v_and_b32_e32 v10, 0xffff, v18
	v_lshrrev_b32_e32 v18, 16, v18
	v_and_b32_e32 v25, 0xffff, v19
	v_lshrrev_b32_e32 v19, 16, v19
	v_pk_fma_f16 v23, v17, v23, v12
	v_mul_u32_u24_e32 v10, 0x10001, v10
	v_mul_u32_u24_e32 v18, 0x10001, v18
	;; [unrolled: 1-line block ×4, first 2 shown]
	v_pk_fma_f16 v5, v17, v13, v5
	s_wait_dscnt 0x0
	v_pk_fma_f16 v26, v6, v10, v11
	v_pk_fma_f16 v28, v7, v10, v16
	ds_load_b128 v[10:13], v112 offset:832
	v_pk_fma_f16 v27, v6, v18, v15
	v_pk_fma_f16 v22, v6, v25, v22
	;; [unrolled: 1-line block ×3, first 2 shown]
	v_and_b32_e32 v14, 0xffff, v20
	v_dual_lshrrev_b32 v15, 16, v20 :: v_dual_lshrrev_b32 v20, 16, v21
	v_and_b32_e32 v16, 0xffff, v21
	v_pk_fma_f16 v18, v7, v18, v24
	v_pk_fma_f16 v23, v7, v25, v23
	v_mul_u32_u24_e32 v21, 0x10001, v14
	v_mul_u32_u24_e32 v24, 0x10001, v15
	;; [unrolled: 1-line block ×3, first 2 shown]
	ds_load_2addr_b64 v[14:17], v126 offset1:32
	v_mul_u32_u24_e32 v29, 0x10001, v20
	v_pk_fma_f16 v5, v7, v19, v5
	v_pk_fma_f16 v7, v8, v21, v26
	;; [unrolled: 1-line block ×7, first 2 shown]
	ds_load_b128 v[18:21], v112 offset:848
	s_wait_dscnt 0x2
	v_and_b32_e32 v27, 0xffff, v10
	v_lshrrev_b32_e32 v10, 16, v10
	v_and_b32_e32 v28, 0xffff, v11
	v_lshrrev_b32_e32 v11, 16, v11
	v_pk_fma_f16 v23, v9, v25, v23
	v_mul_u32_u24_e32 v25, 0x10001, v27
	v_mul_u32_u24_e32 v10, 0x10001, v10
	;; [unrolled: 1-line block ×4, first 2 shown]
	v_pk_fma_f16 v5, v9, v29, v5
	s_wait_dscnt 0x1
	v_pk_fma_f16 v28, v14, v25, v7
	v_pk_fma_f16 v26, v14, v10, v26
	;; [unrolled: 1-line block ×4, first 2 shown]
	v_and_b32_e32 v6, 0xffff, v12
	v_lshrrev_b32_e32 v7, 16, v12
	v_pk_fma_f16 v25, v15, v25, v8
	v_pk_fma_f16 v10, v15, v10, v24
	;; [unrolled: 1-line block ×3, first 2 shown]
	v_and_b32_e32 v23, 0xffff, v13
	v_lshrrev_b32_e32 v13, 16, v13
	v_mul_u32_u24_e32 v24, 0x10001, v6
	v_mul_u32_u24_e32 v27, 0x10001, v7
	ds_load_2addr_b64 v[6:9], v126 offset0:64 offset1:96
	v_mul_u32_u24_e32 v23, 0x10001, v23
	v_mul_u32_u24_e32 v13, 0x10001, v13
	v_pk_fma_f16 v5, v15, v11, v5
	v_pk_fma_f16 v11, v16, v24, v28
	v_pk_fma_f16 v15, v16, v27, v26
	v_pk_fma_f16 v22, v16, v23, v22
	v_pk_fma_f16 v14, v16, v13, v14
	v_pk_fma_f16 v16, v17, v24, v25
	v_pk_fma_f16 v24, v17, v27, v10
	s_wait_dscnt 0x1
	v_and_b32_e32 v10, 0xffff, v18
	v_lshrrev_b32_e32 v18, 16, v18
	v_and_b32_e32 v25, 0xffff, v19
	v_lshrrev_b32_e32 v19, 16, v19
	v_pk_fma_f16 v23, v17, v23, v12
	v_mul_u32_u24_e32 v10, 0x10001, v10
	v_mul_u32_u24_e32 v18, 0x10001, v18
	;; [unrolled: 1-line block ×4, first 2 shown]
	v_pk_fma_f16 v5, v17, v13, v5
	s_wait_dscnt 0x0
	v_pk_fma_f16 v26, v6, v10, v11
	v_pk_fma_f16 v28, v7, v10, v16
	ds_load_b128 v[10:13], v112 offset:864
	v_pk_fma_f16 v27, v6, v18, v15
	v_pk_fma_f16 v22, v6, v25, v22
	;; [unrolled: 1-line block ×3, first 2 shown]
	v_and_b32_e32 v14, 0xffff, v20
	v_dual_lshrrev_b32 v15, 16, v20 :: v_dual_lshrrev_b32 v20, 16, v21
	v_and_b32_e32 v16, 0xffff, v21
	v_pk_fma_f16 v18, v7, v18, v24
	v_pk_fma_f16 v23, v7, v25, v23
	v_mul_u32_u24_e32 v21, 0x10001, v14
	v_mul_u32_u24_e32 v24, 0x10001, v15
	;; [unrolled: 1-line block ×3, first 2 shown]
	ds_load_2addr_b64 v[14:17], v126 offset0:128 offset1:160
	v_mul_u32_u24_e32 v29, 0x10001, v20
	v_pk_fma_f16 v5, v7, v19, v5
	v_pk_fma_f16 v7, v8, v21, v26
	;; [unrolled: 1-line block ×7, first 2 shown]
	ds_load_b128 v[18:21], v112 offset:880
	s_wait_dscnt 0x2
	v_and_b32_e32 v27, 0xffff, v10
	v_lshrrev_b32_e32 v10, 16, v10
	v_and_b32_e32 v28, 0xffff, v11
	v_lshrrev_b32_e32 v11, 16, v11
	v_pk_fma_f16 v23, v9, v25, v23
	v_mul_u32_u24_e32 v25, 0x10001, v27
	v_mul_u32_u24_e32 v10, 0x10001, v10
	;; [unrolled: 1-line block ×4, first 2 shown]
	v_pk_fma_f16 v5, v9, v29, v5
	s_wait_dscnt 0x1
	v_pk_fma_f16 v28, v14, v25, v7
	v_pk_fma_f16 v26, v14, v10, v26
	;; [unrolled: 1-line block ×4, first 2 shown]
	v_and_b32_e32 v6, 0xffff, v12
	v_lshrrev_b32_e32 v7, 16, v12
	v_pk_fma_f16 v25, v15, v25, v8
	v_pk_fma_f16 v10, v15, v10, v24
	v_pk_fma_f16 v12, v15, v27, v23
	v_and_b32_e32 v23, 0xffff, v13
	v_lshrrev_b32_e32 v13, 16, v13
	v_mul_u32_u24_e32 v24, 0x10001, v6
	v_mul_u32_u24_e32 v27, 0x10001, v7
	ds_load_2addr_b64 v[6:9], v126 offset0:192 offset1:224
	v_mul_u32_u24_e32 v23, 0x10001, v23
	v_mul_u32_u24_e32 v13, 0x10001, v13
	v_pk_fma_f16 v5, v15, v11, v5
	v_pk_fma_f16 v11, v16, v24, v28
	;; [unrolled: 1-line block ×7, first 2 shown]
	s_wait_dscnt 0x1
	v_and_b32_e32 v10, 0xffff, v18
	v_lshrrev_b32_e32 v18, 16, v18
	v_and_b32_e32 v25, 0xffff, v19
	v_lshrrev_b32_e32 v19, 16, v19
	v_pk_fma_f16 v23, v17, v23, v12
	v_mul_u32_u24_e32 v10, 0x10001, v10
	v_mul_u32_u24_e32 v18, 0x10001, v18
	;; [unrolled: 1-line block ×4, first 2 shown]
	v_pk_fma_f16 v5, v17, v13, v5
	s_wait_dscnt 0x0
	v_pk_fma_f16 v26, v6, v10, v11
	v_pk_fma_f16 v28, v7, v10, v16
	ds_load_b128 v[10:13], v112 offset:896
	v_pk_fma_f16 v27, v6, v18, v15
	v_pk_fma_f16 v22, v6, v25, v22
	;; [unrolled: 1-line block ×3, first 2 shown]
	v_and_b32_e32 v14, 0xffff, v20
	v_dual_lshrrev_b32 v15, 16, v20 :: v_dual_lshrrev_b32 v20, 16, v21
	v_and_b32_e32 v16, 0xffff, v21
	v_pk_fma_f16 v18, v7, v18, v24
	v_pk_fma_f16 v23, v7, v25, v23
	v_mul_u32_u24_e32 v21, 0x10001, v14
	v_mul_u32_u24_e32 v24, 0x10001, v15
	;; [unrolled: 1-line block ×3, first 2 shown]
	ds_load_2addr_b64 v[14:17], v125 offset1:32
	v_mul_u32_u24_e32 v29, 0x10001, v20
	v_pk_fma_f16 v5, v7, v19, v5
	v_pk_fma_f16 v7, v8, v21, v26
	;; [unrolled: 1-line block ×7, first 2 shown]
	ds_load_b128 v[18:21], v112 offset:912
	s_wait_dscnt 0x2
	v_and_b32_e32 v27, 0xffff, v10
	v_lshrrev_b32_e32 v10, 16, v10
	v_and_b32_e32 v28, 0xffff, v11
	v_lshrrev_b32_e32 v11, 16, v11
	v_pk_fma_f16 v23, v9, v25, v23
	v_mul_u32_u24_e32 v25, 0x10001, v27
	v_mul_u32_u24_e32 v10, 0x10001, v10
	;; [unrolled: 1-line block ×4, first 2 shown]
	v_pk_fma_f16 v5, v9, v29, v5
	s_wait_dscnt 0x1
	v_pk_fma_f16 v28, v14, v25, v7
	v_pk_fma_f16 v26, v14, v10, v26
	;; [unrolled: 1-line block ×4, first 2 shown]
	v_and_b32_e32 v6, 0xffff, v12
	v_lshrrev_b32_e32 v7, 16, v12
	v_pk_fma_f16 v25, v15, v25, v8
	v_pk_fma_f16 v10, v15, v10, v24
	;; [unrolled: 1-line block ×3, first 2 shown]
	v_and_b32_e32 v23, 0xffff, v13
	v_lshrrev_b32_e32 v13, 16, v13
	v_mul_u32_u24_e32 v24, 0x10001, v6
	v_mul_u32_u24_e32 v27, 0x10001, v7
	ds_load_2addr_b64 v[6:9], v125 offset0:64 offset1:96
	v_mul_u32_u24_e32 v23, 0x10001, v23
	v_mul_u32_u24_e32 v13, 0x10001, v13
	v_pk_fma_f16 v5, v15, v11, v5
	v_pk_fma_f16 v11, v16, v24, v28
	;; [unrolled: 1-line block ×7, first 2 shown]
	s_wait_dscnt 0x1
	v_and_b32_e32 v10, 0xffff, v18
	v_lshrrev_b32_e32 v18, 16, v18
	v_and_b32_e32 v25, 0xffff, v19
	v_lshrrev_b32_e32 v19, 16, v19
	v_pk_fma_f16 v23, v17, v23, v12
	v_mul_u32_u24_e32 v10, 0x10001, v10
	v_mul_u32_u24_e32 v18, 0x10001, v18
	;; [unrolled: 1-line block ×4, first 2 shown]
	v_pk_fma_f16 v5, v17, v13, v5
	s_wait_dscnt 0x0
	v_pk_fma_f16 v26, v6, v10, v11
	v_pk_fma_f16 v28, v7, v10, v16
	ds_load_b128 v[10:13], v112 offset:928
	v_pk_fma_f16 v27, v6, v18, v15
	v_pk_fma_f16 v22, v6, v25, v22
	;; [unrolled: 1-line block ×3, first 2 shown]
	v_and_b32_e32 v14, 0xffff, v20
	v_dual_lshrrev_b32 v15, 16, v20 :: v_dual_lshrrev_b32 v20, 16, v21
	v_and_b32_e32 v16, 0xffff, v21
	v_pk_fma_f16 v18, v7, v18, v24
	v_pk_fma_f16 v23, v7, v25, v23
	v_mul_u32_u24_e32 v21, 0x10001, v14
	v_mul_u32_u24_e32 v24, 0x10001, v15
	;; [unrolled: 1-line block ×3, first 2 shown]
	ds_load_2addr_b64 v[14:17], v125 offset0:128 offset1:160
	v_mul_u32_u24_e32 v29, 0x10001, v20
	v_pk_fma_f16 v5, v7, v19, v5
	v_pk_fma_f16 v7, v8, v21, v26
	;; [unrolled: 1-line block ×7, first 2 shown]
	ds_load_b128 v[18:21], v112 offset:944
	s_wait_dscnt 0x2
	v_and_b32_e32 v27, 0xffff, v10
	v_lshrrev_b32_e32 v10, 16, v10
	v_and_b32_e32 v28, 0xffff, v11
	v_lshrrev_b32_e32 v11, 16, v11
	v_pk_fma_f16 v23, v9, v25, v23
	v_mul_u32_u24_e32 v25, 0x10001, v27
	v_mul_u32_u24_e32 v10, 0x10001, v10
	;; [unrolled: 1-line block ×4, first 2 shown]
	v_pk_fma_f16 v5, v9, v29, v5
	s_wait_dscnt 0x1
	v_pk_fma_f16 v28, v14, v25, v7
	v_pk_fma_f16 v26, v14, v10, v26
	;; [unrolled: 1-line block ×4, first 2 shown]
	v_and_b32_e32 v6, 0xffff, v12
	v_lshrrev_b32_e32 v7, 16, v12
	v_pk_fma_f16 v25, v15, v25, v8
	v_pk_fma_f16 v10, v15, v10, v24
	;; [unrolled: 1-line block ×3, first 2 shown]
	v_and_b32_e32 v23, 0xffff, v13
	v_lshrrev_b32_e32 v13, 16, v13
	v_mul_u32_u24_e32 v24, 0x10001, v6
	v_mul_u32_u24_e32 v27, 0x10001, v7
	ds_load_2addr_b64 v[6:9], v125 offset0:192 offset1:224
	v_mul_u32_u24_e32 v23, 0x10001, v23
	v_mul_u32_u24_e32 v13, 0x10001, v13
	v_pk_fma_f16 v5, v15, v11, v5
	v_pk_fma_f16 v11, v16, v24, v28
	;; [unrolled: 1-line block ×7, first 2 shown]
	s_wait_dscnt 0x1
	v_and_b32_e32 v10, 0xffff, v18
	v_lshrrev_b32_e32 v18, 16, v18
	v_and_b32_e32 v25, 0xffff, v19
	v_lshrrev_b32_e32 v19, 16, v19
	v_pk_fma_f16 v23, v17, v23, v12
	v_mul_u32_u24_e32 v10, 0x10001, v10
	v_mul_u32_u24_e32 v18, 0x10001, v18
	;; [unrolled: 1-line block ×4, first 2 shown]
	v_pk_fma_f16 v5, v17, v13, v5
	s_wait_dscnt 0x0
	v_pk_fma_f16 v26, v6, v10, v11
	v_pk_fma_f16 v28, v7, v10, v16
	ds_load_b128 v[10:13], v112 offset:960
	v_pk_fma_f16 v27, v6, v18, v15
	v_pk_fma_f16 v22, v6, v25, v22
	;; [unrolled: 1-line block ×3, first 2 shown]
	v_and_b32_e32 v14, 0xffff, v20
	v_dual_lshrrev_b32 v15, 16, v20 :: v_dual_lshrrev_b32 v20, 16, v21
	v_and_b32_e32 v16, 0xffff, v21
	v_pk_fma_f16 v18, v7, v18, v24
	v_pk_fma_f16 v23, v7, v25, v23
	v_mul_u32_u24_e32 v21, 0x10001, v14
	v_mul_u32_u24_e32 v24, 0x10001, v15
	;; [unrolled: 1-line block ×3, first 2 shown]
	ds_load_2addr_b64 v[14:17], v4 offset1:32
	v_mul_u32_u24_e32 v29, 0x10001, v20
	v_pk_fma_f16 v5, v7, v19, v5
	v_pk_fma_f16 v7, v8, v21, v26
	;; [unrolled: 1-line block ×7, first 2 shown]
	ds_load_b128 v[18:21], v112 offset:976
	s_wait_dscnt 0x2
	v_and_b32_e32 v27, 0xffff, v10
	v_lshrrev_b32_e32 v10, 16, v10
	v_and_b32_e32 v28, 0xffff, v11
	v_lshrrev_b32_e32 v11, 16, v11
	v_pk_fma_f16 v23, v9, v25, v23
	v_mul_u32_u24_e32 v25, 0x10001, v27
	v_mul_u32_u24_e32 v10, 0x10001, v10
	;; [unrolled: 1-line block ×4, first 2 shown]
	v_pk_fma_f16 v5, v9, v29, v5
	s_wait_dscnt 0x1
	v_pk_fma_f16 v28, v14, v25, v7
	v_pk_fma_f16 v26, v14, v10, v26
	;; [unrolled: 1-line block ×4, first 2 shown]
	v_and_b32_e32 v6, 0xffff, v12
	v_lshrrev_b32_e32 v7, 16, v12
	v_pk_fma_f16 v25, v15, v25, v8
	v_pk_fma_f16 v10, v15, v10, v24
	;; [unrolled: 1-line block ×3, first 2 shown]
	v_and_b32_e32 v23, 0xffff, v13
	v_lshrrev_b32_e32 v13, 16, v13
	v_mul_u32_u24_e32 v24, 0x10001, v6
	v_mul_u32_u24_e32 v27, 0x10001, v7
	ds_load_2addr_b64 v[6:9], v4 offset0:64 offset1:96
	v_mul_u32_u24_e32 v23, 0x10001, v23
	v_mul_u32_u24_e32 v13, 0x10001, v13
	v_pk_fma_f16 v5, v15, v11, v5
	v_pk_fma_f16 v11, v16, v24, v28
	;; [unrolled: 1-line block ×7, first 2 shown]
	s_wait_dscnt 0x1
	v_and_b32_e32 v10, 0xffff, v18
	v_lshrrev_b32_e32 v18, 16, v18
	v_and_b32_e32 v25, 0xffff, v19
	v_lshrrev_b32_e32 v19, 16, v19
	v_pk_fma_f16 v23, v17, v23, v12
	v_mul_u32_u24_e32 v10, 0x10001, v10
	v_mul_u32_u24_e32 v18, 0x10001, v18
	;; [unrolled: 1-line block ×4, first 2 shown]
	v_pk_fma_f16 v5, v17, v13, v5
	s_wait_dscnt 0x0
	v_pk_fma_f16 v26, v6, v10, v11
	v_pk_fma_f16 v28, v7, v10, v16
	ds_load_b128 v[10:13], v112 offset:992
	v_pk_fma_f16 v27, v6, v18, v15
	v_pk_fma_f16 v22, v6, v25, v22
	;; [unrolled: 1-line block ×3, first 2 shown]
	v_and_b32_e32 v14, 0xffff, v20
	v_dual_lshrrev_b32 v15, 16, v20 :: v_dual_lshrrev_b32 v20, 16, v21
	v_and_b32_e32 v16, 0xffff, v21
	v_pk_fma_f16 v18, v7, v18, v24
	v_pk_fma_f16 v23, v7, v25, v23
	v_mul_u32_u24_e32 v21, 0x10001, v14
	v_mul_u32_u24_e32 v24, 0x10001, v15
	;; [unrolled: 1-line block ×3, first 2 shown]
	ds_load_2addr_b64 v[14:17], v4 offset0:128 offset1:160
	v_mul_u32_u24_e32 v29, 0x10001, v20
	v_pk_fma_f16 v5, v7, v19, v5
	v_pk_fma_f16 v7, v8, v21, v26
	;; [unrolled: 1-line block ×7, first 2 shown]
	ds_load_b128 v[18:21], v112 offset:1008
	s_wait_dscnt 0x2
	v_and_b32_e32 v27, 0xffff, v10
	v_lshrrev_b32_e32 v10, 16, v10
	v_and_b32_e32 v28, 0xffff, v11
	v_lshrrev_b32_e32 v11, 16, v11
	v_pk_fma_f16 v23, v9, v25, v23
	v_mul_u32_u24_e32 v25, 0x10001, v27
	v_mul_u32_u24_e32 v10, 0x10001, v10
	;; [unrolled: 1-line block ×4, first 2 shown]
	v_pk_fma_f16 v9, v9, v29, v5
	s_wait_dscnt 0x1
	v_pk_fma_f16 v28, v14, v25, v7
	v_pk_fma_f16 v26, v14, v10, v26
	;; [unrolled: 1-line block ×4, first 2 shown]
	v_and_b32_e32 v5, 0xffff, v12
	v_lshrrev_b32_e32 v6, 16, v12
	v_pk_fma_f16 v8, v15, v25, v8
	v_pk_fma_f16 v10, v15, v10, v24
	v_pk_fma_f16 v12, v15, v27, v23
	v_and_b32_e32 v23, 0xffff, v13
	v_lshrrev_b32_e32 v13, 16, v13
	v_mul_u32_u24_e32 v24, 0x10001, v5
	v_mul_u32_u24_e32 v25, 0x10001, v6
	ds_load_2addr_b64 v[4:7], v4 offset0:192 offset1:224
	v_mul_u32_u24_e32 v23, 0x10001, v23
	v_mul_u32_u24_e32 v13, 0x10001, v13
	s_wait_dscnt 0x0
	s_barrier_signal -1
	s_barrier_wait -1
	s_load_b32 s5, s[20:21], 0x4
	v_pk_fma_f16 v9, v15, v11, v9
	v_pk_fma_f16 v11, v16, v24, v28
	;; [unrolled: 1-line block ×6, first 2 shown]
	v_and_b32_e32 v16, 0xffff, v18
	v_lshrrev_b32_e32 v18, 16, v18
	v_and_b32_e32 v24, 0xffff, v19
	v_lshrrev_b32_e32 v19, 16, v19
	v_pk_fma_f16 v10, v17, v25, v10
	v_pk_fma_f16 v12, v17, v23, v12
	v_mul_u32_u24_e32 v16, 0x10001, v16
	v_mul_u32_u24_e32 v18, 0x10001, v18
	;; [unrolled: 1-line block ×4, first 2 shown]
	v_pk_fma_f16 v9, v17, v13, v9
	v_pk_fma_f16 v11, v4, v16, v11
	;; [unrolled: 1-line block ×7, first 2 shown]
	v_and_b32_e32 v14, 0xffff, v20
	v_dual_lshrrev_b32 v16, 16, v20 :: v_dual_lshrrev_b32 v18, 16, v21
	v_and_b32_e32 v17, 0xffff, v21
	v_pk_fma_f16 v12, v5, v23, v12
	s_delay_alu instid0(VALU_DEP_4) | instskip(NEXT) | instid1(VALU_DEP_4)
	v_mul_u32_u24_e32 v14, 0x10001, v14
	v_mul_u32_u24_e32 v16, 0x10001, v16
	;; [unrolled: 1-line block ×4, first 2 shown]
	v_pk_fma_f16 v5, v5, v19, v9
	s_wait_kmcnt 0x0
	s_lshl_b32 s5, s5, 7
	v_pk_fma_f16 v38, v6, v14, v11
	v_pk_fma_f16 v36, v6, v16, v13
	;; [unrolled: 1-line block ×8, first 2 shown]
	s_add_co_i32 s4, s5, s4
	s_delay_alu instid0(SALU_CYCLE_1)
	s_cmp_ge_i32 s4, s30
	s_cbranch_scc1 .LBB81_75
; %bb.74:                               ;   in Loop: Header=BB81_9 Depth=1
	v_dual_mov_b32 v42, v0 :: v_dual_mov_b32 v43, v1
	v_dual_mov_b32 v41, v2 :: v_dual_mov_b32 v40, v3
	s_branch .LBB81_9
.LBB81_75:
	v_mov_b32_e32 v4, v101
.LBB81_76:
	v_cmp_lt_i32_e32 vcc_lo, v120, v102
	s_cmp_lg_u64 s[12:13], 0
	s_cselect_b32 s3, -1, 0
	s_cmp_eq_u32 s31, 0
	v_cndmask_b32_e32 v5, v4, v120, vcc_lo
	v_cmp_lt_i32_e32 vcc_lo, v119, v102
	s_cselect_b32 s4, -1, 0
	s_delay_alu instid0(SALU_CYCLE_1) | instskip(NEXT) | instid1(VALU_DEP_2)
	s_and_b32 s3, s4, s3
	v_lshlrev_b32_e32 v5, 2, v5
	ds_bpermute_b32 v6, v5, v72
	ds_bpermute_b32 v7, v5, v73
	;; [unrolled: 1-line block ×4, first 2 shown]
	v_cndmask_b32_e32 v5, v4, v119, vcc_lo
	v_cmp_lt_i32_e32 vcc_lo, v118, v102
	s_delay_alu instid0(VALU_DEP_2)
	v_lshlrev_b32_e32 v5, 2, v5
	s_wait_dscnt 0x2
	v_pk_add_f32 v[6:7], v[72:73], v[6:7]
	s_wait_dscnt 0x0
	v_pk_add_f32 v[8:9], v[70:71], v[8:9]
	ds_bpermute_b32 v10, v5, v6
	ds_bpermute_b32 v11, v5, v7
	;; [unrolled: 1-line block ×4, first 2 shown]
	v_cndmask_b32_e32 v5, v4, v118, vcc_lo
	v_cmp_lt_i32_e32 vcc_lo, v117, v102
	s_delay_alu instid0(VALU_DEP_2)
	v_lshlrev_b32_e32 v5, 2, v5
	s_wait_dscnt 0x2
	v_pk_add_f32 v[6:7], v[6:7], v[10:11]
	s_wait_dscnt 0x0
	v_pk_add_f32 v[8:9], v[8:9], v[12:13]
	ds_bpermute_b32 v10, v5, v6
	ds_bpermute_b32 v11, v5, v7
	;; [unrolled: 1-line block ×4, first 2 shown]
	v_cndmask_b32_e32 v5, v4, v117, vcc_lo
	v_cmp_lt_i32_e32 vcc_lo, v116, v102
	s_delay_alu instid0(VALU_DEP_2) | instskip(SKIP_1) | instid1(VALU_DEP_1)
	v_dual_cndmask_b32 v4, v4, v116 :: v_dual_lshlrev_b32 v5, 2, v5
	s_and_b32 vcc_lo, exec_lo, s3
	v_lshlrev_b32_e32 v14, 2, v4
	s_wait_dscnt 0x2
	v_pk_add_f32 v[6:7], v[6:7], v[10:11]
	s_wait_dscnt 0x0
	v_pk_add_f32 v[8:9], v[8:9], v[12:13]
	ds_bpermute_b32 v10, v5, v6
	ds_bpermute_b32 v11, v5, v7
	;; [unrolled: 1-line block ×4, first 2 shown]
	s_wait_dscnt 0x2
	v_pk_add_f32 v[4:5], v[6:7], v[10:11]
	s_wait_dscnt 0x0
	v_pk_add_f32 v[8:9], v[8:9], v[12:13]
	ds_bpermute_b32 v6, v14, v4
	ds_bpermute_b32 v7, v14, v5
	;; [unrolled: 1-line block ×4, first 2 shown]
	s_wait_dscnt 0x2
	v_pk_add_f32 v[6:7], v[4:5], v[6:7]
	s_wait_dscnt 0x0
	v_pk_add_f32 v[4:5], v[8:9], v[10:11]
	s_cbranch_vccz .LBB81_78
; %bb.77:
	s_ashr_i32 s3, s2, 31
	v_mov_b32_e32 v8, 0
	s_lshl_b64 s[4:5], s[2:3], 2
	v_max_num_f32_e32 v9, v1, v1
	s_add_nc_u64 s[4:5], s[12:13], s[4:5]
	v_max_num_f32_e32 v14, v2, v2
	global_load_b64 v[12:13], v8, s[4:5]
	s_wait_xcnt 0x0
	v_max_num_f32_e32 v8, v0, v0
	s_wait_loadcnt 0x0
	v_dual_max_num_f32 v10, v12, v12 :: v_dual_max_num_f32 v11, v13, v13
	s_delay_alu instid0(VALU_DEP_1) | instskip(NEXT) | instid1(VALU_DEP_2)
	v_dual_max_num_f32 v15, v3, v3 :: v_dual_max_num_f32 v8, v8, v10
	v_dual_max_num_f32 v9, v9, v11 :: v_dual_max_num_f32 v10, v14, v10
	s_delay_alu instid0(VALU_DEP_2) | instskip(NEXT) | instid1(VALU_DEP_2)
	v_dual_max_num_f32 v11, v15, v11 :: v_dual_sub_f32 v0, v0, v8
	v_dual_sub_f32 v14, v12, v8 :: v_dual_sub_f32 v1, v1, v9
	s_delay_alu instid0(VALU_DEP_3) | instskip(NEXT) | instid1(VALU_DEP_3)
	v_dual_sub_f32 v15, v13, v9 :: v_dual_sub_f32 v16, v2, v10
	v_dual_sub_f32 v19, v13, v11 :: v_dual_mul_f32 v2, 0x3fb8aa3b, v0
	v_dual_sub_f32 v17, v12, v10 :: v_dual_sub_f32 v18, v3, v11
	s_delay_alu instid0(VALU_DEP_4) | instskip(NEXT) | instid1(VALU_DEP_4)
	v_dual_mul_f32 v3, 0x3fb8aa3b, v14 :: v_dual_mul_f32 v12, 0x3fb8aa3b, v1
	v_dual_mul_f32 v13, 0x3fb8aa3b, v15 :: v_dual_mul_f32 v20, 0x3fb8aa3b, v16
	s_delay_alu instid0(VALU_DEP_4)
	v_fma_f32 v24, 0x3fb8aa3b, v0, -v2
	v_rndne_f32_e32 v25, v2
	v_mul_f32_e32 v23, 0x3fb8aa3b, v19
	v_fma_f32 v26, 0x3fb8aa3b, v14, -v3
	v_rndne_f32_e32 v27, v3
	v_rndne_f32_e32 v41, v20
	v_fmac_f32_e32 v24, 0x32a5705f, v0
	v_sub_f32_e32 v2, v2, v25
	v_dual_mul_f32 v21, 0x3fb8aa3b, v17 :: v_dual_mul_f32 v22, 0x3fb8aa3b, v18
	v_fma_f32 v28, 0x3fb8aa3b, v1, -v12
	v_rndne_f32_e32 v29, v12
	v_fma_f32 v30, 0x3fb8aa3b, v15, -v13
	v_rndne_f32_e32 v31, v13
	v_fma_f32 v40, 0x3fb8aa3b, v16, -v20
	v_dual_fmac_f32 v26, 0x32a5705f, v14 :: v_dual_sub_f32 v3, v3, v27
	v_dual_sub_f32 v20, v20, v41 :: v_dual_add_f32 v2, v2, v24
	v_fma_f32 v42, 0x3fb8aa3b, v17, -v21
	v_rndne_f32_e32 v43, v21
	v_rndne_f32_e32 v45, v22
	v_fma_f32 v46, 0x3fb8aa3b, v19, -v23
	v_rndne_f32_e32 v47, v23
	s_delay_alu instid0(VALU_DEP_4)
	v_dual_fmac_f32 v28, 0x32a5705f, v1 :: v_dual_sub_f32 v21, v21, v43
	v_dual_sub_f32 v12, v12, v29 :: v_dual_sub_f32 v13, v13, v31
	v_dual_fmac_f32 v30, 0x32a5705f, v15 :: v_dual_add_f32 v3, v3, v26
	v_exp_f32_e32 v2, v2
	v_cvt_i32_f32_e32 v25, v25
	v_fma_f32 v44, 0x3fb8aa3b, v18, -v22
	v_fmac_f32_e32 v46, 0x32a5705f, v19
	v_dual_sub_f32 v23, v23, v47 :: v_dual_fmac_f32 v42, 0x32a5705f, v17
	v_dual_sub_f32 v22, v22, v45 :: v_dual_add_f32 v12, v12, v28
	v_exp_f32_e32 v3, v3
	v_cvt_i32_f32_e32 v27, v27
	v_dual_fmac_f32 v40, 0x32a5705f, v16 :: v_dual_add_f32 v13, v13, v30
	v_ldexp_f32 v2, v2, v25
	v_cmp_ngt_f32_e32 vcc_lo, 0xc2ce8ed0, v0
	v_add_f32_e32 v23, v23, v46
	v_add_f32_e32 v21, v21, v42
	v_exp_f32_e32 v12, v12
	v_cvt_i32_f32_e32 v29, v29
	v_dual_add_f32 v20, v20, v40 :: v_dual_cndmask_b32 v2, 0, v2, vcc_lo
	v_ldexp_f32 v3, v3, v27
	v_cmp_ngt_f32_e32 vcc_lo, 0xc2ce8ed0, v14
	v_exp_f32_e32 v13, v13
	v_exp_f32_e32 v21, v21
	v_cvt_i32_f32_e32 v31, v31
	v_cvt_i32_f32_e32 v43, v43
	v_dual_fmac_f32 v44, 0x32a5705f, v18 :: v_dual_cndmask_b32 v3, 0, v3
	v_ldexp_f32 v12, v12, v29
	v_cmp_ngt_f32_e32 vcc_lo, 0xc2ce8ed0, v1
	v_exp_f32_e32 v20, v20
	v_ldexp_f32 v13, v13, v31
	v_ldexp_f32 v21, v21, v43
	v_cvt_i32_f32_e32 v41, v41
	v_cndmask_b32_e32 v12, 0, v12, vcc_lo
	v_cmp_ngt_f32_e32 vcc_lo, 0xc2ce8ed0, v15
	v_add_f32_e32 v22, v22, v44
	v_cvt_i32_f32_e32 v45, v45
	v_ldexp_f32 v20, v20, v41
	v_exp_f32_e32 v23, v23
	v_cndmask_b32_e32 v13, 0, v13, vcc_lo
	v_exp_f32_e32 v22, v22
	v_cmp_ngt_f32_e32 vcc_lo, 0xc2ce8ed0, v16
	v_cvt_i32_f32_e32 v47, v47
	s_delay_alu instid0(TRANS32_DEP_1) | instskip(SKIP_2) | instid1(VALU_DEP_4)
	v_ldexp_f32 v22, v22, v45
	v_cndmask_b32_e32 v20, 0, v20, vcc_lo
	v_cmp_ngt_f32_e32 vcc_lo, 0xc2ce8ed0, v17
	v_ldexp_f32 v23, v23, v47
	v_cndmask_b32_e32 v21, 0, v21, vcc_lo
	v_cmp_ngt_f32_e32 vcc_lo, 0xc2ce8ed0, v18
	v_cndmask_b32_e32 v22, 0, v22, vcc_lo
	v_cmp_ngt_f32_e32 vcc_lo, 0xc2ce8ed0, v19
	v_cndmask_b32_e32 v23, 0, v23, vcc_lo
	v_cmp_nlt_f32_e32 vcc_lo, 0x42b17218, v0
	v_cndmask_b32_e32 v0, 0x7f800000, v2, vcc_lo
	v_cmp_nlt_f32_e32 vcc_lo, 0x42b17218, v14
	;; [unrolled: 2-line block ×5, first 2 shown]
	v_cvt_f16_f32_e32 v16, v0
	s_delay_alu instid0(VALU_DEP_3)
	v_pk_fma_f32 v[6:7], v[6:7], v[0:1], v[2:3]
	v_cndmask_b32_e32 v12, 0x7f800000, v20, vcc_lo
	v_cmp_nlt_f32_e32 vcc_lo, 0x42b17218, v17
	v_cvt_f16_f32_e32 v17, v1
	v_and_b32_e32 v16, 0xffff, v16
	v_cndmask_b32_e32 v14, 0x7f800000, v21, vcc_lo
	v_cmp_nlt_f32_e32 vcc_lo, 0x42b17218, v18
	v_cvt_f16_f32_e32 v18, v12
	v_and_b32_e32 v0, 0xffff, v17
	v_mul_u32_u24_e32 v3, 0x10001, v16
	v_cndmask_b32_e32 v13, 0x7f800000, v22, vcc_lo
	v_cmp_nlt_f32_e32 vcc_lo, 0x42b17218, v19
	v_and_b32_e32 v1, 0xffff, v18
	v_mul_u32_u24_e32 v0, 0x10001, v0
	v_pk_mul_f16 v38, v38, v3
	v_cvt_f16_f32_e32 v19, v13
	v_cndmask_b32_e32 v15, 0x7f800000, v23, vcc_lo
	v_mul_u32_u24_e32 v1, 0x10001, v1
	v_pk_mul_f16 v39, v39, v3
	v_pk_mul_f16 v36, v36, v0
	v_and_b32_e32 v2, 0xffff, v19
	v_pk_mul_f16 v37, v37, v0
	v_pk_mul_f16 v34, v34, v1
	;; [unrolled: 1-line block ×3, first 2 shown]
	v_pk_fma_f32 v[4:5], v[4:5], v[12:13], v[14:15]
	v_mul_u32_u24_e32 v2, 0x10001, v2
	s_delay_alu instid0(VALU_DEP_1)
	v_pk_mul_f16 v33, v33, v2
	v_pk_mul_f16 v32, v32, v2
	v_mov_b64_e32 v[0:1], v[8:9]
	v_mov_b64_e32 v[2:3], v[10:11]
.LBB81_78:
	s_mov_b32 s3, exec_lo
	v_cmpx_gt_i32_e64 s22, v99
	s_cbranch_execz .LBB81_97
; %bb.79:
	s_load_b32 s0, s[0:1], 0xd4
	v_mov_b32_e32 v8, 1.0
	s_wait_kmcnt 0x0
	s_cmp_lg_u32 s0, 1
	s_cselect_b32 s3, -1, 0
	s_cmp_eq_u32 s0, 1
	s_cselect_b32 s4, -1, 0
	s_and_b32 vcc_lo, exec_lo, s3
	s_cbranch_vccnz .LBB81_81
; %bb.80:
	v_div_scale_f32 v8, null, v6, v6, 1.0
	s_delay_alu instid0(VALU_DEP_1) | instskip(SKIP_1) | instid1(TRANS32_DEP_1)
	v_rcp_f32_e32 v9, v8
	v_nop
	v_fma_f32 v10, -v8, v9, 1.0
	s_delay_alu instid0(VALU_DEP_1) | instskip(SKIP_1) | instid1(VALU_DEP_1)
	v_fmac_f32_e32 v9, v10, v9
	v_div_scale_f32 v10, vcc_lo, 1.0, v6, 1.0
	v_mul_f32_e32 v11, v10, v9
	s_delay_alu instid0(VALU_DEP_1) | instskip(NEXT) | instid1(VALU_DEP_1)
	v_fma_f32 v12, -v8, v11, v10
	v_fmac_f32_e32 v11, v12, v9
	s_delay_alu instid0(VALU_DEP_1) | instskip(NEXT) | instid1(VALU_DEP_1)
	v_fma_f32 v8, -v8, v11, v10
	v_div_fmas_f32 v8, v8, v9, v11
	s_delay_alu instid0(VALU_DEP_1)
	v_div_fixup_f32 v8, v8, v6, 1.0
.LBB81_81:
	s_mul_i32 s1, s28, s22
	v_lshrrev_b32_e32 v17, 16, v39
	s_add_co_i32 s1, s1, s33
	v_cvt_f32_f16_e32 v12, v38
	v_dual_add_nc_u32 v9, s1, v97 :: v_dual_lshrrev_b32 v11, 16, v38
	v_cvt_f32_f16_e32 v16, v39
	v_cvt_f32_f16_e32 v17, v17
	v_cmp_eq_u32_e32 vcc_lo, 0, v98
	s_delay_alu instid0(VALU_DEP_4) | instskip(SKIP_3) | instid1(VALU_DEP_3)
	v_mul_lo_u32 v9, v9, s23
	v_cvt_f32_f16_e32 v13, v11
	v_mov_b32_e32 v15, 0
	s_and_b32 s3, vcc_lo, s3
	v_add_nc_u32_e32 v10, s2, v9
	s_delay_alu instid0(VALU_DEP_3) | instskip(NEXT) | instid1(VALU_DEP_2)
	v_pk_mul_f32 v[12:13], v[8:9], v[12:13] op_sel_hi:[0,1]
	v_mad_u32 v10, s0, v10, s31
	s_delay_alu instid0(VALU_DEP_1) | instskip(NEXT) | instid1(VALU_DEP_1)
	v_lshl_add_u32 v14, v10, 7, v96
	v_lshl_add_u64 v[18:19], v[14:15], 2, s[16:17]
	v_pk_mul_f32 v[14:15], v[8:9], v[16:17] op_sel_hi:[0,1]
	global_store_b128 v[18:19], v[12:15], off
	s_wait_xcnt 0x0
	s_and_saveexec_b32 s5, s3
	s_cbranch_execz .LBB81_83
; %bb.82:
	v_dual_mov_b32 v12, v0 :: v_dual_mov_b32 v13, v6
	global_store_b64 v10, v[12:13], s[18:19] scale_offset
.LBB81_83:
	s_wait_xcnt 0x0
	s_or_b32 exec_lo, exec_lo, s5
	v_cndmask_b32_e64 v8, 0, 1, s4
	v_mov_b32_e32 v0, 1.0
	s_and_not1_b32 vcc_lo, exec_lo, s4
	s_cbranch_vccnz .LBB81_85
; %bb.84:
	v_div_scale_f32 v0, null, v7, v7, 1.0
	s_delay_alu instid0(VALU_DEP_1) | instskip(SKIP_1) | instid1(TRANS32_DEP_1)
	v_rcp_f32_e32 v6, v0
	v_nop
	v_fma_f32 v10, -v0, v6, 1.0
	s_delay_alu instid0(VALU_DEP_1) | instskip(SKIP_1) | instid1(VALU_DEP_1)
	v_fmac_f32_e32 v6, v10, v6
	v_div_scale_f32 v10, vcc_lo, 1.0, v7, 1.0
	v_mul_f32_e32 v11, v10, v6
	s_delay_alu instid0(VALU_DEP_1) | instskip(NEXT) | instid1(VALU_DEP_1)
	v_fma_f32 v12, -v0, v11, v10
	v_fmac_f32_e32 v11, v12, v6
	s_delay_alu instid0(VALU_DEP_1) | instskip(NEXT) | instid1(VALU_DEP_1)
	v_fma_f32 v0, -v0, v11, v10
	v_div_fmas_f32 v0, v0, v6, v11
	s_delay_alu instid0(VALU_DEP_1)
	v_div_fixup_f32 v0, v0, v7, 1.0
.LBB81_85:
	s_add_co_i32 s4, s2, 1
	v_cvt_f32_f16_e32 v10, v36
	v_dual_mov_b32 v13, 0 :: v_dual_add_nc_u32 v6, s4, v9
	v_cvt_f32_f16_e32 v14, v37
	v_lshrrev_b32_e32 v15, 16, v37
	s_delay_alu instid0(VALU_DEP_3) | instskip(SKIP_1) | instid1(VALU_DEP_3)
	v_mad_u32 v9, s0, v6, s31
	v_lshrrev_b32_e32 v6, 16, v36
	v_cvt_f32_f16_e32 v15, v15
	s_delay_alu instid0(VALU_DEP_2) | instskip(NEXT) | instid1(VALU_DEP_1)
	v_cvt_f32_f16_e32 v11, v6
	v_pk_mul_f32 v[10:11], v[0:1], v[10:11] op_sel_hi:[0,1]
	v_lshl_add_u32 v12, v9, 7, v96
	s_delay_alu instid0(VALU_DEP_1)
	v_lshl_add_u64 v[16:17], v[12:13], 2, s[16:17]
	v_pk_mul_f32 v[12:13], v[0:1], v[14:15] op_sel_hi:[0,1]
	global_store_b128 v[16:17], v[10:13], off
	s_wait_xcnt 0x0
	s_and_saveexec_b32 s5, s3
	s_cbranch_execz .LBB81_87
; %bb.86:
	v_mov_b32_e32 v6, v1
	global_store_b64 v9, v[6:7], s[18:19] scale_offset
.LBB81_87:
	s_wait_xcnt 0x0
	s_or_b32 exec_lo, exec_lo, s5
	v_cmp_gt_i32_e32 vcc_lo, s22, v95
	s_and_b32 exec_lo, exec_lo, vcc_lo
	s_cbranch_execz .LBB81_97
; %bb.88:
	v_cmp_ne_u32_e32 vcc_lo, 1, v8
	v_mov_b32_e32 v0, 1.0
	s_cbranch_vccnz .LBB81_90
; %bb.89:
	v_div_scale_f32 v0, null, v4, v4, 1.0
	s_delay_alu instid0(VALU_DEP_1) | instskip(SKIP_1) | instid1(TRANS32_DEP_1)
	v_rcp_f32_e32 v1, v0
	v_nop
	v_fma_f32 v6, -v0, v1, 1.0
	s_delay_alu instid0(VALU_DEP_1) | instskip(SKIP_1) | instid1(VALU_DEP_1)
	v_fmac_f32_e32 v1, v6, v1
	v_div_scale_f32 v6, vcc_lo, 1.0, v4, 1.0
	v_mul_f32_e32 v7, v6, v1
	s_delay_alu instid0(VALU_DEP_1) | instskip(NEXT) | instid1(VALU_DEP_1)
	v_fma_f32 v9, -v0, v7, v6
	v_fmac_f32_e32 v7, v9, v1
	s_delay_alu instid0(VALU_DEP_1) | instskip(NEXT) | instid1(VALU_DEP_1)
	v_fma_f32 v0, -v0, v7, v6
	v_div_fmas_f32 v0, v0, v1, v7
	s_delay_alu instid0(VALU_DEP_1)
	v_div_fixup_f32 v0, v0, v4, 1.0
.LBB81_90:
	v_dual_add_nc_u32 v1, s1, v94 :: v_dual_mov_b32 v7, 0
	v_dual_lshrrev_b32 v6, 16, v34 :: v_dual_lshrrev_b32 v9, 16, v35
	v_cvt_f32_f16_e32 v10, v34
	s_delay_alu instid0(VALU_DEP_3) | instskip(SKIP_1) | instid1(VALU_DEP_4)
	v_mad_u32 v1, v1, s23, s2
	v_cvt_f32_f16_e32 v12, v35
	v_cvt_f32_f16_e32 v11, v6
	;; [unrolled: 1-line block ×3, first 2 shown]
	s_delay_alu instid0(VALU_DEP_4) | instskip(NEXT) | instid1(VALU_DEP_1)
	v_mad_u32 v1, s0, v1, s31
	v_lshl_add_u32 v6, v1, 7, v96
	s_delay_alu instid0(VALU_DEP_4) | instskip(NEXT) | instid1(VALU_DEP_4)
	v_pk_mul_f32 v[10:11], v[0:1], v[10:11] op_sel_hi:[0,1]
	v_pk_mul_f32 v[12:13], v[0:1], v[12:13] op_sel_hi:[0,1]
	s_delay_alu instid0(VALU_DEP_3)
	v_lshl_add_u64 v[6:7], v[6:7], 2, s[16:17]
	global_store_b128 v[6:7], v[10:13], off
	s_wait_xcnt 0x0
	s_and_saveexec_b32 s2, s3
	s_cbranch_execz .LBB81_92
; %bb.91:
	v_dual_mov_b32 v6, v2 :: v_dual_mov_b32 v7, v4
	global_store_b64 v1, v[6:7], s[18:19] scale_offset
.LBB81_92:
	s_wait_xcnt 0x0
	s_or_b32 exec_lo, exec_lo, s2
	v_cmp_gt_i32_e32 vcc_lo, s22, v93
	s_and_b32 exec_lo, exec_lo, vcc_lo
	s_cbranch_execz .LBB81_97
; %bb.93:
	v_cmp_ne_u32_e32 vcc_lo, 1, v8
	v_mov_b32_e32 v0, 1.0
	s_cbranch_vccnz .LBB81_95
; %bb.94:
	v_div_scale_f32 v0, null, v5, v5, 1.0
	s_delay_alu instid0(VALU_DEP_1) | instskip(SKIP_1) | instid1(TRANS32_DEP_1)
	v_rcp_f32_e32 v1, v0
	v_nop
	v_fma_f32 v2, -v0, v1, 1.0
	s_delay_alu instid0(VALU_DEP_1) | instskip(SKIP_1) | instid1(VALU_DEP_1)
	v_fmac_f32_e32 v1, v2, v1
	v_div_scale_f32 v2, vcc_lo, 1.0, v5, 1.0
	v_mul_f32_e32 v4, v2, v1
	s_delay_alu instid0(VALU_DEP_1) | instskip(NEXT) | instid1(VALU_DEP_1)
	v_fma_f32 v6, -v0, v4, v2
	v_fmac_f32_e32 v4, v6, v1
	s_delay_alu instid0(VALU_DEP_1) | instskip(NEXT) | instid1(VALU_DEP_1)
	v_fma_f32 v0, -v0, v4, v2
	v_div_fmas_f32 v0, v0, v1, v4
	s_delay_alu instid0(VALU_DEP_1)
	v_div_fixup_f32 v0, v0, v5, 1.0
.LBB81_95:
	v_dual_add_nc_u32 v1, s1, v92 :: v_dual_lshrrev_b32 v2, 16, v33
	v_dual_mov_b32 v9, 0 :: v_dual_lshrrev_b32 v4, 16, v32
	v_cvt_f32_f16_e32 v6, v33
	s_delay_alu instid0(VALU_DEP_3) | instskip(SKIP_3) | instid1(VALU_DEP_4)
	v_mad_u32 v1, v1, s23, s4
	v_cvt_f32_f16_e32 v10, v32
	v_cvt_f32_f16_e32 v7, v2
	;; [unrolled: 1-line block ×3, first 2 shown]
	v_mad_u32 v1, s0, v1, s31
	s_delay_alu instid0(VALU_DEP_1) | instskip(NEXT) | instid1(VALU_DEP_4)
	v_lshl_add_u32 v8, v1, 7, v96
	v_pk_mul_f32 v[6:7], v[0:1], v[6:7] op_sel_hi:[0,1]
	s_delay_alu instid0(VALU_DEP_2)
	v_lshl_add_u64 v[12:13], v[8:9], 2, s[16:17]
	v_pk_mul_f32 v[8:9], v[0:1], v[10:11] op_sel_hi:[0,1]
	global_store_b128 v[12:13], v[6:9], off
	s_wait_xcnt 0x0
	s_and_b32 exec_lo, exec_lo, s3
	s_cbranch_execz .LBB81_97
; %bb.96:
	v_mov_b32_e32 v4, v3
	global_store_b64 v1, v[4:5], s[18:19] scale_offset
.LBB81_97:
	s_sendmsg sendmsg(MSG_DEALLOC_VGPRS)
	s_endpgm
	.section	.rodata,"a",@progbits
	.p2align	6, 0x0
	.amdhsa_kernel _ZL15flash_attn_tileILi128ELi128ELi16ELi2ELb1EEvPKcS1_S1_S1_S1_PKiPfP15HIP_vector_typeIfLj2EEffffjfiS5_IjLj3EEiiiiiiiiiiiliiliiiiil
		.amdhsa_group_segment_fixed_size 34816
		.amdhsa_private_segment_fixed_size 0
		.amdhsa_kernarg_size 464
		.amdhsa_user_sgpr_count 2
		.amdhsa_user_sgpr_dispatch_ptr 0
		.amdhsa_user_sgpr_queue_ptr 0
		.amdhsa_user_sgpr_kernarg_segment_ptr 1
		.amdhsa_user_sgpr_dispatch_id 0
		.amdhsa_user_sgpr_kernarg_preload_length 0
		.amdhsa_user_sgpr_kernarg_preload_offset 0
		.amdhsa_user_sgpr_private_segment_size 0
		.amdhsa_wavefront_size32 1
		.amdhsa_uses_dynamic_stack 0
		.amdhsa_enable_private_segment 0
		.amdhsa_system_sgpr_workgroup_id_x 1
		.amdhsa_system_sgpr_workgroup_id_y 1
		.amdhsa_system_sgpr_workgroup_id_z 1
		.amdhsa_system_sgpr_workgroup_info 0
		.amdhsa_system_vgpr_workitem_id 1
		.amdhsa_next_free_vgpr 177
		.amdhsa_next_free_sgpr 46
		.amdhsa_named_barrier_count 0
		.amdhsa_reserve_vcc 1
		.amdhsa_float_round_mode_32 0
		.amdhsa_float_round_mode_16_64 0
		.amdhsa_float_denorm_mode_32 3
		.amdhsa_float_denorm_mode_16_64 3
		.amdhsa_fp16_overflow 0
		.amdhsa_memory_ordered 1
		.amdhsa_forward_progress 1
		.amdhsa_inst_pref_size 246
		.amdhsa_round_robin_scheduling 0
		.amdhsa_exception_fp_ieee_invalid_op 0
		.amdhsa_exception_fp_denorm_src 0
		.amdhsa_exception_fp_ieee_div_zero 0
		.amdhsa_exception_fp_ieee_overflow 0
		.amdhsa_exception_fp_ieee_underflow 0
		.amdhsa_exception_fp_ieee_inexact 0
		.amdhsa_exception_int_div_zero 0
	.end_amdhsa_kernel
	.section	.text._ZL15flash_attn_tileILi128ELi128ELi16ELi2ELb1EEvPKcS1_S1_S1_S1_PKiPfP15HIP_vector_typeIfLj2EEffffjfiS5_IjLj3EEiiiiiiiiiiiliiliiiiil,"axG",@progbits,_ZL15flash_attn_tileILi128ELi128ELi16ELi2ELb1EEvPKcS1_S1_S1_S1_PKiPfP15HIP_vector_typeIfLj2EEffffjfiS5_IjLj3EEiiiiiiiiiiiliiliiiiil,comdat
.Lfunc_end81:
	.size	_ZL15flash_attn_tileILi128ELi128ELi16ELi2ELb1EEvPKcS1_S1_S1_S1_PKiPfP15HIP_vector_typeIfLj2EEffffjfiS5_IjLj3EEiiiiiiiiiiiliiliiiiil, .Lfunc_end81-_ZL15flash_attn_tileILi128ELi128ELi16ELi2ELb1EEvPKcS1_S1_S1_S1_PKiPfP15HIP_vector_typeIfLj2EEffffjfiS5_IjLj3EEiiiiiiiiiiiliiliiiiil
                                        ; -- End function
	.set _ZL15flash_attn_tileILi128ELi128ELi16ELi2ELb1EEvPKcS1_S1_S1_S1_PKiPfP15HIP_vector_typeIfLj2EEffffjfiS5_IjLj3EEiiiiiiiiiiiliiliiiiil.num_vgpr, 177
	.set _ZL15flash_attn_tileILi128ELi128ELi16ELi2ELb1EEvPKcS1_S1_S1_S1_PKiPfP15HIP_vector_typeIfLj2EEffffjfiS5_IjLj3EEiiiiiiiiiiiliiliiiiil.num_agpr, 0
	.set _ZL15flash_attn_tileILi128ELi128ELi16ELi2ELb1EEvPKcS1_S1_S1_S1_PKiPfP15HIP_vector_typeIfLj2EEffffjfiS5_IjLj3EEiiiiiiiiiiiliiliiiiil.numbered_sgpr, 46
	.set _ZL15flash_attn_tileILi128ELi128ELi16ELi2ELb1EEvPKcS1_S1_S1_S1_PKiPfP15HIP_vector_typeIfLj2EEffffjfiS5_IjLj3EEiiiiiiiiiiiliiliiiiil.num_named_barrier, 0
	.set _ZL15flash_attn_tileILi128ELi128ELi16ELi2ELb1EEvPKcS1_S1_S1_S1_PKiPfP15HIP_vector_typeIfLj2EEffffjfiS5_IjLj3EEiiiiiiiiiiiliiliiiiil.private_seg_size, 0
	.set _ZL15flash_attn_tileILi128ELi128ELi16ELi2ELb1EEvPKcS1_S1_S1_S1_PKiPfP15HIP_vector_typeIfLj2EEffffjfiS5_IjLj3EEiiiiiiiiiiiliiliiiiil.uses_vcc, 1
	.set _ZL15flash_attn_tileILi128ELi128ELi16ELi2ELb1EEvPKcS1_S1_S1_S1_PKiPfP15HIP_vector_typeIfLj2EEffffjfiS5_IjLj3EEiiiiiiiiiiiliiliiiiil.uses_flat_scratch, 0
	.set _ZL15flash_attn_tileILi128ELi128ELi16ELi2ELb1EEvPKcS1_S1_S1_S1_PKiPfP15HIP_vector_typeIfLj2EEffffjfiS5_IjLj3EEiiiiiiiiiiiliiliiiiil.has_dyn_sized_stack, 0
	.set _ZL15flash_attn_tileILi128ELi128ELi16ELi2ELb1EEvPKcS1_S1_S1_S1_PKiPfP15HIP_vector_typeIfLj2EEffffjfiS5_IjLj3EEiiiiiiiiiiiliiliiiiil.has_recursion, 0
	.set _ZL15flash_attn_tileILi128ELi128ELi16ELi2ELb1EEvPKcS1_S1_S1_S1_PKiPfP15HIP_vector_typeIfLj2EEffffjfiS5_IjLj3EEiiiiiiiiiiiliiliiiiil.has_indirect_call, 0
	.section	.AMDGPU.csdata,"",@progbits
; Kernel info:
; codeLenInByte = 31444
; TotalNumSgprs: 48
; NumVgprs: 177
; ScratchSize: 0
; MemoryBound: 0
; FloatMode: 240
; IeeeMode: 1
; LDSByteSize: 34816 bytes/workgroup (compile time only)
; SGPRBlocks: 0
; VGPRBlocks: 11
; NumSGPRsForWavesPerEU: 48
; NumVGPRsForWavesPerEU: 177
; NamedBarCnt: 0
; Occupancy: 5
; WaveLimiterHint : 1
; COMPUTE_PGM_RSRC2:SCRATCH_EN: 0
; COMPUTE_PGM_RSRC2:USER_SGPR: 2
; COMPUTE_PGM_RSRC2:TRAP_HANDLER: 0
; COMPUTE_PGM_RSRC2:TGID_X_EN: 1
; COMPUTE_PGM_RSRC2:TGID_Y_EN: 1
; COMPUTE_PGM_RSRC2:TGID_Z_EN: 1
; COMPUTE_PGM_RSRC2:TIDIG_COMP_CNT: 1
	.section	.text._ZL15flash_attn_tileILi128ELi128ELi8ELi2ELb1EEvPKcS1_S1_S1_S1_PKiPfP15HIP_vector_typeIfLj2EEffffjfiS5_IjLj3EEiiiiiiiiiiiliiliiiiil,"axG",@progbits,_ZL15flash_attn_tileILi128ELi128ELi8ELi2ELb1EEvPKcS1_S1_S1_S1_PKiPfP15HIP_vector_typeIfLj2EEffffjfiS5_IjLj3EEiiiiiiiiiiiliiliiiiil,comdat
	.globl	_ZL15flash_attn_tileILi128ELi128ELi8ELi2ELb1EEvPKcS1_S1_S1_S1_PKiPfP15HIP_vector_typeIfLj2EEffffjfiS5_IjLj3EEiiiiiiiiiiiliiliiiiil ; -- Begin function _ZL15flash_attn_tileILi128ELi128ELi8ELi2ELb1EEvPKcS1_S1_S1_S1_PKiPfP15HIP_vector_typeIfLj2EEffffjfiS5_IjLj3EEiiiiiiiiiiiliiliiiiil
	.p2align	8
	.type	_ZL15flash_attn_tileILi128ELi128ELi8ELi2ELb1EEvPKcS1_S1_S1_S1_PKiPfP15HIP_vector_typeIfLj2EEffffjfiS5_IjLj3EEiiiiiiiiiiiliiliiiiil,@function
_ZL15flash_attn_tileILi128ELi128ELi8ELi2ELb1EEvPKcS1_S1_S1_S1_PKiPfP15HIP_vector_typeIfLj2EEffffjfiS5_IjLj3EEiiiiiiiiiiiliiliiiiil: ; @_ZL15flash_attn_tileILi128ELi128ELi8ELi2ELb1EEvPKcS1_S1_S1_S1_PKiPfP15HIP_vector_typeIfLj2EEffffjfiS5_IjLj3EEiiiiiiiiiiiliiliiiiil
; %bb.0:
	s_clause 0x1
	s_load_b128 s[20:23], s[0:1], 0x5c
	s_load_b64 s[30:31], s[0:1], 0x80
	s_bfe_u32 s5, ttmp6, 0x40014
	s_lshr_b32 s4, ttmp7, 16
	s_add_co_i32 s5, s5, 1
	s_bfe_u32 s6, ttmp6, 0x40008
	s_mul_i32 s5, s4, s5
	s_getreg_b32 s24, hwreg(HW_REG_IB_STS2, 6, 4)
	s_add_co_i32 s6, s6, s5
	s_load_b64 s[38:39], s[0:1], 0xb8
	s_mov_b32 s37, 0
	s_mov_b64 s[34:35], 0
	s_wait_kmcnt 0x0
	s_lshr_b32 s2, s23, 31
	s_delay_alu instid0(SALU_CYCLE_1) | instskip(NEXT) | instid1(SALU_CYCLE_1)
	s_add_co_i32 s2, s23, s2
	s_ashr_i32 s2, s2, 1
	s_delay_alu instid0(SALU_CYCLE_1) | instskip(SKIP_1) | instid1(SALU_CYCLE_2)
	s_cvt_f32_u32 s3, s2
	s_sub_co_i32 s7, 0, s2
	v_rcp_iflag_f32_e32 v1, s3
	v_nop
	s_delay_alu instid0(TRANS32_DEP_1) | instskip(SKIP_1) | instid1(SALU_CYCLE_3)
	v_readfirstlane_b32 s3, v1
	s_mul_f32 s3, s3, 0x4f7ffffe
	s_cvt_u32_f32 s3, s3
	s_delay_alu instid0(SALU_CYCLE_3) | instskip(NEXT) | instid1(SALU_CYCLE_1)
	s_mul_i32 s7, s7, s3
	s_mul_hi_u32 s7, s3, s7
	s_delay_alu instid0(SALU_CYCLE_1) | instskip(SKIP_2) | instid1(SALU_CYCLE_1)
	s_add_co_i32 s3, s3, s7
	s_cmp_eq_u32 s24, 0
	s_cselect_b32 s4, s4, s6
	s_mul_hi_u32 s3, s4, s3
	s_delay_alu instid0(SALU_CYCLE_1) | instskip(SKIP_2) | instid1(SALU_CYCLE_1)
	s_mul_i32 s5, s3, s2
	s_add_co_i32 s6, s3, 1
	s_sub_co_i32 s5, s4, s5
	s_sub_co_i32 s7, s5, s2
	s_cmp_ge_u32 s5, s2
	s_cselect_b32 s3, s6, s3
	s_cselect_b32 s5, s7, s5
	s_add_co_i32 s6, s3, 1
	s_cmp_ge_u32 s5, s2
	s_cselect_b32 s2, s6, s3
	s_abs_i32 s3, s31
	s_lshl_b32 s4, s4, 1
	s_cvt_f32_u32 s5, s3
	s_sub_co_i32 s6, 0, s3
	s_mul_i32 s7, s2, s23
	s_abs_i32 s8, s23
	v_rcp_iflag_f32_e32 v1, s5
	s_sub_co_i32 s28, s4, s7
	v_nop
	s_delay_alu instid0(TRANS32_DEP_1) | instskip(SKIP_1) | instid1(SALU_CYCLE_3)
	v_readfirstlane_b32 s5, v1
	s_mul_f32 s5, s5, 0x4f7ffffe
	s_cvt_u32_f32 s5, s5
	s_delay_alu instid0(SALU_CYCLE_3) | instskip(NEXT) | instid1(SALU_CYCLE_1)
	s_mul_i32 s6, s6, s5
	s_mul_hi_u32 s6, s5, s6
	s_delay_alu instid0(SALU_CYCLE_1) | instskip(NEXT) | instid1(SALU_CYCLE_1)
	s_add_co_i32 s5, s5, s6
	s_mul_hi_u32 s4, s8, s5
	s_xor_b32 s5, s23, s31
	s_mul_i32 s6, s4, s3
	s_ashr_i32 s25, s5, 31
	s_sub_co_i32 s5, s8, s6
	s_add_co_i32 s6, s4, 1
	s_sub_co_i32 s7, s5, s3
	s_cmp_ge_u32 s5, s3
	s_cselect_b32 s4, s6, s4
	s_cselect_b32 s5, s7, s5
	s_add_co_i32 s6, s4, 1
	s_cmp_ge_u32 s5, s3
	s_cselect_b32 s3, s6, s4
	s_load_b512 s[4:19], s[0:1], 0x0
	s_xor_b32 s3, s3, s25
	s_delay_alu instid0(SALU_CYCLE_1) | instskip(NEXT) | instid1(SALU_CYCLE_1)
	s_sub_co_i32 s3, s3, s25
	s_abs_i32 s33, s3
	s_delay_alu instid0(SALU_CYCLE_1) | instskip(NEXT) | instid1(SALU_CYCLE_3)
	s_cvt_f32_u32 s25, s33
	v_rcp_iflag_f32_e32 v1, s25
	v_nop
	s_delay_alu instid0(TRANS32_DEP_1)
	v_readfirstlane_b32 s25, v1
	s_wait_kmcnt 0x0
	s_cmp_eq_u64 s[10:11], 0
	s_cbranch_scc1 .LBB82_2
; %bb.1:
	s_abs_i32 s29, s38
	s_abs_i32 s31, s2
	s_cvt_f32_u32 s26, s29
	s_sub_co_i32 s27, 0, s29
	s_delay_alu instid0(SALU_CYCLE_2) | instskip(SKIP_1) | instid1(TRANS32_DEP_1)
	v_rcp_iflag_f32_e32 v1, s26
	v_nop
	v_readfirstlane_b32 s26, v1
	s_mul_f32 s26, s26, 0x4f7ffffe
	s_delay_alu instid0(SALU_CYCLE_3) | instskip(NEXT) | instid1(SALU_CYCLE_3)
	s_cvt_u32_f32 s26, s26
	s_mul_i32 s27, s27, s26
	s_delay_alu instid0(SALU_CYCLE_1) | instskip(NEXT) | instid1(SALU_CYCLE_1)
	s_mul_hi_u32 s27, s26, s27
	s_add_co_i32 s26, s26, s27
	s_delay_alu instid0(SALU_CYCLE_1) | instskip(SKIP_2) | instid1(SALU_CYCLE_1)
	s_mul_hi_u32 s34, s31, s26
	s_load_b64 s[26:27], s[0:1], 0xc8
	s_mul_i32 s34, s34, s29
	s_sub_co_i32 s31, s31, s34
	s_ashr_i32 s34, s2, 31
	s_sub_co_i32 s35, s31, s29
	s_cmp_ge_u32 s31, s29
	s_cselect_b32 s31, s35, s31
	s_delay_alu instid0(SALU_CYCLE_1) | instskip(SKIP_2) | instid1(SALU_CYCLE_1)
	s_sub_co_i32 s35, s31, s29
	s_cmp_ge_u32 s31, s29
	s_cselect_b32 s29, s35, s31
	s_xor_b32 s29, s29, s34
	s_delay_alu instid0(SALU_CYCLE_1) | instskip(NEXT) | instid1(SALU_CYCLE_1)
	s_sub_co_i32 s34, s29, s34
	s_ashr_i32 s35, s34, 31
	s_wait_kmcnt 0x0
	s_mul_u64 s[26:27], s[26:27], s[34:35]
	s_delay_alu instid0(SALU_CYCLE_1)
	s_add_nc_u64 s[34:35], s[10:11], s[26:27]
.LBB82_2:
	s_bfe_u32 s10, ttmp6, 0x4000c
	s_and_b32 s11, ttmp6, 15
	s_add_co_i32 s10, s10, 1
	v_bfe_u32 v1, v0, 10, 10
	s_mul_i32 s10, ttmp9, s10
	s_load_b96 s[40:42], s[0:1], 0x70
	s_add_co_i32 s11, s11, s10
	s_cmp_eq_u32 s24, 0
	v_and_b32_e32 v120, 0x3ff, v0
	s_cselect_b32 s10, ttmp9, s11
	v_lshlrev_b32_e32 v0, 9, v1
	v_lshl_add_u32 v121, s10, 3, v1
	s_delay_alu instid0(VALU_DEP_3) | instskip(SKIP_1) | instid1(VALU_DEP_4)
	v_dual_mov_b32 v3, 0 :: v_dual_lshlrev_b32 v123, 3, v120
	v_lshlrev_b32_e32 v6, 4, v120
	v_add_nc_u32_e32 v124, 0x9800, v0
	s_delay_alu instid0(VALU_DEP_4) | instskip(NEXT) | instid1(VALU_DEP_4)
	v_mul_hi_u32 v2, s20, v121
	v_mov_b32_e32 v7, v3
	s_wait_kmcnt 0x0
	s_mul_i32 s20, s28, s41
	s_ashr_i32 s27, s41, 31
	s_delay_alu instid0(VALU_DEP_2) | instskip(SKIP_2) | instid1(SALU_CYCLE_1)
	v_add_nc_u32_e32 v2, v121, v2
	s_mov_b32 s26, s41
	s_ashr_i32 s41, s40, 31
	s_lshr_b64 s[40:41], s[40:41], 2
	s_delay_alu instid0(VALU_DEP_1) | instskip(SKIP_1) | instid1(VALU_DEP_1)
	v_lshrrev_b32_e32 v2, s21, v2
	s_ashr_i32 s21, s20, 31
	v_mul_lo_u32 v2, v2, s22
	s_delay_alu instid0(VALU_DEP_1) | instskip(NEXT) | instid1(VALU_DEP_1)
	v_sub_nc_u32_e32 v2, v121, v2
	v_mul_u64_e32 v[4:5], s[40:41], v[2:3]
	s_mul_i32 s40, s2, s42
	s_delay_alu instid0(SALU_CYCLE_1) | instskip(NEXT) | instid1(SALU_CYCLE_1)
	s_ashr_i32 s41, s40, 31
	s_add_nc_u64 s[4:5], s[4:5], s[40:41]
	s_delay_alu instid0(SALU_CYCLE_1)
	s_add_nc_u64 s[4:5], s[4:5], s[20:21]
	s_delay_alu instid0(VALU_DEP_1) | instid1(SALU_CYCLE_1)
	v_lshl_add_u64 v[4:5], v[4:5], 2, s[4:5]
	s_and_b64 s[4:5], s[26:27], -4
	s_cmp_eq_u64 s[14:15], 0
	s_delay_alu instid0(VALU_DEP_1) | instskip(NEXT) | instid1(VALU_DEP_1)
	v_add_nc_u64_e32 v[12:13], v[4:5], v[6:7]
	v_add_nc_u64_e32 v[14:15], s[4:5], v[12:13]
	s_load_b32 s4, s[0:1], 0x40
	s_clause 0x1
	global_load_b128 v[4:7], v[12:13], off
	global_load_b128 v[8:11], v[14:15], off
	s_wait_loadcnt 0x1
	s_wait_kmcnt 0x0
	v_fma_mixlo_f16 v3, s4, v5, 0
	v_fma_mixlo_f16 v4, s4, v4, 0
	;; [unrolled: 1-line block ×4, first 2 shown]
	s_wait_loadcnt 0x0
	v_fma_mixlo_f16 v7, s4, v9, 0
	v_fma_mixlo_f16 v8, s4, v8, 0
	v_lshlrev_b32_e32 v3, 16, v3
	v_and_b32_e32 v4, 0xffff, v4
	v_lshlrev_b32_e32 v6, 16, v6
	v_fma_mixlo_f16 v9, s4, v10, 0
	v_fma_mixlo_f16 v10, s4, v11, 0
	s_delay_alu instid0(VALU_DEP_4) | instskip(SKIP_2) | instid1(VALU_DEP_4)
	v_dual_lshlrev_b32 v7, 16, v7 :: v_dual_bitop2_b32 v3, v3, v4 bitop3:0x54
	v_and_b32_e32 v8, 0xffff, v8
	v_and_b32_e32 v5, 0xffff, v5
	v_lshlrev_b32_e32 v10, 16, v10
	v_and_b32_e32 v9, 0xffff, v9
	s_delay_alu instid0(VALU_DEP_4) | instskip(NEXT) | instid1(VALU_DEP_4)
	v_dual_add_nc_u32 v11, v124, v123 :: v_dual_bitop2_b32 v8, v7, v8 bitop3:0x54
	v_or3_b32 v5, v6, v5, 0
	v_or3_b32 v4, 0, 0, v3
	s_delay_alu instid0(VALU_DEP_4) | instskip(NEXT) | instid1(VALU_DEP_4)
	v_or3_b32 v7, v10, v9, 0
	v_or3_b32 v6, 0, 0, v8
	ds_store_2addr_b64 v11, v[4:5], v[6:7] offset1:32
	s_wait_dscnt 0x0
	s_barrier_signal -1
	s_barrier_wait -1
	s_cbranch_scc1 .LBB82_4
; %bb.3:
	s_load_b32 s4, s[0:1], 0xd0
	s_wait_kmcnt 0x0
	s_mul_i32 s4, s4, s2
	s_delay_alu instid0(SALU_CYCLE_1)
	s_add_co_i32 s4, s4, s10
	s_load_b32 s30, s[14:15], s4 offset:0x0 scale_offset
.LBB82_4:
	s_wait_xcnt 0x0
	s_bfe_u32 s4, ttmp6, 0x40010
	s_and_b32 s5, ttmp7, 0xffff
	s_add_co_i32 s4, s4, 1
	s_bfe_u32 s10, ttmp6, 0x40004
	s_mul_i32 s4, s5, s4
	v_mbcnt_lo_u32_b32 v125, -1, 0
	s_add_co_i32 s10, s10, s4
	s_cmp_eq_u32 s24, 0
	s_cselect_b32 s31, s5, s10
	s_mov_b32 s5, 0
	s_lshl_b32 s4, s31, 7
	s_wait_kmcnt 0x0
	s_cmp_lt_i32 s4, s30
	s_cbranch_scc1 .LBB82_7
; %bb.5:
	v_mbcnt_lo_u32_b32 v3, -1, 0
	s_delay_alu instid0(VALU_DEP_1)
	v_dual_mov_b32 v126, 32 :: v_dual_bitop2_b32 v152, 16, v3 bitop3:0x14
	v_xor_b32_e32 v148, 8, v3
	v_xor_b32_e32 v149, 4, v3
	;; [unrolled: 1-line block ×3, first 2 shown]
	v_dual_lshlrev_b32 v122, 2, v120 :: v_dual_bitop2_b32 v151, 1, v3 bitop3:0x14
	s_and_not1_b32 vcc_lo, exec_lo, s5
	s_cbranch_vccz .LBB82_8
; %bb.6:
	v_dual_mov_b32 v93, 0 :: v_dual_mov_b32 v147, 0
	v_dual_mov_b32 v113, 0xfeffffff :: v_dual_mov_b32 v146, 0
	s_delay_alu instid0(VALU_DEP_2) | instskip(NEXT) | instid1(VALU_DEP_2)
	v_dual_mov_b32 v32, 0 :: v_dual_mov_b32 v92, v93
	v_dual_mov_b32 v33, 0 :: v_dual_mov_b32 v112, v113
	s_branch .LBB82_44
.LBB82_7:
                                        ; implicit-def: $vgpr3
                                        ; implicit-def: $vgpr126
                                        ; implicit-def: $vgpr152
                                        ; implicit-def: $vgpr148
                                        ; implicit-def: $vgpr149
                                        ; implicit-def: $vgpr150
                                        ; implicit-def: $vgpr151
	v_lshlrev_b32_e32 v122, 2, v120
.LBB82_8:
	s_mul_f32 s5, s25, 0x4f7ffffe
	s_clause 0x1
	s_load_b128 s[24:27], s[0:1], 0x98
	s_load_b64 s[14:15], s[0:1], 0x8c
	s_sub_co_i32 s10, 0, s33
	s_clause 0x1
	s_load_b64 s[20:21], s[0:1], 0xa8
	s_load_b32 s29, s[0:1], 0x54
	s_cvt_u32_f32 s5, s5
	v_dual_lshrrev_b32 v3, 4, v120 :: v_dual_bitop2_b32 v4, 60, v122 bitop3:0x40
	s_ashr_i32 s40, s3, 31
	s_delay_alu instid0(SALU_CYCLE_1)
	s_mul_i32 s10, s10, s5
	s_abs_i32 s36, s28
	s_mul_hi_u32 s3, s5, s10
	s_mov_b32 s11, s37
	s_add_co_i32 s10, s5, s3
	v_lshl_add_u32 v1, v1, 1, v3
	s_mul_u64 s[10:11], s[36:37], s[10:11]
	s_ashr_i32 s38, s28, 31
	s_mul_i32 s5, s11, s33
	s_ashr_i32 s39, s39, 1
	s_sub_co_i32 s5, s36, s5
	s_ashr_i32 s3, s2, 31
	s_wait_kmcnt 0x0
	s_ashr_i32 s14, s14, 2
	s_xor_b32 s37, s38, s40
	v_mul_lo_u32 v76, s14, v1
	s_ashr_i32 s10, s26, 2
	s_add_co_i32 s26, s11, 1
	s_sub_co_i32 s36, s5, s33
	s_cmp_ge_u32 s5, s33
	s_mul_u64 s[24:25], s[24:25], s[2:3]
	s_cselect_b32 s11, s26, s11
	s_cselect_b32 s5, s36, s5
	s_add_co_i32 s26, s11, 1
	s_cmp_ge_u32 s5, s33
	s_mul_u64 s[20:21], s[20:21], s[2:3]
	s_cselect_b32 s5, s26, s11
	s_lshl_b32 s3, s14, 4
	s_delay_alu instid0(SALU_CYCLE_1)
	v_dual_mov_b32 v85, 0 :: v_dual_add_nc_u32 v78, s3, v76
	v_lshlrev_b32_e32 v3, 2, v4
	v_mul_lo_u32 v86, s10, v1
	s_xor_b32 s5, s5, s37
	s_add_nc_u64 s[6:7], s[6:7], s[24:25]
	v_dual_add_nc_u32 v80, s3, v78 :: v_dual_ashrrev_i32 v79, 31, v78
	s_sub_co_i32 s5, s5, s37
	v_mad_u32 v137, v2, s39, v120
	s_mul_i32 s36, s5, s15
	s_delay_alu instid0(VALU_DEP_2)
	v_add_nc_u32_e32 v82, s3, v80
	v_ashrrev_i32_e32 v77, 31, v76
	s_mul_i32 s24, s5, s27
	s_lshl_b32 s5, s10, 4
	v_mad_u32_u24 v127, 0x110, v1, v3
	v_add_nc_u32_e32 v88, s3, v82
	v_add_nc_u32_e32 v94, s5, v86
	v_lshl_or_b32 v136, v1, 8, v3
	v_dual_ashrrev_i32 v81, 31, v80 :: v_dual_ashrrev_i32 v83, 31, v82
	s_delay_alu instid0(VALU_DEP_4) | instskip(SKIP_2) | instid1(VALU_DEP_3)
	v_dual_add_nc_u32 v90, s3, v88 :: v_dual_ashrrev_i32 v89, 31, v88
	v_dual_mov_b32 v93, v85 :: v_dual_add_nc_u32 v128, 0x1100, v127
	v_dual_mov_b32 v126, 32 :: v_dual_add_nc_u32 v129, 0x2200, v127
	v_add_nc_u32_e32 v96, s3, v90
	v_add_nc_u32_e32 v98, s5, v94
	v_dual_mov_b32 v33, v85 :: v_dual_add_nc_u32 v130, 0x3300, v127
	v_dual_mov_b32 v32, v85 :: v_dual_add_nc_u32 v131, 0x4400, v127
	s_delay_alu instid0(VALU_DEP_3) | instskip(SKIP_2) | instid1(VALU_DEP_3)
	v_dual_add_nc_u32 v100, s3, v96 :: v_dual_add_nc_u32 v102, s5, v98
	v_dual_mov_b32 v147, v85 :: v_dual_add_nc_u32 v132, 0x5500, v127
	v_dual_ashrrev_i32 v91, 31, v90 :: v_dual_ashrrev_i32 v97, 31, v96
	v_dual_ashrrev_i32 v101, 31, v100 :: v_dual_add_nc_u32 v104, s5, v102
	v_ashrrev_i32_e32 v103, 31, v102
	v_ashrrev_i32_e32 v87, 31, v86
	v_dual_mov_b32 v92, v85 :: v_dual_add_nc_u32 v133, 0x6600, v127
	s_delay_alu instid0(VALU_DEP_4)
	v_add_nc_u32_e32 v106, s5, v104
	v_add_nc_u32_e32 v134, 0x7700, v127
	v_mul_u32_u24_e32 v135, 0x110, v120
	v_add_nc_u32_e32 v138, 0x8800, v0
	v_dual_mov_b32 v146, v85 :: v_dual_add_nc_u32 v139, 0x1000, v136
	v_dual_add_nc_u32 v108, s5, v106 :: v_dual_ashrrev_i32 v107, 31, v106
	v_ashrrev_i32_e32 v99, 31, v98
	v_dual_ashrrev_i32 v95, 31, v94 :: v_dual_ashrrev_i32 v105, 31, v104
	s_delay_alu instid0(VALU_DEP_3)
	v_add_nc_u32_e32 v110, s5, v108
	v_add_nc_u32_e32 v140, 0x2000, v136
	;; [unrolled: 1-line block ×6, first 2 shown]
	v_dual_ashrrev_i32 v109, 31, v108 :: v_dual_ashrrev_i32 v111, 31, v110
	v_add_nc_u32_e32 v145, 0x7000, v136
	v_dual_mov_b32 v35, 0xfeffffff :: v_dual_lshlrev_b32 v84, 2, v4
	v_mov_b32_e32 v34, 0xfeffffff
	s_ashr_i32 s37, s36, 31
	s_add_nc_u64 s[8:9], s[8:9], s[20:21]
	s_ashr_i32 s25, s24, 31
	s_add_nc_u64 s[6:7], s[6:7], s[36:37]
	s_add_nc_u64 s[8:9], s[8:9], s[24:25]
	s_ashr_i32 s15, s14, 31
	s_ashr_i32 s11, s10, 31
	s_add_nc_u64 s[20:21], s[0:1], 0xd0
	s_mov_b32 s3, 0xbbbac73d
.LBB82_9:                               ; =>This Inner Loop Header: Depth=1
	s_ashr_i32 s5, s4, 31
	v_mov_b32_e32 v57, 0
	s_mul_u64 s[24:25], s[4:5], s[14:15]
	v_mov_b32_e32 v58, 0
	s_lshl_b64 s[24:25], s[24:25], 2
	v_mov_b32_e32 v59, 0
	s_add_nc_u64 s[24:25], s[6:7], s[24:25]
	v_mov_b32_e32 v60, 0
	v_lshl_add_u64 v[0:1], v[76:77], 2, s[24:25]
	v_lshl_add_u64 v[2:3], v[78:79], 2, s[24:25]
	;; [unrolled: 1-line block ×6, first 2 shown]
	v_add_nc_u64_e32 v[36:37], v[0:1], v[84:85]
	v_lshl_add_u64 v[12:13], v[96:97], 2, s[24:25]
	v_add_nc_u64_e32 v[38:39], v[2:3], v[84:85]
	v_lshl_add_u64 v[14:15], v[100:101], 2, s[24:25]
	v_add_nc_u64_e32 v[40:41], v[4:5], v[84:85]
	v_add_nc_u64_e32 v[42:43], v[6:7], v[84:85]
	;; [unrolled: 1-line block ×6, first 2 shown]
	s_clause 0x7
	global_load_b128 v[0:3], v[36:37], off
	global_load_b128 v[4:7], v[38:39], off
	;; [unrolled: 1-line block ×8, first 2 shown]
	s_wait_loadcnt 0x7
	ds_store_b128 v127, v[0:3]
	s_wait_loadcnt 0x6
	ds_store_b128 v128, v[4:7]
	;; [unrolled: 2-line block ×8, first 2 shown]
	s_wait_dscnt 0x0
	s_barrier_signal -1
	s_barrier_wait -1
	ds_load_b128 v[0:3], v135
	ds_load_b128 v[10:13], v124
	ds_load_b128 v[14:17], v124 offset:256
	ds_load_b128 v[18:21], v135 offset:8704
	v_mov_b32_e32 v6, 0
	ds_load_b128 v[22:25], v135 offset:17408
	ds_load_b128 v[26:29], v135 offset:26112
	v_dual_mov_b32 v7, 0 :: v_dual_mov_b32 v8, 0
	v_mov_b32_e32 v9, 0
	s_wait_dscnt 0x4
	;;#ASMSTART
	v_dot2_f32_f16 v6, v0, v10, v6
	;;#ASMEND
	;;#ASMSTART
	v_dot2_f32_f16 v6, v1, v11, v6
	;;#ASMEND
	;;#ASMSTART
	v_dot2_f32_f16 v6, v2, v12, v6
	;;#ASMEND
	;;#ASMSTART
	v_dot2_f32_f16 v6, v3, v13, v6
	;;#ASMEND
	s_wait_dscnt 0x3
	;;#ASMSTART
	v_dot2_f32_f16 v57, v0, v14, v57
	;;#ASMEND
	;;#ASMSTART
	v_dot2_f32_f16 v57, v1, v15, v57
	;;#ASMEND
	;;#ASMSTART
	v_dot2_f32_f16 v57, v2, v16, v57
	;;#ASMEND
	;;#ASMSTART
	v_dot2_f32_f16 v57, v3, v17, v57
	;;#ASMEND
	;; [unrolled: 13-line block ×3, first 2 shown]
	;;#ASMSTART
	v_dot2_f32_f16 v58, v18, v14, v58
	;;#ASMEND
	;;#ASMSTART
	v_dot2_f32_f16 v58, v19, v15, v58
	;;#ASMEND
	;;#ASMSTART
	v_dot2_f32_f16 v58, v20, v16, v58
	;;#ASMEND
	;;#ASMSTART
	v_dot2_f32_f16 v58, v21, v17, v58
	;;#ASMEND
	s_wait_dscnt 0x1
	;;#ASMSTART
	v_dot2_f32_f16 v8, v22, v10, v8
	;;#ASMEND
	;;#ASMSTART
	v_dot2_f32_f16 v8, v23, v11, v8
	;;#ASMEND
	;; [unrolled: 3-line block ×8, first 2 shown]
	s_wait_dscnt 0x0
	;;#ASMSTART
	v_dot2_f32_f16 v9, v26, v10, v9
	;;#ASMEND
	;;#ASMSTART
	v_dot2_f32_f16 v9, v27, v11, v9
	;;#ASMEND
	;; [unrolled: 3-line block ×8, first 2 shown]
	ds_load_b128 v[0:3], v135 offset:16
	ds_load_b128 v[10:13], v124 offset:16
	;; [unrolled: 1-line block ×6, first 2 shown]
	s_wait_dscnt 0x4
	;;#ASMSTART
	v_dot2_f32_f16 v6, v0, v10, v6
	;;#ASMEND
	;;#ASMSTART
	v_dot2_f32_f16 v6, v1, v11, v6
	;;#ASMEND
	;;#ASMSTART
	v_dot2_f32_f16 v6, v2, v12, v6
	;;#ASMEND
	;;#ASMSTART
	v_dot2_f32_f16 v6, v3, v13, v6
	;;#ASMEND
	s_wait_dscnt 0x3
	;;#ASMSTART
	v_dot2_f32_f16 v57, v0, v14, v57
	;;#ASMEND
	;;#ASMSTART
	v_dot2_f32_f16 v57, v1, v15, v57
	;;#ASMEND
	;;#ASMSTART
	v_dot2_f32_f16 v57, v2, v16, v57
	;;#ASMEND
	;;#ASMSTART
	v_dot2_f32_f16 v57, v3, v17, v57
	;;#ASMEND
	;; [unrolled: 13-line block ×3, first 2 shown]
	;;#ASMSTART
	v_dot2_f32_f16 v58, v18, v14, v58
	;;#ASMEND
	;;#ASMSTART
	v_dot2_f32_f16 v58, v19, v15, v58
	;;#ASMEND
	;; [unrolled: 3-line block ×4, first 2 shown]
	s_wait_dscnt 0x1
	;;#ASMSTART
	v_dot2_f32_f16 v8, v22, v10, v8
	;;#ASMEND
	;;#ASMSTART
	v_dot2_f32_f16 v8, v23, v11, v8
	;;#ASMEND
	;; [unrolled: 3-line block ×8, first 2 shown]
	s_wait_dscnt 0x0
	;;#ASMSTART
	v_dot2_f32_f16 v9, v26, v10, v9
	;;#ASMEND
	;;#ASMSTART
	v_dot2_f32_f16 v9, v27, v11, v9
	;;#ASMEND
	;;#ASMSTART
	v_dot2_f32_f16 v9, v28, v12, v9
	;;#ASMEND
	;;#ASMSTART
	v_dot2_f32_f16 v9, v29, v13, v9
	;;#ASMEND
	;;#ASMSTART
	v_dot2_f32_f16 v60, v26, v14, v60
	;;#ASMEND
	;;#ASMSTART
	v_dot2_f32_f16 v60, v27, v15, v60
	;;#ASMEND
	;;#ASMSTART
	v_dot2_f32_f16 v60, v28, v16, v60
	;;#ASMEND
	;;#ASMSTART
	v_dot2_f32_f16 v60, v29, v17, v60
	;;#ASMEND
	ds_load_b128 v[0:3], v135 offset:32
	ds_load_b128 v[10:13], v124 offset:32
	;; [unrolled: 1-line block ×6, first 2 shown]
	s_wait_dscnt 0x4
	;;#ASMSTART
	v_dot2_f32_f16 v6, v0, v10, v6
	;;#ASMEND
	;;#ASMSTART
	v_dot2_f32_f16 v6, v1, v11, v6
	;;#ASMEND
	;;#ASMSTART
	v_dot2_f32_f16 v6, v2, v12, v6
	;;#ASMEND
	;;#ASMSTART
	v_dot2_f32_f16 v6, v3, v13, v6
	;;#ASMEND
	s_wait_dscnt 0x3
	;;#ASMSTART
	v_dot2_f32_f16 v57, v0, v14, v57
	;;#ASMEND
	;;#ASMSTART
	v_dot2_f32_f16 v57, v1, v15, v57
	;;#ASMEND
	;;#ASMSTART
	v_dot2_f32_f16 v57, v2, v16, v57
	;;#ASMEND
	;;#ASMSTART
	v_dot2_f32_f16 v57, v3, v17, v57
	;;#ASMEND
	;; [unrolled: 13-line block ×3, first 2 shown]
	;;#ASMSTART
	v_dot2_f32_f16 v58, v18, v14, v58
	;;#ASMEND
	;;#ASMSTART
	v_dot2_f32_f16 v58, v19, v15, v58
	;;#ASMEND
	;;#ASMSTART
	v_dot2_f32_f16 v58, v20, v16, v58
	;;#ASMEND
	;;#ASMSTART
	v_dot2_f32_f16 v58, v21, v17, v58
	;;#ASMEND
	s_wait_dscnt 0x1
	;;#ASMSTART
	v_dot2_f32_f16 v8, v22, v10, v8
	;;#ASMEND
	;;#ASMSTART
	v_dot2_f32_f16 v8, v23, v11, v8
	;;#ASMEND
	;; [unrolled: 3-line block ×8, first 2 shown]
	s_wait_dscnt 0x0
	;;#ASMSTART
	v_dot2_f32_f16 v9, v26, v10, v9
	;;#ASMEND
	;;#ASMSTART
	v_dot2_f32_f16 v9, v27, v11, v9
	;;#ASMEND
	;; [unrolled: 3-line block ×8, first 2 shown]
	ds_load_b128 v[0:3], v135 offset:48
	ds_load_b128 v[10:13], v124 offset:48
	;; [unrolled: 1-line block ×6, first 2 shown]
	s_wait_dscnt 0x4
	;;#ASMSTART
	v_dot2_f32_f16 v6, v0, v10, v6
	;;#ASMEND
	;;#ASMSTART
	v_dot2_f32_f16 v6, v1, v11, v6
	;;#ASMEND
	;;#ASMSTART
	v_dot2_f32_f16 v6, v2, v12, v6
	;;#ASMEND
	;;#ASMSTART
	v_dot2_f32_f16 v6, v3, v13, v6
	;;#ASMEND
	s_wait_dscnt 0x3
	;;#ASMSTART
	v_dot2_f32_f16 v57, v0, v14, v57
	;;#ASMEND
	;;#ASMSTART
	v_dot2_f32_f16 v57, v1, v15, v57
	;;#ASMEND
	;;#ASMSTART
	v_dot2_f32_f16 v57, v2, v16, v57
	;;#ASMEND
	;;#ASMSTART
	v_dot2_f32_f16 v57, v3, v17, v57
	;;#ASMEND
	;; [unrolled: 13-line block ×3, first 2 shown]
	;;#ASMSTART
	v_dot2_f32_f16 v58, v18, v14, v58
	;;#ASMEND
	;;#ASMSTART
	v_dot2_f32_f16 v58, v19, v15, v58
	;;#ASMEND
	;; [unrolled: 3-line block ×4, first 2 shown]
	s_wait_dscnt 0x1
	;;#ASMSTART
	v_dot2_f32_f16 v8, v22, v10, v8
	;;#ASMEND
	;;#ASMSTART
	v_dot2_f32_f16 v8, v23, v11, v8
	;;#ASMEND
	;; [unrolled: 3-line block ×8, first 2 shown]
	s_wait_dscnt 0x0
	;;#ASMSTART
	v_dot2_f32_f16 v9, v26, v10, v9
	;;#ASMEND
	;;#ASMSTART
	v_dot2_f32_f16 v9, v27, v11, v9
	;;#ASMEND
	;; [unrolled: 3-line block ×8, first 2 shown]
	ds_load_b128 v[0:3], v135 offset:64
	ds_load_b128 v[10:13], v124 offset:64
	;; [unrolled: 1-line block ×6, first 2 shown]
	s_wait_dscnt 0x4
	;;#ASMSTART
	v_dot2_f32_f16 v6, v0, v10, v6
	;;#ASMEND
	;;#ASMSTART
	v_dot2_f32_f16 v6, v1, v11, v6
	;;#ASMEND
	;;#ASMSTART
	v_dot2_f32_f16 v6, v2, v12, v6
	;;#ASMEND
	;;#ASMSTART
	v_dot2_f32_f16 v6, v3, v13, v6
	;;#ASMEND
	s_wait_dscnt 0x3
	;;#ASMSTART
	v_dot2_f32_f16 v57, v0, v14, v57
	;;#ASMEND
	;;#ASMSTART
	v_dot2_f32_f16 v57, v1, v15, v57
	;;#ASMEND
	;;#ASMSTART
	v_dot2_f32_f16 v57, v2, v16, v57
	;;#ASMEND
	;;#ASMSTART
	v_dot2_f32_f16 v57, v3, v17, v57
	;;#ASMEND
	;; [unrolled: 13-line block ×3, first 2 shown]
	;;#ASMSTART
	v_dot2_f32_f16 v58, v18, v14, v58
	;;#ASMEND
	;;#ASMSTART
	v_dot2_f32_f16 v58, v19, v15, v58
	;;#ASMEND
	;; [unrolled: 3-line block ×4, first 2 shown]
	s_wait_dscnt 0x1
	;;#ASMSTART
	v_dot2_f32_f16 v8, v22, v10, v8
	;;#ASMEND
	;;#ASMSTART
	v_dot2_f32_f16 v8, v23, v11, v8
	;;#ASMEND
	;;#ASMSTART
	v_dot2_f32_f16 v8, v24, v12, v8
	;;#ASMEND
	;;#ASMSTART
	v_dot2_f32_f16 v8, v25, v13, v8
	;;#ASMEND
	;;#ASMSTART
	v_dot2_f32_f16 v59, v22, v14, v59
	;;#ASMEND
	;;#ASMSTART
	v_dot2_f32_f16 v59, v23, v15, v59
	;;#ASMEND
	;;#ASMSTART
	v_dot2_f32_f16 v59, v24, v16, v59
	;;#ASMEND
	;;#ASMSTART
	v_dot2_f32_f16 v59, v25, v17, v59
	;;#ASMEND
	s_wait_dscnt 0x0
	;;#ASMSTART
	v_dot2_f32_f16 v9, v26, v10, v9
	;;#ASMEND
	;;#ASMSTART
	v_dot2_f32_f16 v9, v27, v11, v9
	;;#ASMEND
	;; [unrolled: 3-line block ×8, first 2 shown]
	ds_load_b128 v[0:3], v135 offset:80
	ds_load_b128 v[10:13], v124 offset:80
	;; [unrolled: 1-line block ×6, first 2 shown]
	s_wait_dscnt 0x4
	;;#ASMSTART
	v_dot2_f32_f16 v6, v0, v10, v6
	;;#ASMEND
	;;#ASMSTART
	v_dot2_f32_f16 v6, v1, v11, v6
	;;#ASMEND
	;;#ASMSTART
	v_dot2_f32_f16 v6, v2, v12, v6
	;;#ASMEND
	;;#ASMSTART
	v_dot2_f32_f16 v6, v3, v13, v6
	;;#ASMEND
	s_wait_dscnt 0x3
	;;#ASMSTART
	v_dot2_f32_f16 v57, v0, v14, v57
	;;#ASMEND
	;;#ASMSTART
	v_dot2_f32_f16 v57, v1, v15, v57
	;;#ASMEND
	;;#ASMSTART
	v_dot2_f32_f16 v57, v2, v16, v57
	;;#ASMEND
	;;#ASMSTART
	v_dot2_f32_f16 v57, v3, v17, v57
	;;#ASMEND
	;; [unrolled: 13-line block ×3, first 2 shown]
	;;#ASMSTART
	v_dot2_f32_f16 v58, v18, v14, v58
	;;#ASMEND
	;;#ASMSTART
	v_dot2_f32_f16 v58, v19, v15, v58
	;;#ASMEND
	;; [unrolled: 3-line block ×4, first 2 shown]
	s_wait_dscnt 0x1
	;;#ASMSTART
	v_dot2_f32_f16 v8, v22, v10, v8
	;;#ASMEND
	;;#ASMSTART
	v_dot2_f32_f16 v8, v23, v11, v8
	;;#ASMEND
	;; [unrolled: 3-line block ×8, first 2 shown]
	s_wait_dscnt 0x0
	;;#ASMSTART
	v_dot2_f32_f16 v9, v26, v10, v9
	;;#ASMEND
	;;#ASMSTART
	v_dot2_f32_f16 v9, v27, v11, v9
	;;#ASMEND
	;; [unrolled: 3-line block ×8, first 2 shown]
	ds_load_b128 v[0:3], v135 offset:96
	ds_load_b128 v[10:13], v124 offset:96
	;; [unrolled: 1-line block ×6, first 2 shown]
	s_wait_dscnt 0x4
	;;#ASMSTART
	v_dot2_f32_f16 v6, v0, v10, v6
	;;#ASMEND
	;;#ASMSTART
	v_dot2_f32_f16 v6, v1, v11, v6
	;;#ASMEND
	;;#ASMSTART
	v_dot2_f32_f16 v6, v2, v12, v6
	;;#ASMEND
	;;#ASMSTART
	v_dot2_f32_f16 v6, v3, v13, v6
	;;#ASMEND
	s_wait_dscnt 0x3
	;;#ASMSTART
	v_dot2_f32_f16 v57, v0, v14, v57
	;;#ASMEND
	;;#ASMSTART
	v_dot2_f32_f16 v57, v1, v15, v57
	;;#ASMEND
	;;#ASMSTART
	v_dot2_f32_f16 v57, v2, v16, v57
	;;#ASMEND
	;;#ASMSTART
	v_dot2_f32_f16 v57, v3, v17, v57
	;;#ASMEND
	s_wait_dscnt 0x2
	;;#ASMSTART
	v_dot2_f32_f16 v7, v18, v10, v7
	;;#ASMEND
	;;#ASMSTART
	v_dot2_f32_f16 v7, v19, v11, v7
	;;#ASMEND
	;;#ASMSTART
	v_dot2_f32_f16 v7, v20, v12, v7
	;;#ASMEND
	;;#ASMSTART
	v_dot2_f32_f16 v7, v21, v13, v7
	;;#ASMEND
	;;#ASMSTART
	v_dot2_f32_f16 v58, v18, v14, v58
	;;#ASMEND
	;;#ASMSTART
	v_dot2_f32_f16 v58, v19, v15, v58
	;;#ASMEND
	;; [unrolled: 3-line block ×4, first 2 shown]
	s_wait_dscnt 0x1
	;;#ASMSTART
	v_dot2_f32_f16 v8, v22, v10, v8
	;;#ASMEND
	;;#ASMSTART
	v_dot2_f32_f16 v8, v23, v11, v8
	;;#ASMEND
	;; [unrolled: 3-line block ×8, first 2 shown]
	s_wait_dscnt 0x0
	;;#ASMSTART
	v_dot2_f32_f16 v9, v26, v10, v9
	;;#ASMEND
	;;#ASMSTART
	v_dot2_f32_f16 v9, v27, v11, v9
	;;#ASMEND
	;;#ASMSTART
	v_dot2_f32_f16 v9, v28, v12, v9
	;;#ASMEND
	;;#ASMSTART
	v_dot2_f32_f16 v9, v29, v13, v9
	;;#ASMEND
	;;#ASMSTART
	v_dot2_f32_f16 v60, v26, v14, v60
	;;#ASMEND
	;;#ASMSTART
	v_dot2_f32_f16 v60, v27, v15, v60
	;;#ASMEND
	;;#ASMSTART
	v_dot2_f32_f16 v60, v28, v16, v60
	;;#ASMEND
	;;#ASMSTART
	v_dot2_f32_f16 v60, v29, v17, v60
	;;#ASMEND
	ds_load_b128 v[0:3], v135 offset:112
	ds_load_b128 v[10:13], v124 offset:112
	ds_load_b128 v[14:17], v124 offset:368
	ds_load_b128 v[18:21], v135 offset:8816
	ds_load_b128 v[22:25], v135 offset:17520
	ds_load_b128 v[26:29], v135 offset:26224
	s_wait_dscnt 0x4
	;;#ASMSTART
	v_dot2_f32_f16 v6, v0, v10, v6
	;;#ASMEND
	;;#ASMSTART
	v_dot2_f32_f16 v6, v1, v11, v6
	;;#ASMEND
	;;#ASMSTART
	v_dot2_f32_f16 v6, v2, v12, v6
	;;#ASMEND
	;;#ASMSTART
	v_dot2_f32_f16 v6, v3, v13, v6
	;;#ASMEND
	s_wait_dscnt 0x3
	;;#ASMSTART
	v_dot2_f32_f16 v57, v0, v14, v57
	;;#ASMEND
	;;#ASMSTART
	v_dot2_f32_f16 v57, v1, v15, v57
	;;#ASMEND
	;;#ASMSTART
	v_dot2_f32_f16 v57, v2, v16, v57
	;;#ASMEND
	;;#ASMSTART
	v_dot2_f32_f16 v57, v3, v17, v57
	;;#ASMEND
	;; [unrolled: 13-line block ×3, first 2 shown]
	;;#ASMSTART
	v_dot2_f32_f16 v58, v18, v14, v58
	;;#ASMEND
	;;#ASMSTART
	v_dot2_f32_f16 v58, v19, v15, v58
	;;#ASMEND
	;; [unrolled: 3-line block ×4, first 2 shown]
	s_wait_dscnt 0x1
	;;#ASMSTART
	v_dot2_f32_f16 v8, v22, v10, v8
	;;#ASMEND
	;;#ASMSTART
	v_dot2_f32_f16 v8, v23, v11, v8
	;;#ASMEND
	;; [unrolled: 3-line block ×8, first 2 shown]
	s_wait_dscnt 0x0
	;;#ASMSTART
	v_dot2_f32_f16 v9, v26, v10, v9
	;;#ASMEND
	;;#ASMSTART
	v_dot2_f32_f16 v9, v27, v11, v9
	;;#ASMEND
	;; [unrolled: 3-line block ×8, first 2 shown]
	ds_load_b128 v[0:3], v135 offset:128
	ds_load_b128 v[10:13], v124 offset:128
	;; [unrolled: 1-line block ×6, first 2 shown]
	s_wait_dscnt 0x4
	;;#ASMSTART
	v_dot2_f32_f16 v6, v0, v10, v6
	;;#ASMEND
	;;#ASMSTART
	v_dot2_f32_f16 v6, v1, v11, v6
	;;#ASMEND
	;;#ASMSTART
	v_dot2_f32_f16 v6, v2, v12, v6
	;;#ASMEND
	;;#ASMSTART
	v_dot2_f32_f16 v6, v3, v13, v6
	;;#ASMEND
	s_wait_dscnt 0x3
	;;#ASMSTART
	v_dot2_f32_f16 v57, v0, v14, v57
	;;#ASMEND
	;;#ASMSTART
	v_dot2_f32_f16 v57, v1, v15, v57
	;;#ASMEND
	;;#ASMSTART
	v_dot2_f32_f16 v57, v2, v16, v57
	;;#ASMEND
	;;#ASMSTART
	v_dot2_f32_f16 v57, v3, v17, v57
	;;#ASMEND
	;; [unrolled: 13-line block ×3, first 2 shown]
	;;#ASMSTART
	v_dot2_f32_f16 v58, v18, v14, v58
	;;#ASMEND
	;;#ASMSTART
	v_dot2_f32_f16 v58, v19, v15, v58
	;;#ASMEND
	;; [unrolled: 3-line block ×4, first 2 shown]
	s_wait_dscnt 0x1
	;;#ASMSTART
	v_dot2_f32_f16 v8, v22, v10, v8
	;;#ASMEND
	;;#ASMSTART
	v_dot2_f32_f16 v8, v23, v11, v8
	;;#ASMEND
	;; [unrolled: 3-line block ×8, first 2 shown]
	s_wait_dscnt 0x0
	;;#ASMSTART
	v_dot2_f32_f16 v9, v26, v10, v9
	;;#ASMEND
	;;#ASMSTART
	v_dot2_f32_f16 v9, v27, v11, v9
	;;#ASMEND
	;; [unrolled: 3-line block ×8, first 2 shown]
	ds_load_b128 v[0:3], v135 offset:144
	ds_load_b128 v[10:13], v124 offset:144
	;; [unrolled: 1-line block ×6, first 2 shown]
	s_wait_dscnt 0x4
	;;#ASMSTART
	v_dot2_f32_f16 v6, v0, v10, v6
	;;#ASMEND
	;;#ASMSTART
	v_dot2_f32_f16 v6, v1, v11, v6
	;;#ASMEND
	;;#ASMSTART
	v_dot2_f32_f16 v6, v2, v12, v6
	;;#ASMEND
	;;#ASMSTART
	v_dot2_f32_f16 v6, v3, v13, v6
	;;#ASMEND
	s_wait_dscnt 0x3
	;;#ASMSTART
	v_dot2_f32_f16 v57, v0, v14, v57
	;;#ASMEND
	;;#ASMSTART
	v_dot2_f32_f16 v57, v1, v15, v57
	;;#ASMEND
	;;#ASMSTART
	v_dot2_f32_f16 v57, v2, v16, v57
	;;#ASMEND
	;;#ASMSTART
	v_dot2_f32_f16 v57, v3, v17, v57
	;;#ASMEND
	;; [unrolled: 13-line block ×3, first 2 shown]
	;;#ASMSTART
	v_dot2_f32_f16 v58, v18, v14, v58
	;;#ASMEND
	;;#ASMSTART
	v_dot2_f32_f16 v58, v19, v15, v58
	;;#ASMEND
	;; [unrolled: 3-line block ×4, first 2 shown]
	s_wait_dscnt 0x1
	;;#ASMSTART
	v_dot2_f32_f16 v8, v22, v10, v8
	;;#ASMEND
	;;#ASMSTART
	v_dot2_f32_f16 v8, v23, v11, v8
	;;#ASMEND
	;;#ASMSTART
	v_dot2_f32_f16 v8, v24, v12, v8
	;;#ASMEND
	;;#ASMSTART
	v_dot2_f32_f16 v8, v25, v13, v8
	;;#ASMEND
	;;#ASMSTART
	v_dot2_f32_f16 v59, v22, v14, v59
	;;#ASMEND
	;;#ASMSTART
	v_dot2_f32_f16 v59, v23, v15, v59
	;;#ASMEND
	;;#ASMSTART
	v_dot2_f32_f16 v59, v24, v16, v59
	;;#ASMEND
	;;#ASMSTART
	v_dot2_f32_f16 v59, v25, v17, v59
	;;#ASMEND
	s_wait_dscnt 0x0
	;;#ASMSTART
	v_dot2_f32_f16 v9, v26, v10, v9
	;;#ASMEND
	;;#ASMSTART
	v_dot2_f32_f16 v9, v27, v11, v9
	;;#ASMEND
	;; [unrolled: 3-line block ×8, first 2 shown]
	ds_load_b128 v[0:3], v135 offset:160
	ds_load_b128 v[10:13], v124 offset:160
	;; [unrolled: 1-line block ×6, first 2 shown]
	s_wait_dscnt 0x4
	;;#ASMSTART
	v_dot2_f32_f16 v6, v0, v10, v6
	;;#ASMEND
	;;#ASMSTART
	v_dot2_f32_f16 v6, v1, v11, v6
	;;#ASMEND
	;;#ASMSTART
	v_dot2_f32_f16 v6, v2, v12, v6
	;;#ASMEND
	;;#ASMSTART
	v_dot2_f32_f16 v6, v3, v13, v6
	;;#ASMEND
	s_wait_dscnt 0x3
	;;#ASMSTART
	v_dot2_f32_f16 v57, v0, v14, v57
	;;#ASMEND
	;;#ASMSTART
	v_dot2_f32_f16 v57, v1, v15, v57
	;;#ASMEND
	;;#ASMSTART
	v_dot2_f32_f16 v57, v2, v16, v57
	;;#ASMEND
	;;#ASMSTART
	v_dot2_f32_f16 v57, v3, v17, v57
	;;#ASMEND
	s_wait_dscnt 0x2
	;;#ASMSTART
	v_dot2_f32_f16 v7, v18, v10, v7
	;;#ASMEND
	;;#ASMSTART
	v_dot2_f32_f16 v7, v19, v11, v7
	;;#ASMEND
	;;#ASMSTART
	v_dot2_f32_f16 v7, v20, v12, v7
	;;#ASMEND
	;;#ASMSTART
	v_dot2_f32_f16 v7, v21, v13, v7
	;;#ASMEND
	;;#ASMSTART
	v_dot2_f32_f16 v58, v18, v14, v58
	;;#ASMEND
	;;#ASMSTART
	v_dot2_f32_f16 v58, v19, v15, v58
	;;#ASMEND
	;; [unrolled: 3-line block ×4, first 2 shown]
	s_wait_dscnt 0x1
	;;#ASMSTART
	v_dot2_f32_f16 v8, v22, v10, v8
	;;#ASMEND
	;;#ASMSTART
	v_dot2_f32_f16 v8, v23, v11, v8
	;;#ASMEND
	;; [unrolled: 3-line block ×8, first 2 shown]
	s_wait_dscnt 0x0
	;;#ASMSTART
	v_dot2_f32_f16 v9, v26, v10, v9
	;;#ASMEND
	;;#ASMSTART
	v_dot2_f32_f16 v9, v27, v11, v9
	;;#ASMEND
	;; [unrolled: 3-line block ×8, first 2 shown]
	ds_load_b128 v[0:3], v135 offset:176
	ds_load_b128 v[10:13], v124 offset:176
	;; [unrolled: 1-line block ×6, first 2 shown]
	s_wait_dscnt 0x4
	;;#ASMSTART
	v_dot2_f32_f16 v6, v0, v10, v6
	;;#ASMEND
	;;#ASMSTART
	v_dot2_f32_f16 v6, v1, v11, v6
	;;#ASMEND
	;;#ASMSTART
	v_dot2_f32_f16 v6, v2, v12, v6
	;;#ASMEND
	;;#ASMSTART
	v_dot2_f32_f16 v6, v3, v13, v6
	;;#ASMEND
	s_wait_dscnt 0x3
	;;#ASMSTART
	v_dot2_f32_f16 v57, v0, v14, v57
	;;#ASMEND
	;;#ASMSTART
	v_dot2_f32_f16 v57, v1, v15, v57
	;;#ASMEND
	;;#ASMSTART
	v_dot2_f32_f16 v57, v2, v16, v57
	;;#ASMEND
	;;#ASMSTART
	v_dot2_f32_f16 v57, v3, v17, v57
	;;#ASMEND
	;; [unrolled: 13-line block ×3, first 2 shown]
	;;#ASMSTART
	v_dot2_f32_f16 v58, v18, v14, v58
	;;#ASMEND
	;;#ASMSTART
	v_dot2_f32_f16 v58, v19, v15, v58
	;;#ASMEND
	;; [unrolled: 3-line block ×4, first 2 shown]
	s_wait_dscnt 0x1
	;;#ASMSTART
	v_dot2_f32_f16 v8, v22, v10, v8
	;;#ASMEND
	;;#ASMSTART
	v_dot2_f32_f16 v8, v23, v11, v8
	;;#ASMEND
	;; [unrolled: 3-line block ×8, first 2 shown]
	s_wait_dscnt 0x0
	;;#ASMSTART
	v_dot2_f32_f16 v9, v26, v10, v9
	;;#ASMEND
	;;#ASMSTART
	v_dot2_f32_f16 v9, v27, v11, v9
	;;#ASMEND
	;; [unrolled: 3-line block ×8, first 2 shown]
	ds_load_b128 v[0:3], v135 offset:192
	ds_load_b128 v[10:13], v124 offset:192
	;; [unrolled: 1-line block ×6, first 2 shown]
	s_wait_dscnt 0x4
	;;#ASMSTART
	v_dot2_f32_f16 v6, v0, v10, v6
	;;#ASMEND
	;;#ASMSTART
	v_dot2_f32_f16 v6, v1, v11, v6
	;;#ASMEND
	;;#ASMSTART
	v_dot2_f32_f16 v6, v2, v12, v6
	;;#ASMEND
	;;#ASMSTART
	v_dot2_f32_f16 v6, v3, v13, v6
	;;#ASMEND
	s_wait_dscnt 0x3
	;;#ASMSTART
	v_dot2_f32_f16 v57, v0, v14, v57
	;;#ASMEND
	;;#ASMSTART
	v_dot2_f32_f16 v57, v1, v15, v57
	;;#ASMEND
	;;#ASMSTART
	v_dot2_f32_f16 v57, v2, v16, v57
	;;#ASMEND
	;;#ASMSTART
	v_dot2_f32_f16 v57, v3, v17, v57
	;;#ASMEND
	;; [unrolled: 13-line block ×3, first 2 shown]
	;;#ASMSTART
	v_dot2_f32_f16 v58, v18, v14, v58
	;;#ASMEND
	;;#ASMSTART
	v_dot2_f32_f16 v58, v19, v15, v58
	;;#ASMEND
	;; [unrolled: 3-line block ×4, first 2 shown]
	s_wait_dscnt 0x1
	;;#ASMSTART
	v_dot2_f32_f16 v8, v22, v10, v8
	;;#ASMEND
	;;#ASMSTART
	v_dot2_f32_f16 v8, v23, v11, v8
	;;#ASMEND
	;; [unrolled: 3-line block ×8, first 2 shown]
	s_wait_dscnt 0x0
	;;#ASMSTART
	v_dot2_f32_f16 v9, v26, v10, v9
	;;#ASMEND
	;;#ASMSTART
	v_dot2_f32_f16 v9, v27, v11, v9
	;;#ASMEND
	;; [unrolled: 3-line block ×8, first 2 shown]
	ds_load_b128 v[0:3], v135 offset:208
	ds_load_b128 v[10:13], v124 offset:208
	;; [unrolled: 1-line block ×6, first 2 shown]
	s_wait_dscnt 0x4
	;;#ASMSTART
	v_dot2_f32_f16 v6, v0, v10, v6
	;;#ASMEND
	;;#ASMSTART
	v_dot2_f32_f16 v6, v1, v11, v6
	;;#ASMEND
	;;#ASMSTART
	v_dot2_f32_f16 v6, v2, v12, v6
	;;#ASMEND
	;;#ASMSTART
	v_dot2_f32_f16 v6, v3, v13, v6
	;;#ASMEND
	s_wait_dscnt 0x3
	;;#ASMSTART
	v_dot2_f32_f16 v57, v0, v14, v57
	;;#ASMEND
	;;#ASMSTART
	v_dot2_f32_f16 v57, v1, v15, v57
	;;#ASMEND
	;;#ASMSTART
	v_dot2_f32_f16 v57, v2, v16, v57
	;;#ASMEND
	;;#ASMSTART
	v_dot2_f32_f16 v57, v3, v17, v57
	;;#ASMEND
	;; [unrolled: 13-line block ×3, first 2 shown]
	;;#ASMSTART
	v_dot2_f32_f16 v58, v18, v14, v58
	;;#ASMEND
	;;#ASMSTART
	v_dot2_f32_f16 v58, v19, v15, v58
	;;#ASMEND
	;; [unrolled: 3-line block ×4, first 2 shown]
	s_wait_dscnt 0x1
	;;#ASMSTART
	v_dot2_f32_f16 v8, v22, v10, v8
	;;#ASMEND
	;;#ASMSTART
	v_dot2_f32_f16 v8, v23, v11, v8
	;;#ASMEND
	;; [unrolled: 3-line block ×8, first 2 shown]
	s_wait_dscnt 0x0
	;;#ASMSTART
	v_dot2_f32_f16 v9, v26, v10, v9
	;;#ASMEND
	;;#ASMSTART
	v_dot2_f32_f16 v9, v27, v11, v9
	;;#ASMEND
	;;#ASMSTART
	v_dot2_f32_f16 v9, v28, v12, v9
	;;#ASMEND
	;;#ASMSTART
	v_dot2_f32_f16 v9, v29, v13, v9
	;;#ASMEND
	;;#ASMSTART
	v_dot2_f32_f16 v60, v26, v14, v60
	;;#ASMEND
	;;#ASMSTART
	v_dot2_f32_f16 v60, v27, v15, v60
	;;#ASMEND
	;;#ASMSTART
	v_dot2_f32_f16 v60, v28, v16, v60
	;;#ASMEND
	;;#ASMSTART
	v_dot2_f32_f16 v60, v29, v17, v60
	;;#ASMEND
	ds_load_b128 v[0:3], v135 offset:224
	ds_load_b128 v[10:13], v124 offset:224
	;; [unrolled: 1-line block ×6, first 2 shown]
	s_wait_dscnt 0x4
	;;#ASMSTART
	v_dot2_f32_f16 v6, v0, v10, v6
	;;#ASMEND
	;;#ASMSTART
	v_dot2_f32_f16 v6, v1, v11, v6
	;;#ASMEND
	;;#ASMSTART
	v_dot2_f32_f16 v6, v2, v12, v6
	;;#ASMEND
	;;#ASMSTART
	v_dot2_f32_f16 v6, v3, v13, v6
	;;#ASMEND
	s_wait_dscnt 0x3
	;;#ASMSTART
	v_dot2_f32_f16 v57, v0, v14, v57
	;;#ASMEND
	;;#ASMSTART
	v_dot2_f32_f16 v57, v1, v15, v57
	;;#ASMEND
	;;#ASMSTART
	v_dot2_f32_f16 v57, v2, v16, v57
	;;#ASMEND
	;;#ASMSTART
	v_dot2_f32_f16 v57, v3, v17, v57
	;;#ASMEND
	;; [unrolled: 13-line block ×3, first 2 shown]
	;;#ASMSTART
	v_dot2_f32_f16 v58, v18, v14, v58
	;;#ASMEND
	;;#ASMSTART
	v_dot2_f32_f16 v58, v19, v15, v58
	;;#ASMEND
	;; [unrolled: 3-line block ×4, first 2 shown]
	s_wait_dscnt 0x1
	;;#ASMSTART
	v_dot2_f32_f16 v8, v22, v10, v8
	;;#ASMEND
	;;#ASMSTART
	v_dot2_f32_f16 v8, v23, v11, v8
	;;#ASMEND
	;; [unrolled: 3-line block ×8, first 2 shown]
	s_wait_dscnt 0x0
	;;#ASMSTART
	v_dot2_f32_f16 v9, v26, v10, v9
	;;#ASMEND
	;;#ASMSTART
	v_dot2_f32_f16 v9, v27, v11, v9
	;;#ASMEND
	;; [unrolled: 3-line block ×8, first 2 shown]
	ds_load_b128 v[0:3], v135 offset:240
	ds_load_b128 v[10:13], v124 offset:240
	;; [unrolled: 1-line block ×6, first 2 shown]
	s_wait_dscnt 0x4
	;;#ASMSTART
	v_dot2_f32_f16 v6, v0, v10, v6
	;;#ASMEND
	;;#ASMSTART
	v_dot2_f32_f16 v6, v1, v11, v6
	;;#ASMEND
	;;#ASMSTART
	v_dot2_f32_f16 v6, v2, v12, v6
	;;#ASMEND
	;;#ASMSTART
	v_dot2_f32_f16 v6, v3, v13, v6
	;;#ASMEND
	s_wait_dscnt 0x3
	;;#ASMSTART
	v_dot2_f32_f16 v57, v0, v14, v57
	;;#ASMEND
	;;#ASMSTART
	v_dot2_f32_f16 v57, v1, v15, v57
	;;#ASMEND
	;;#ASMSTART
	v_dot2_f32_f16 v57, v2, v16, v57
	;;#ASMEND
	;;#ASMSTART
	v_dot2_f32_f16 v57, v3, v17, v57
	;;#ASMEND
	;; [unrolled: 13-line block ×3, first 2 shown]
	;;#ASMSTART
	v_dot2_f32_f16 v58, v18, v14, v58
	;;#ASMEND
	;;#ASMSTART
	v_dot2_f32_f16 v58, v19, v15, v58
	;;#ASMEND
	;; [unrolled: 3-line block ×4, first 2 shown]
	s_wait_dscnt 0x1
	;;#ASMSTART
	v_dot2_f32_f16 v8, v22, v10, v8
	;;#ASMEND
	;;#ASMSTART
	v_dot2_f32_f16 v8, v23, v11, v8
	;;#ASMEND
	;; [unrolled: 3-line block ×8, first 2 shown]
	s_wait_dscnt 0x0
	;;#ASMSTART
	v_dot2_f32_f16 v9, v26, v10, v9
	;;#ASMEND
	v_cmp_ngt_f32_e64 s24, 0x3f200000, |v6|
	;;#ASMSTART
	v_dot2_f32_f16 v9, v27, v11, v9
	;;#ASMEND
	;;#ASMSTART
	v_dot2_f32_f16 v9, v28, v12, v9
	;;#ASMEND
	;; [unrolled: 3-line block ×7, first 2 shown]
                                        ; implicit-def: $vgpr2
	s_and_saveexec_b32 s25, s24
	s_delay_alu instid0(SALU_CYCLE_1)
	s_xor_b32 s24, exec_lo, s25
	s_cbranch_execz .LBB82_11
; %bb.10:                               ;   in Loop: Header=BB82_9 Depth=1
	v_add_f32_e64 v0, |v6|, |v6|
	s_delay_alu instid0(VALU_DEP_1) | instskip(SKIP_1) | instid1(VALU_DEP_2)
	v_mul_f32_e32 v1, 0x3fb8aa3b, v0
	v_cmp_ngt_f32_e32 vcc_lo, 0xc2ce8ed0, v0
	v_rndne_f32_e32 v2, v1
	v_fma_f32 v3, 0x3fb8aa3b, v0, -v1
	s_delay_alu instid0(VALU_DEP_2) | instskip(NEXT) | instid1(VALU_DEP_2)
	v_sub_f32_e32 v1, v1, v2
	v_fmac_f32_e32 v3, 0x32a5705f, v0
	v_cvt_i32_f32_e32 v2, v2
	s_delay_alu instid0(VALU_DEP_2) | instskip(NEXT) | instid1(VALU_DEP_1)
	v_add_f32_e32 v1, v1, v3
	v_exp_f32_e32 v1, v1
	v_nop
	s_delay_alu instid0(TRANS32_DEP_1) | instskip(NEXT) | instid1(VALU_DEP_1)
	v_ldexp_f32 v1, v1, v2
	v_cndmask_b32_e32 v1, 0, v1, vcc_lo
	v_cmp_nlt_f32_e32 vcc_lo, 0x42b17218, v0
	s_delay_alu instid0(VALU_DEP_2) | instskip(NEXT) | instid1(VALU_DEP_1)
	v_cndmask_b32_e32 v0, 0x7f800000, v1, vcc_lo
	v_add_f32_e32 v0, 1.0, v0
	s_delay_alu instid0(VALU_DEP_1) | instskip(SKIP_1) | instid1(TRANS32_DEP_1)
	v_rcp_f32_e32 v0, v0
	v_nop
	v_fma_f32 v2, v0, -2.0, 1.0
.LBB82_11:                              ;   in Loop: Header=BB82_9 Depth=1
	s_and_not1_saveexec_b32 s24, s24
	s_cbranch_execz .LBB82_13
; %bb.12:                               ;   in Loop: Header=BB82_9 Depth=1
	v_mul_f32_e32 v0, v6, v6
	s_delay_alu instid0(VALU_DEP_1) | instskip(NEXT) | instid1(VALU_DEP_1)
	v_fmaak_f32 v1, s3, v0, 0x3ca908c9
	v_fmaak_f32 v1, v0, v1, 0xbd5c1c4e
	s_delay_alu instid0(VALU_DEP_1) | instskip(NEXT) | instid1(VALU_DEP_1)
	v_fmaak_f32 v1, v0, v1, 0x3e088382
	v_fmaak_f32 v1, v0, v1, 0xbeaaaa99
	s_delay_alu instid0(VALU_DEP_1) | instskip(NEXT) | instid1(VALU_DEP_1)
	v_mul_f32_e64 v1, |v6|, v1
	v_fma_f32 v2, v0, v1, |v6|
.LBB82_13:                              ;   in Loop: Header=BB82_9 Depth=1
	s_or_b32 exec_lo, exec_lo, s24
	v_add_nc_u32_e32 v0, s4, v137
	v_cmp_ngt_f32_e64 s24, 0x3f200000, |v7|
                                        ; implicit-def: $vgpr3
	global_load_u16 v42, v0, s[34:35] scale_offset
	s_wait_xcnt 0x0
	s_and_saveexec_b32 s25, s24
	s_delay_alu instid0(SALU_CYCLE_1)
	s_xor_b32 s24, exec_lo, s25
	s_cbranch_execz .LBB82_15
; %bb.14:                               ;   in Loop: Header=BB82_9 Depth=1
	v_add_f32_e64 v1, |v7|, |v7|
	s_delay_alu instid0(VALU_DEP_1) | instskip(SKIP_1) | instid1(VALU_DEP_2)
	v_mul_f32_e32 v3, 0x3fb8aa3b, v1
	v_cmp_ngt_f32_e32 vcc_lo, 0xc2ce8ed0, v1
	v_rndne_f32_e32 v4, v3
	v_fma_f32 v5, 0x3fb8aa3b, v1, -v3
	s_delay_alu instid0(VALU_DEP_2) | instskip(NEXT) | instid1(VALU_DEP_2)
	v_sub_f32_e32 v3, v3, v4
	v_fmac_f32_e32 v5, 0x32a5705f, v1
	v_cvt_i32_f32_e32 v4, v4
	s_delay_alu instid0(VALU_DEP_2) | instskip(NEXT) | instid1(VALU_DEP_1)
	v_add_f32_e32 v3, v3, v5
	v_exp_f32_e32 v3, v3
	v_nop
	s_delay_alu instid0(TRANS32_DEP_1) | instskip(NEXT) | instid1(VALU_DEP_1)
	v_ldexp_f32 v3, v3, v4
	v_cndmask_b32_e32 v3, 0, v3, vcc_lo
	v_cmp_nlt_f32_e32 vcc_lo, 0x42b17218, v1
	s_delay_alu instid0(VALU_DEP_2) | instskip(NEXT) | instid1(VALU_DEP_1)
	v_cndmask_b32_e32 v1, 0x7f800000, v3, vcc_lo
	v_add_f32_e32 v1, 1.0, v1
	s_delay_alu instid0(VALU_DEP_1) | instskip(SKIP_1) | instid1(TRANS32_DEP_1)
	v_rcp_f32_e32 v1, v1
	v_nop
	v_fma_f32 v3, v1, -2.0, 1.0
.LBB82_15:                              ;   in Loop: Header=BB82_9 Depth=1
	s_and_not1_saveexec_b32 s24, s24
	s_cbranch_execz .LBB82_17
; %bb.16:                               ;   in Loop: Header=BB82_9 Depth=1
	v_mul_f32_e32 v1, v7, v7
	s_delay_alu instid0(VALU_DEP_1) | instskip(NEXT) | instid1(VALU_DEP_1)
	v_fmaak_f32 v3, s3, v1, 0x3ca908c9
	v_fmaak_f32 v3, v1, v3, 0xbd5c1c4e
	s_delay_alu instid0(VALU_DEP_1) | instskip(NEXT) | instid1(VALU_DEP_1)
	v_fmaak_f32 v3, v1, v3, 0x3e088382
	v_fmaak_f32 v3, v1, v3, 0xbeaaaa99
	s_delay_alu instid0(VALU_DEP_1) | instskip(NEXT) | instid1(VALU_DEP_1)
	v_mul_f32_e64 v3, |v7|, v3
	v_fma_f32 v3, v1, v3, |v7|
.LBB82_17:                              ;   in Loop: Header=BB82_9 Depth=1
	s_or_b32 exec_lo, exec_lo, s24
	v_ashrrev_i32_e32 v1, 31, v0
	v_cmp_ngt_f32_e64 s24, 0x3f200000, |v8|
                                        ; implicit-def: $vgpr4
	s_delay_alu instid0(VALU_DEP_2) | instskip(SKIP_3) | instid1(SALU_CYCLE_1)
	v_lshl_add_u64 v[0:1], v[0:1], 1, s[34:35]
	global_load_u16 v43, v[0:1], off offset:64
	s_wait_xcnt 0x0
	s_and_saveexec_b32 s25, s24
	s_xor_b32 s24, exec_lo, s25
	s_cbranch_execz .LBB82_19
; %bb.18:                               ;   in Loop: Header=BB82_9 Depth=1
	v_add_f32_e64 v4, |v8|, |v8|
	s_delay_alu instid0(VALU_DEP_1) | instskip(SKIP_1) | instid1(VALU_DEP_2)
	v_mul_f32_e32 v5, 0x3fb8aa3b, v4
	v_cmp_ngt_f32_e32 vcc_lo, 0xc2ce8ed0, v4
	v_rndne_f32_e32 v10, v5
	v_fma_f32 v11, 0x3fb8aa3b, v4, -v5
	s_delay_alu instid0(VALU_DEP_2) | instskip(NEXT) | instid1(VALU_DEP_2)
	v_sub_f32_e32 v5, v5, v10
	v_fmac_f32_e32 v11, 0x32a5705f, v4
	v_cvt_i32_f32_e32 v10, v10
	s_delay_alu instid0(VALU_DEP_2) | instskip(NEXT) | instid1(VALU_DEP_1)
	v_add_f32_e32 v5, v5, v11
	v_exp_f32_e32 v5, v5
	v_nop
	s_delay_alu instid0(TRANS32_DEP_1) | instskip(NEXT) | instid1(VALU_DEP_1)
	v_ldexp_f32 v5, v5, v10
	v_cndmask_b32_e32 v5, 0, v5, vcc_lo
	v_cmp_nlt_f32_e32 vcc_lo, 0x42b17218, v4
	s_delay_alu instid0(VALU_DEP_2) | instskip(NEXT) | instid1(VALU_DEP_1)
	v_cndmask_b32_e32 v4, 0x7f800000, v5, vcc_lo
	v_add_f32_e32 v4, 1.0, v4
	s_delay_alu instid0(VALU_DEP_1) | instskip(SKIP_1) | instid1(TRANS32_DEP_1)
	v_rcp_f32_e32 v4, v4
	v_nop
	v_fma_f32 v4, v4, -2.0, 1.0
.LBB82_19:                              ;   in Loop: Header=BB82_9 Depth=1
	s_and_not1_saveexec_b32 s24, s24
	s_cbranch_execz .LBB82_21
; %bb.20:                               ;   in Loop: Header=BB82_9 Depth=1
	v_mul_f32_e32 v4, v8, v8
	s_delay_alu instid0(VALU_DEP_1) | instskip(NEXT) | instid1(VALU_DEP_1)
	v_fmaak_f32 v5, s3, v4, 0x3ca908c9
	v_fmaak_f32 v5, v4, v5, 0xbd5c1c4e
	s_delay_alu instid0(VALU_DEP_1) | instskip(NEXT) | instid1(VALU_DEP_1)
	v_fmaak_f32 v5, v4, v5, 0x3e088382
	v_fmaak_f32 v5, v4, v5, 0xbeaaaa99
	s_delay_alu instid0(VALU_DEP_1) | instskip(NEXT) | instid1(VALU_DEP_1)
	v_mul_f32_e64 v5, |v8|, v5
	v_fma_f32 v4, v4, v5, |v8|
.LBB82_21:                              ;   in Loop: Header=BB82_9 Depth=1
	s_or_b32 exec_lo, exec_lo, s24
	global_load_u16 v46, v[0:1], off offset:128
	v_cmp_ngt_f32_e64 s24, 0x3f200000, |v9|
                                        ; implicit-def: $vgpr5
	s_wait_xcnt 0x0
	s_and_saveexec_b32 s25, s24
	s_delay_alu instid0(SALU_CYCLE_1)
	s_xor_b32 s24, exec_lo, s25
	s_cbranch_execz .LBB82_23
; %bb.22:                               ;   in Loop: Header=BB82_9 Depth=1
	v_add_f32_e64 v5, |v9|, |v9|
	s_delay_alu instid0(VALU_DEP_1) | instskip(SKIP_1) | instid1(VALU_DEP_2)
	v_mul_f32_e32 v10, 0x3fb8aa3b, v5
	v_cmp_ngt_f32_e32 vcc_lo, 0xc2ce8ed0, v5
	v_rndne_f32_e32 v11, v10
	v_fma_f32 v12, 0x3fb8aa3b, v5, -v10
	s_delay_alu instid0(VALU_DEP_2) | instskip(NEXT) | instid1(VALU_DEP_2)
	v_sub_f32_e32 v10, v10, v11
	v_fmac_f32_e32 v12, 0x32a5705f, v5
	v_cvt_i32_f32_e32 v11, v11
	s_delay_alu instid0(VALU_DEP_2) | instskip(NEXT) | instid1(VALU_DEP_1)
	v_add_f32_e32 v10, v10, v12
	v_exp_f32_e32 v10, v10
	v_nop
	s_delay_alu instid0(TRANS32_DEP_1) | instskip(NEXT) | instid1(VALU_DEP_1)
	v_ldexp_f32 v10, v10, v11
	v_cndmask_b32_e32 v10, 0, v10, vcc_lo
	v_cmp_nlt_f32_e32 vcc_lo, 0x42b17218, v5
	s_delay_alu instid0(VALU_DEP_2) | instskip(NEXT) | instid1(VALU_DEP_1)
	v_cndmask_b32_e32 v5, 0x7f800000, v10, vcc_lo
	v_add_f32_e32 v5, 1.0, v5
	s_delay_alu instid0(VALU_DEP_1) | instskip(SKIP_1) | instid1(TRANS32_DEP_1)
	v_rcp_f32_e32 v5, v5
	v_nop
	v_fma_f32 v5, v5, -2.0, 1.0
.LBB82_23:                              ;   in Loop: Header=BB82_9 Depth=1
	s_and_not1_saveexec_b32 s24, s24
	s_cbranch_execz .LBB82_25
; %bb.24:                               ;   in Loop: Header=BB82_9 Depth=1
	v_mul_f32_e32 v5, v9, v9
	s_delay_alu instid0(VALU_DEP_1) | instskip(NEXT) | instid1(VALU_DEP_1)
	v_fmaak_f32 v10, s3, v5, 0x3ca908c9
	v_fmaak_f32 v10, v5, v10, 0xbd5c1c4e
	s_delay_alu instid0(VALU_DEP_1) | instskip(NEXT) | instid1(VALU_DEP_1)
	v_fmaak_f32 v10, v5, v10, 0x3e088382
	v_fmaak_f32 v10, v5, v10, 0xbeaaaa99
	s_delay_alu instid0(VALU_DEP_1) | instskip(NEXT) | instid1(VALU_DEP_1)
	v_mul_f32_e64 v10, |v9|, v10
	v_fma_f32 v5, v5, v10, |v9|
.LBB82_25:                              ;   in Loop: Header=BB82_9 Depth=1
	s_or_b32 exec_lo, exec_lo, s24
	global_load_u16 v47, v[0:1], off offset:192
	s_wait_xcnt 0x0
	v_bfi_b32 v0, 0x7fffffff, v2, v6
	v_xor_b32_e32 v152, 16, v125
	v_bfi_b32 v1, 0x7fffffff, v3, v7
	v_bfi_b32 v2, 0x7fffffff, v5, v9
	v_xor_b32_e32 v148, 8, v125
	s_wait_loadcnt 0x3
	v_fma_mix_f32 v37, s29, v0, v42 op_sel_hi:[0,0,1]
	v_cmp_gt_i32_e32 vcc_lo, 32, v152
	s_wait_loadcnt 0x2
	v_fma_mix_f32 v38, s29, v1, v43 op_sel_hi:[0,0,1]
	v_bfi_b32 v0, 0x7fffffff, v4, v8
	v_xor_b32_e32 v151, 1, v125
	v_add_f32_e32 v1, 0x40051340, v37
	v_xor_b32_e32 v150, 2, v125
	v_xor_b32_e32 v149, 4, v125
	s_wait_loadcnt 0x1
	v_fma_mix_f32 v40, s29, v0, v46 op_sel_hi:[0,0,1]
	v_cmp_ngt_f32_e64 s24, 0x3f200000, |v57|
                                        ; implicit-def: $vgpr53
	s_wait_loadcnt 0x0
	v_fma_mix_f32 v41, s29, v2, v47 op_sel_hi:[0,0,1]
	v_cndmask_b32_e32 v2, v125, v152, vcc_lo
	v_cmp_gt_i32_e32 vcc_lo, 32, v148
	v_add_f32_e32 v3, 0x40051340, v38
	s_delay_alu instid0(VALU_DEP_3) | instskip(SKIP_1) | instid1(VALU_DEP_3)
	v_dual_lshlrev_b32 v48, 2, v2 :: v_dual_cndmask_b32 v2, v125, v148, vcc_lo
	v_cmp_gt_i32_e32 vcc_lo, 32, v149
	v_max3_num_f32 v0, v35, v1, v3
	v_add_f32_e32 v1, 0x40051340, v40
	s_delay_alu instid0(VALU_DEP_4) | instskip(SKIP_2) | instid1(VALU_DEP_3)
	v_dual_cndmask_b32 v2, v125, v149 :: v_dual_lshlrev_b32 v49, 2, v2
	v_add_f32_e32 v3, 0x40051340, v41
	v_cmp_gt_i32_e32 vcc_lo, 32, v150
	v_lshlrev_b32_e32 v50, 2, v2
	s_delay_alu instid0(VALU_DEP_3)
	v_max3_num_f32 v0, v0, v1, v3
	v_cndmask_b32_e32 v2, v125, v150, vcc_lo
	v_cmp_gt_i32_e32 vcc_lo, 32, v151
	ds_bpermute_b32 v1, v48, v0
	v_dual_cndmask_b32 v2, v125, v151 :: v_dual_lshlrev_b32 v39, 2, v2
	s_wait_dscnt 0x0
	s_delay_alu instid0(VALU_DEP_1) | instskip(NEXT) | instid1(VALU_DEP_1)
	v_dual_max_num_f32 v1, v1, v1 :: v_dual_lshlrev_b32 v36, 2, v2
	v_max_num_f32_e32 v0, v0, v1
	ds_bpermute_b32 v1, v49, v0
	s_wait_dscnt 0x0
	v_max_num_f32_e32 v1, v1, v1
	s_delay_alu instid0(VALU_DEP_1) | instskip(SKIP_3) | instid1(VALU_DEP_1)
	v_max_num_f32_e32 v0, v0, v1
	ds_bpermute_b32 v1, v50, v0
	s_wait_dscnt 0x0
	v_max_num_f32_e32 v1, v1, v1
	v_max_num_f32_e32 v0, v0, v1
	ds_bpermute_b32 v1, v39, v0
	s_wait_dscnt 0x0
	v_max_num_f32_e32 v1, v1, v1
	s_delay_alu instid0(VALU_DEP_1) | instskip(SKIP_2) | instid1(SALU_CYCLE_1)
	v_max_num_f32_e32 v51, v0, v1
	ds_bpermute_b32 v52, v36, v51
	s_and_saveexec_b32 s25, s24
	s_xor_b32 s24, exec_lo, s25
	s_cbranch_execz .LBB82_27
; %bb.26:                               ;   in Loop: Header=BB82_9 Depth=1
	v_add_f32_e64 v0, |v57|, |v57|
	s_delay_alu instid0(VALU_DEP_1) | instskip(SKIP_1) | instid1(VALU_DEP_2)
	v_mul_f32_e32 v1, 0x3fb8aa3b, v0
	v_cmp_ngt_f32_e32 vcc_lo, 0xc2ce8ed0, v0
	v_rndne_f32_e32 v2, v1
	v_fma_f32 v3, 0x3fb8aa3b, v0, -v1
	s_delay_alu instid0(VALU_DEP_2) | instskip(NEXT) | instid1(VALU_DEP_2)
	v_sub_f32_e32 v1, v1, v2
	v_fmac_f32_e32 v3, 0x32a5705f, v0
	v_cvt_i32_f32_e32 v2, v2
	s_delay_alu instid0(VALU_DEP_2) | instskip(NEXT) | instid1(VALU_DEP_1)
	v_add_f32_e32 v1, v1, v3
	v_exp_f32_e32 v1, v1
	v_nop
	s_delay_alu instid0(TRANS32_DEP_1) | instskip(NEXT) | instid1(VALU_DEP_1)
	v_ldexp_f32 v1, v1, v2
	v_cndmask_b32_e32 v1, 0, v1, vcc_lo
	v_cmp_nlt_f32_e32 vcc_lo, 0x42b17218, v0
	s_delay_alu instid0(VALU_DEP_2) | instskip(NEXT) | instid1(VALU_DEP_1)
	v_cndmask_b32_e32 v0, 0x7f800000, v1, vcc_lo
	v_add_f32_e32 v0, 1.0, v0
	s_delay_alu instid0(VALU_DEP_1) | instskip(SKIP_1) | instid1(TRANS32_DEP_1)
	v_rcp_f32_e32 v0, v0
	v_nop
	v_fma_f32 v53, v0, -2.0, 1.0
.LBB82_27:                              ;   in Loop: Header=BB82_9 Depth=1
	s_and_not1_saveexec_b32 s24, s24
	s_cbranch_execz .LBB82_29
; %bb.28:                               ;   in Loop: Header=BB82_9 Depth=1
	v_mul_f32_e32 v0, v57, v57
	s_delay_alu instid0(VALU_DEP_1) | instskip(NEXT) | instid1(VALU_DEP_1)
	v_fmaak_f32 v1, s3, v0, 0x3ca908c9
	v_fmaak_f32 v1, v0, v1, 0xbd5c1c4e
	s_delay_alu instid0(VALU_DEP_1) | instskip(NEXT) | instid1(VALU_DEP_1)
	v_fmaak_f32 v1, v0, v1, 0x3e088382
	v_fmaak_f32 v1, v0, v1, 0xbeaaaa99
	s_delay_alu instid0(VALU_DEP_1) | instskip(NEXT) | instid1(VALU_DEP_1)
	v_mul_f32_e64 v1, |v57|, v1
	v_fma_f32 v53, v0, v1, |v57|
.LBB82_29:                              ;   in Loop: Header=BB82_9 Depth=1
	s_or_b32 exec_lo, exec_lo, s24
	v_cmp_ngt_f32_e64 s24, 0x3f200000, |v58|
                                        ; implicit-def: $vgpr54
	s_and_saveexec_b32 s25, s24
	s_delay_alu instid0(SALU_CYCLE_1)
	s_xor_b32 s24, exec_lo, s25
	s_cbranch_execz .LBB82_31
; %bb.30:                               ;   in Loop: Header=BB82_9 Depth=1
	v_add_f32_e64 v0, |v58|, |v58|
	s_delay_alu instid0(VALU_DEP_1) | instskip(SKIP_1) | instid1(VALU_DEP_2)
	v_mul_f32_e32 v1, 0x3fb8aa3b, v0
	v_cmp_ngt_f32_e32 vcc_lo, 0xc2ce8ed0, v0
	v_rndne_f32_e32 v2, v1
	v_fma_f32 v3, 0x3fb8aa3b, v0, -v1
	s_delay_alu instid0(VALU_DEP_2) | instskip(NEXT) | instid1(VALU_DEP_2)
	v_sub_f32_e32 v1, v1, v2
	v_fmac_f32_e32 v3, 0x32a5705f, v0
	v_cvt_i32_f32_e32 v2, v2
	s_delay_alu instid0(VALU_DEP_2) | instskip(NEXT) | instid1(VALU_DEP_1)
	v_add_f32_e32 v1, v1, v3
	v_exp_f32_e32 v1, v1
	v_nop
	s_delay_alu instid0(TRANS32_DEP_1) | instskip(NEXT) | instid1(VALU_DEP_1)
	v_ldexp_f32 v1, v1, v2
	v_cndmask_b32_e32 v1, 0, v1, vcc_lo
	v_cmp_nlt_f32_e32 vcc_lo, 0x42b17218, v0
	s_delay_alu instid0(VALU_DEP_2) | instskip(NEXT) | instid1(VALU_DEP_1)
	v_cndmask_b32_e32 v0, 0x7f800000, v1, vcc_lo
	v_add_f32_e32 v0, 1.0, v0
	s_delay_alu instid0(VALU_DEP_1) | instskip(SKIP_1) | instid1(TRANS32_DEP_1)
	v_rcp_f32_e32 v0, v0
	v_nop
	v_fma_f32 v54, v0, -2.0, 1.0
.LBB82_31:                              ;   in Loop: Header=BB82_9 Depth=1
	s_and_not1_saveexec_b32 s24, s24
	s_cbranch_execz .LBB82_33
; %bb.32:                               ;   in Loop: Header=BB82_9 Depth=1
	v_mul_f32_e32 v0, v58, v58
	s_delay_alu instid0(VALU_DEP_1) | instskip(NEXT) | instid1(VALU_DEP_1)
	v_fmaak_f32 v1, s3, v0, 0x3ca908c9
	v_fmaak_f32 v1, v0, v1, 0xbd5c1c4e
	s_delay_alu instid0(VALU_DEP_1) | instskip(NEXT) | instid1(VALU_DEP_1)
	v_fmaak_f32 v1, v0, v1, 0x3e088382
	v_fmaak_f32 v1, v0, v1, 0xbeaaaa99
	s_delay_alu instid0(VALU_DEP_1) | instskip(NEXT) | instid1(VALU_DEP_1)
	v_mul_f32_e64 v1, |v58|, v1
	v_fma_f32 v54, v0, v1, |v58|
.LBB82_33:                              ;   in Loop: Header=BB82_9 Depth=1
	s_or_b32 exec_lo, exec_lo, s24
	v_cmp_ngt_f32_e64 s24, 0x3f200000, |v59|
                                        ; implicit-def: $vgpr55
	s_and_saveexec_b32 s25, s24
	s_delay_alu instid0(SALU_CYCLE_1)
	s_xor_b32 s24, exec_lo, s25
	s_cbranch_execz .LBB82_35
; %bb.34:                               ;   in Loop: Header=BB82_9 Depth=1
	v_add_f32_e64 v0, |v59|, |v59|
	s_delay_alu instid0(VALU_DEP_1) | instskip(SKIP_1) | instid1(VALU_DEP_2)
	v_mul_f32_e32 v1, 0x3fb8aa3b, v0
	v_cmp_ngt_f32_e32 vcc_lo, 0xc2ce8ed0, v0
	v_rndne_f32_e32 v2, v1
	v_fma_f32 v3, 0x3fb8aa3b, v0, -v1
	s_delay_alu instid0(VALU_DEP_2) | instskip(NEXT) | instid1(VALU_DEP_2)
	v_sub_f32_e32 v1, v1, v2
	v_fmac_f32_e32 v3, 0x32a5705f, v0
	v_cvt_i32_f32_e32 v2, v2
	s_delay_alu instid0(VALU_DEP_2) | instskip(NEXT) | instid1(VALU_DEP_1)
	v_add_f32_e32 v1, v1, v3
	v_exp_f32_e32 v1, v1
	v_nop
	s_delay_alu instid0(TRANS32_DEP_1) | instskip(NEXT) | instid1(VALU_DEP_1)
	v_ldexp_f32 v1, v1, v2
	v_cndmask_b32_e32 v1, 0, v1, vcc_lo
	v_cmp_nlt_f32_e32 vcc_lo, 0x42b17218, v0
	s_delay_alu instid0(VALU_DEP_2) | instskip(NEXT) | instid1(VALU_DEP_1)
	v_cndmask_b32_e32 v0, 0x7f800000, v1, vcc_lo
	v_add_f32_e32 v0, 1.0, v0
	s_delay_alu instid0(VALU_DEP_1) | instskip(SKIP_1) | instid1(TRANS32_DEP_1)
	v_rcp_f32_e32 v0, v0
	v_nop
	v_fma_f32 v55, v0, -2.0, 1.0
.LBB82_35:                              ;   in Loop: Header=BB82_9 Depth=1
	s_and_not1_saveexec_b32 s24, s24
	s_cbranch_execz .LBB82_37
; %bb.36:                               ;   in Loop: Header=BB82_9 Depth=1
	v_mul_f32_e32 v0, v59, v59
	s_delay_alu instid0(VALU_DEP_1) | instskip(NEXT) | instid1(VALU_DEP_1)
	v_fmaak_f32 v1, s3, v0, 0x3ca908c9
	v_fmaak_f32 v1, v0, v1, 0xbd5c1c4e
	s_delay_alu instid0(VALU_DEP_1) | instskip(NEXT) | instid1(VALU_DEP_1)
	v_fmaak_f32 v1, v0, v1, 0x3e088382
	v_fmaak_f32 v1, v0, v1, 0xbeaaaa99
	s_delay_alu instid0(VALU_DEP_1) | instskip(NEXT) | instid1(VALU_DEP_1)
	v_mul_f32_e64 v1, |v59|, v1
	v_fma_f32 v55, v0, v1, |v59|
.LBB82_37:                              ;   in Loop: Header=BB82_9 Depth=1
	s_or_b32 exec_lo, exec_lo, s24
	v_cmp_ngt_f32_e64 s24, 0x3f200000, |v60|
                                        ; implicit-def: $vgpr56
	s_and_saveexec_b32 s25, s24
	s_delay_alu instid0(SALU_CYCLE_1)
	s_xor_b32 s24, exec_lo, s25
	s_cbranch_execz .LBB82_39
; %bb.38:                               ;   in Loop: Header=BB82_9 Depth=1
	v_add_f32_e64 v0, |v60|, |v60|
	s_delay_alu instid0(VALU_DEP_1) | instskip(SKIP_1) | instid1(VALU_DEP_2)
	v_mul_f32_e32 v1, 0x3fb8aa3b, v0
	v_cmp_ngt_f32_e32 vcc_lo, 0xc2ce8ed0, v0
	v_rndne_f32_e32 v2, v1
	v_fma_f32 v3, 0x3fb8aa3b, v0, -v1
	s_delay_alu instid0(VALU_DEP_2) | instskip(NEXT) | instid1(VALU_DEP_2)
	v_sub_f32_e32 v1, v1, v2
	v_fmac_f32_e32 v3, 0x32a5705f, v0
	v_cvt_i32_f32_e32 v2, v2
	s_delay_alu instid0(VALU_DEP_2) | instskip(NEXT) | instid1(VALU_DEP_1)
	v_add_f32_e32 v1, v1, v3
	v_exp_f32_e32 v1, v1
	v_nop
	s_delay_alu instid0(TRANS32_DEP_1) | instskip(NEXT) | instid1(VALU_DEP_1)
	v_ldexp_f32 v1, v1, v2
	v_cndmask_b32_e32 v1, 0, v1, vcc_lo
	v_cmp_nlt_f32_e32 vcc_lo, 0x42b17218, v0
	s_delay_alu instid0(VALU_DEP_2) | instskip(NEXT) | instid1(VALU_DEP_1)
	v_cndmask_b32_e32 v0, 0x7f800000, v1, vcc_lo
	v_add_f32_e32 v0, 1.0, v0
	s_delay_alu instid0(VALU_DEP_1) | instskip(SKIP_1) | instid1(TRANS32_DEP_1)
	v_rcp_f32_e32 v0, v0
	v_nop
	v_fma_f32 v56, v0, -2.0, 1.0
.LBB82_39:                              ;   in Loop: Header=BB82_9 Depth=1
	s_and_not1_saveexec_b32 s24, s24
	s_cbranch_execz .LBB82_41
; %bb.40:                               ;   in Loop: Header=BB82_9 Depth=1
	v_mul_f32_e32 v0, v60, v60
	s_delay_alu instid0(VALU_DEP_1) | instskip(NEXT) | instid1(VALU_DEP_1)
	v_fmaak_f32 v1, s3, v0, 0x3ca908c9
	v_fmaak_f32 v1, v0, v1, 0xbd5c1c4e
	s_delay_alu instid0(VALU_DEP_1) | instskip(NEXT) | instid1(VALU_DEP_1)
	v_fmaak_f32 v1, v0, v1, 0x3e088382
	v_fmaak_f32 v1, v0, v1, 0xbeaaaa99
	s_delay_alu instid0(VALU_DEP_1) | instskip(NEXT) | instid1(VALU_DEP_1)
	v_mul_f32_e64 v1, |v60|, v1
	v_fma_f32 v56, v0, v1, |v60|
.LBB82_41:                              ;   in Loop: Header=BB82_9 Depth=1
	s_or_b32 exec_lo, exec_lo, s24
	s_mul_u64 s[24:25], s[4:5], s[10:11]
	s_wait_dscnt 0x0
	s_lshl_b64 s[24:25], s[24:25], 2
	s_barrier_signal -1
	s_add_nc_u64 s[24:25], s[8:9], s[24:25]
	s_barrier_wait -1
	v_lshl_add_u64 v[0:1], v[86:87], 2, s[24:25]
	v_lshl_add_u64 v[2:3], v[94:95], 2, s[24:25]
	;; [unrolled: 1-line block ×5, first 2 shown]
	v_add_nc_u64_e32 v[44:45], v[0:1], v[84:85]
	v_lshl_add_u64 v[0:1], v[102:103], 2, s[24:25]
	v_add_nc_u64_e32 v[62:63], v[2:3], v[84:85]
	v_lshl_add_u64 v[2:3], v[104:105], 2, s[24:25]
	;; [unrolled: 2-line block ×3, first 2 shown]
	v_add_nc_u64_e32 v[66:67], v[0:1], v[84:85]
	v_add_nc_u64_e32 v[72:73], v[6:7], v[84:85]
	;; [unrolled: 1-line block ×3, first 2 shown]
	s_delay_alu instid0(VALU_DEP_4)
	v_add_nc_u64_e32 v[70:71], v[4:5], v[84:85]
	v_add_nc_u64_e32 v[74:75], v[8:9], v[84:85]
	s_clause 0x7
	global_load_b128 v[0:3], v[44:45], off
	global_load_b128 v[4:7], v[62:63], off
	;; [unrolled: 1-line block ×8, first 2 shown]
	s_wait_xcnt 0x7
	v_cvt_f32_f16_e32 v44, v42
	v_cvt_f32_f16_e32 v45, v43
	v_bfi_b32 v42, 0x7fffffff, v53, v57
	v_bfi_b32 v43, 0x7fffffff, v54, v58
	v_cvt_f32_f16_e32 v46, v46
	v_cvt_f32_f16_e32 v47, v47
	v_bfi_b32 v53, 0x7fffffff, v55, v59
	v_bfi_b32 v54, 0x7fffffff, v56, v60
	v_dual_fmac_f32 v44, s29, v42 :: v_dual_fmac_f32 v45, s29, v43
	s_delay_alu instid0(VALU_DEP_2) | instskip(NEXT) | instid1(VALU_DEP_2)
	v_dual_fmac_f32 v46, s29, v53 :: v_dual_fmac_f32 v47, s29, v54
	v_dual_add_f32 v42, 0x40051340, v44 :: v_dual_add_f32 v43, 0x40051340, v45
	s_delay_alu instid0(VALU_DEP_2) | instskip(NEXT) | instid1(VALU_DEP_2)
	v_dual_add_f32 v53, 0x40051340, v46 :: v_dual_add_f32 v54, 0x40051340, v47
	v_max3_num_f32 v42, v34, v42, v43
	s_delay_alu instid0(VALU_DEP_1) | instskip(SKIP_3) | instid1(VALU_DEP_1)
	v_max3_num_f32 v42, v42, v53, v54
	ds_bpermute_b32 v43, v48, v42
	s_wait_dscnt 0x0
	v_max_num_f32_e32 v43, v43, v43
	v_max_num_f32_e32 v42, v42, v43
	ds_bpermute_b32 v43, v49, v42
	s_wait_dscnt 0x0
	v_max_num_f32_e32 v43, v43, v43
	s_delay_alu instid0(VALU_DEP_1) | instskip(SKIP_3) | instid1(VALU_DEP_1)
	v_dual_max_num_f32 v48, v42, v43 :: v_dual_max_num_f32 v43, v52, v52
	v_add_nc_u32_e32 v42, v138, v122
	ds_bpermute_b32 v49, v50, v48
	v_max_num_f32_e32 v50, v51, v51
	v_max_num_f32_e32 v112, v50, v43
	s_delay_alu instid0(VALU_DEP_1) | instskip(NEXT) | instid1(VALU_DEP_1)
	v_sub_f32_e32 v37, v37, v112
	v_mul_f32_e32 v51, 0x3fb8aa3b, v37
	v_dual_sub_f32 v38, v38, v112 :: v_dual_add_nc_u32 v43, 0x800, v123
	v_dual_sub_f32 v40, v40, v112 :: v_dual_add_nc_u32 v153, 0x2000, v123
	;; [unrolled: 1-line block ×3, first 2 shown]
	s_delay_alu instid0(VALU_DEP_3) | instskip(SKIP_1) | instid1(VALU_DEP_3)
	v_mul_f32_e32 v52, 0x3fb8aa3b, v38
	v_dual_sub_f32 v35, v35, v112 :: v_dual_add_nc_u32 v154, 0x1800, v123
	v_dual_mul_f32 v53, 0x3fb8aa3b, v40 :: v_dual_mul_f32 v54, 0x3fb8aa3b, v41
	s_delay_alu instid0(VALU_DEP_3)
	v_fma_f32 v58, 0x3fb8aa3b, v38, -v52
	s_wait_dscnt 0x0
	v_max_num_f32_e32 v49, v49, v49
	v_mul_f32_e32 v55, 0x3fb8aa3b, v35
	v_fma_f32 v59, 0x3fb8aa3b, v40, -v53
	v_fma_f32 v56, 0x3fb8aa3b, v37, -v51
	v_fmac_f32_e32 v58, 0x32a5705f, v38
	v_max_num_f32_e32 v48, v48, v49
	v_rndne_f32_e32 v49, v52
	v_fmac_f32_e32 v59, 0x32a5705f, v40
	s_wait_xcnt 0x6
	v_fma_f32 v63, 0x3fb8aa3b, v35, -v55
	s_wait_xcnt 0x5
	v_rndne_f32_e32 v64, v55
	ds_bpermute_b32 v39, v39, v48
	v_rndne_f32_e32 v57, v51
	v_rndne_f32_e32 v60, v53
	v_fma_f32 v61, 0x3fb8aa3b, v41, -v54
	v_rndne_f32_e32 v62, v54
	v_dual_fmac_f32 v56, 0x32a5705f, v37 :: v_dual_fmac_f32 v63, 0x32a5705f, v35
	v_dual_sub_f32 v52, v52, v49 :: v_dual_sub_f32 v55, v55, v64
	v_dual_sub_f32 v51, v51, v57 :: v_dual_sub_f32 v53, v53, v60
	s_delay_alu instid0(VALU_DEP_4) | instskip(NEXT) | instid1(VALU_DEP_3)
	v_dual_fmac_f32 v61, 0x32a5705f, v41 :: v_dual_sub_f32 v54, v54, v62
	v_dual_add_f32 v55, v55, v63 :: v_dual_add_f32 v52, v52, v58
	s_delay_alu instid0(VALU_DEP_3) | instskip(NEXT) | instid1(VALU_DEP_3)
	v_dual_add_f32 v51, v51, v56 :: v_dual_add_f32 v53, v53, v59
	v_add_f32_e32 v54, v54, v61
	s_delay_alu instid0(VALU_DEP_3)
	v_exp_f32_e32 v55, v55
	v_cvt_i32_f32_e32 v64, v64
	s_wait_dscnt 0x0
	v_max_num_f32_e32 v39, v39, v39
	v_cvt_i32_f32_e32 v57, v57
	v_cvt_i32_f32_e32 v49, v49
	;; [unrolled: 1-line block ×3, first 2 shown]
	v_cmp_ngt_f32_e32 vcc_lo, 0xc2ce8ed0, v35
	v_max_num_f32_e32 v39, v48, v39
	v_exp_f32_e32 v48, v51
	v_exp_f32_e32 v51, v52
	;; [unrolled: 1-line block ×4, first 2 shown]
	v_nop
	v_cvt_i32_f32_e32 v54, v62
	v_ldexp_f32 v55, v55, v64
	v_ldexp_f32 v48, v48, v57
	;; [unrolled: 1-line block ×5, first 2 shown]
	v_cndmask_b32_e32 v53, 0, v55, vcc_lo
	v_cmp_ngt_f32_e32 vcc_lo, 0xc2ce8ed0, v37
	v_cndmask_b32_e32 v48, 0, v48, vcc_lo
	v_cmp_ngt_f32_e32 vcc_lo, 0xc2ce8ed0, v38
	ds_bpermute_b32 v36, v36, v39
	v_cndmask_b32_e32 v49, 0, v49, vcc_lo
	v_cmp_nlt_f32_e32 vcc_lo, 0x42b17218, v35
	v_cndmask_b32_e32 v114, 0x7f800000, v53, vcc_lo
	v_cmp_ngt_f32_e32 vcc_lo, 0xc2ce8ed0, v40
	v_cndmask_b32_e32 v35, 0, v51, vcc_lo
	v_cmp_ngt_f32_e32 vcc_lo, 0xc2ce8ed0, v41
	s_wait_dscnt 0x0
	v_max_num_f32_e32 v53, v36, v36
	v_cndmask_b32_e32 v51, 0, v52, vcc_lo
	v_cmp_nlt_f32_e32 vcc_lo, 0x42b17218, v37
	v_cvt_f16_f32_e32 v52, v114
	s_delay_alu instid0(VALU_DEP_4) | instskip(SKIP_1) | instid1(VALU_DEP_3)
	v_dual_max_num_f32 v113, v39, v53 :: v_dual_cndmask_b32 v36, 0x7f800000, v48
	v_cmp_nlt_f32_e32 vcc_lo, 0x42b17218, v38
	v_and_b32_e32 v37, 0xffff, v52
	s_delay_alu instid0(VALU_DEP_3) | instskip(SKIP_2) | instid1(VALU_DEP_4)
	v_sub_f32_e32 v39, v45, v113
	v_cndmask_b32_e32 v38, 0x7f800000, v49, vcc_lo
	v_cmp_nlt_f32_e32 vcc_lo, 0x42b17218, v40
	v_mul_u32_u24_e32 v155, 0x10001, v37
	v_dual_cndmask_b32 v40, 0x7f800000, v35 :: v_dual_sub_f32 v35, v44, v113
	v_cmp_nlt_f32_e32 vcc_lo, 0x42b17218, v41
	v_dual_sub_f32 v41, v46, v113 :: v_dual_sub_f32 v44, v47, v113
	s_delay_alu instid0(VALU_DEP_3) | instskip(SKIP_1) | instid1(VALU_DEP_3)
	v_dual_sub_f32 v34, v34, v113 :: v_dual_mul_f32 v37, 0x3fb8aa3b, v35
	v_cndmask_b32_e32 v116, 0x7f800000, v51, vcc_lo
	v_dual_mul_f32 v45, 0x3fb8aa3b, v39 :: v_dual_mul_f32 v46, 0x3fb8aa3b, v41
	s_delay_alu instid0(VALU_DEP_3) | instskip(NEXT) | instid1(VALU_DEP_4)
	v_dual_mul_f32 v47, 0x3fb8aa3b, v44 :: v_dual_mul_f32 v48, 0x3fb8aa3b, v34
	v_fma_f32 v49, 0x3fb8aa3b, v35, -v37
	v_rndne_f32_e32 v51, v37
	s_delay_alu instid0(VALU_DEP_4)
	v_fma_f32 v54, 0x3fb8aa3b, v41, -v46
	v_fma_f32 v52, 0x3fb8aa3b, v39, -v45
	;; [unrolled: 1-line block ×3, first 2 shown]
	v_rndne_f32_e32 v59, v48
	v_rndne_f32_e32 v53, v45
	;; [unrolled: 1-line block ×4, first 2 shown]
	v_dual_fmac_f32 v49, 0x32a5705f, v35 :: v_dual_fmac_f32 v54, 0x32a5705f, v41
	v_dual_sub_f32 v37, v37, v51 :: v_dual_fmac_f32 v58, 0x32a5705f, v34
	v_sub_f32_e32 v48, v48, v59
	v_fma_f32 v56, 0x3fb8aa3b, v44, -v47
	v_dual_fmac_f32 v52, 0x32a5705f, v39 :: v_dual_sub_f32 v45, v45, v53
	v_sub_f32_e32 v47, v47, v57
	v_dual_add_f32 v37, v37, v49 :: v_dual_sub_f32 v46, v46, v55
	s_delay_alu instid0(VALU_DEP_3) | instskip(SKIP_1) | instid1(VALU_DEP_3)
	v_dual_add_f32 v48, v48, v58 :: v_dual_add_f32 v45, v45, v52
	v_cvt_i32_f32_e32 v59, v59
	v_exp_f32_e32 v37, v37
	s_delay_alu instid0(VALU_DEP_3) | instskip(NEXT) | instid1(VALU_DEP_3)
	v_add_f32_e32 v46, v46, v54
	v_exp_f32_e32 v48, v48
	v_cvt_i32_f32_e32 v51, v51
	v_cvt_i32_f32_e32 v49, v55
	v_cmp_ngt_f32_e32 vcc_lo, 0xc2ce8ed0, v34
	v_exp_f32_e32 v46, v46
	v_exp_f32_e32 v45, v45
	v_cvt_i32_f32_e32 v53, v53
	v_ldexp_f32 v48, v48, v59
	v_ldexp_f32 v37, v37, v51
	v_cvt_i32_f32_e32 v52, v57
	v_pk_mul_f16 v185, v33, v155
	v_ldexp_f32 v46, v46, v49
	v_cndmask_b32_e32 v48, 0, v48, vcc_lo
	v_cmp_ngt_f32_e32 vcc_lo, 0xc2ce8ed0, v35
	v_fmac_f32_e32 v56, 0x32a5705f, v44
	v_ldexp_f32 v45, v45, v53
	v_cndmask_b32_e32 v37, 0, v37, vcc_lo
	v_cmp_ngt_f32_e32 vcc_lo, 0xc2ce8ed0, v39
	s_delay_alu instid0(VALU_DEP_3) | instskip(NEXT) | instid1(VALU_DEP_1)
	v_dual_add_f32 v47, v47, v56 :: v_dual_cndmask_b32 v45, 0, v45, vcc_lo
	v_exp_f32_e32 v47, v47
	v_cmp_ngt_f32_e32 vcc_lo, 0xc2ce8ed0, v41
	v_cndmask_b32_e32 v46, 0, v46, vcc_lo
	s_delay_alu instid0(TRANS32_DEP_1) | instskip(SKIP_1) | instid1(VALU_DEP_2)
	v_ldexp_f32 v47, v47, v52
	v_cmp_ngt_f32_e32 vcc_lo, 0xc2ce8ed0, v44
	v_cndmask_b32_e32 v47, 0, v47, vcc_lo
	v_cmp_nlt_f32_e32 vcc_lo, 0x42b17218, v34
	v_cndmask_b32_e32 v115, 0x7f800000, v48, vcc_lo
	v_cmp_nlt_f32_e32 vcc_lo, 0x42b17218, v35
	s_delay_alu instid0(VALU_DEP_2)
	v_cvt_f16_f32_e32 v34, v115
	v_cndmask_b32_e32 v37, 0x7f800000, v37, vcc_lo
	v_cmp_nlt_f32_e32 vcc_lo, 0x42b17218, v39
	v_cndmask_b32_e32 v39, 0x7f800000, v45, vcc_lo
	v_cmp_nlt_f32_e32 vcc_lo, 0x42b17218, v41
	v_and_b32_e32 v45, 0xffff, v34
	s_delay_alu instid0(VALU_DEP_3)
	v_pk_add_f32 v[34:35], v[36:37], v[38:39]
	v_cndmask_b32_e32 v41, 0x7f800000, v46, vcc_lo
	v_cmp_nlt_f32_e32 vcc_lo, 0x42b17218, v44
	v_cvt_pk_f16_f32 v44, v36, v37
	v_cvt_pk_f16_f32 v46, v38, v39
	v_mul_u32_u24_e32 v184, 0x10001, v45
	v_pk_add_f32 v[118:119], v[40:41], v[34:35]
	v_cndmask_b32_e32 v117, 0x7f800000, v47, vcc_lo
	v_cvt_pk_f16_f32 v47, v40, v41
	s_delay_alu instid0(VALU_DEP_4) | instskip(NEXT) | instid1(VALU_DEP_3)
	v_pk_mul_f16 v186, v32, v184
	v_cvt_pk_f16_f32 v48, v116, v117
	ds_store_2addr_b32 v42, v44, v46 offset1:32
	ds_store_2addr_b32 v42, v47, v48 offset0:64 offset1:96
	s_wait_loadcnt 0x7
	ds_store_b128 v136, v[0:3]
	s_wait_loadcnt 0x6
	ds_store_b128 v139, v[4:7]
	;; [unrolled: 2-line block ×8, first 2 shown]
	s_wait_dscnt 0x0
	s_barrier_signal -1
	s_barrier_wait -1
	ds_load_2addr_b64 v[52:55], v123 offset1:32
	ds_load_2addr_b64 v[36:39], v123 offset0:64 offset1:96
	ds_load_2addr_b64 v[32:35], v123 offset0:128 offset1:160
	ds_load_b128 v[156:159], v138
	ds_load_b128 v[72:75], v138 offset:16
	ds_load_2addr_b64 v[28:31], v123 offset0:192 offset1:224
	ds_load_2addr_b64 v[24:27], v43 offset1:32
	ds_load_2addr_b64 v[20:23], v43 offset0:64 offset1:96
	ds_load_2addr_b64 v[16:19], v43 offset0:128 offset1:160
	ds_load_b128 v[68:71], v138 offset:32
	ds_load_b128 v[64:67], v138 offset:48
	ds_load_2addr_b64 v[12:15], v43 offset0:192 offset1:224
	ds_load_2addr_b64 v[4:7], v50 offset1:32
	ds_load_2addr_b64 v[8:11], v50 offset0:64 offset1:96
	ds_load_2addr_b64 v[0:3], v50 offset0:128 offset1:160
	ds_load_b128 v[160:163], v138 offset:64
	ds_load_b128 v[164:167], v138 offset:80
	ds_load_2addr_b64 v[44:47], v50 offset0:192 offset1:224
	ds_load_2addr_b64 v[40:43], v154 offset1:32
	ds_load_2addr_b64 v[48:51], v154 offset0:64 offset1:96
	ds_load_b128 v[168:171], v138 offset:96
	ds_load_b128 v[172:175], v138 offset:112
	ds_load_2addr_b64 v[56:59], v154 offset0:128 offset1:160
	ds_load_b128 v[60:63], v138 offset:128
	ds_load_2addr_b64 v[176:179], v154 offset0:192 offset1:224
	ds_load_2addr_b64 v[180:183], v153 offset1:32
	s_wait_dscnt 0x16
	v_and_b32_e32 v154, 0xffff, v156
	v_dual_lshrrev_b32 v156, 16, v156 :: v_dual_lshrrev_b32 v187, 16, v157
	v_lshrrev_b32_e32 v189, 16, v159
	v_and_b32_e32 v157, 0xffff, v157
	s_delay_alu instid0(VALU_DEP_4) | instskip(NEXT) | instid1(VALU_DEP_4)
	v_mul_u32_u24_e32 v154, 0x10001, v154
	v_mul_u32_u24_e32 v156, 0x10001, v156
	s_wait_dscnt 0x10
	v_lshrrev_b32_e32 v194, 16, v68
	v_and_b32_e32 v195, 0xffff, v68
	v_lshrrev_b32_e32 v188, 16, v158
	v_pk_mul_f16 v68, v52, v154
	v_pk_mul_f16 v52, v52, v156
	v_and_b32_e32 v158, 0xffff, v158
	v_pk_fma_f16 v154, v53, v154, v185
	v_pk_fma_f16 v53, v53, v156, v186
	;; [unrolled: 1-line block ×4, first 2 shown]
	v_mul_u32_u24_e32 v146, 0x10001, v157
	v_mul_u32_u24_e32 v157, 0x10001, v187
	v_and_b32_e32 v159, 0xffff, v159
	v_lshrrev_b32_e32 v190, 16, v72
	v_and_b32_e32 v72, 0xffff, v72
	v_pk_fma_f16 v154, v55, v146, v154
	v_pk_fma_f16 v146, v54, v146, v147
	;; [unrolled: 1-line block ×3, first 2 shown]
	v_mul_u32_u24_e32 v55, 0x10001, v158
	s_wait_dscnt 0x2
	v_dual_lshrrev_b32 v155, 16, v60 :: v_dual_lshrrev_b32 v147, 16, v61
	v_pk_fma_f16 v52, v54, v157, v52
	v_and_b32_e32 v54, 0xffff, v61
	v_mul_u32_u24_e32 v61, 0x10001, v188
	v_mul_u32_u24_e32 v156, 0x10001, v159
	v_pk_fma_f16 v146, v36, v55, v146
	v_and_b32_e32 v191, 0xffff, v73
	v_mul_u32_u24_e32 v157, 0x10001, v189
	v_mul_u32_u24_e32 v72, 0x10001, v72
	v_pk_fma_f16 v55, v37, v55, v154
	v_pk_fma_f16 v36, v36, v61, v52
	;; [unrolled: 1-line block ×4, first 2 shown]
	v_dual_lshrrev_b32 v73, 16, v73 :: v_dual_lshrrev_b32 v193, 16, v75
	v_and_b32_e32 v192, 0xffff, v74
	v_mul_u32_u24_e32 v158, 0x10001, v190
	v_mul_u32_u24_e32 v159, 0x10001, v191
	v_pk_fma_f16 v55, v39, v156, v55
	v_pk_fma_f16 v36, v38, v157, v36
	;; [unrolled: 1-line block ×4, first 2 shown]
	v_lshrrev_b32_e32 v74, 16, v74
	v_and_b32_e32 v75, 0xffff, v75
	v_mul_u32_u24_e32 v73, 0x10001, v73
	v_mul_u32_u24_e32 v184, 0x10001, v192
	v_pk_fma_f16 v52, v33, v72, v55
	v_pk_fma_f16 v32, v32, v158, v36
	;; [unrolled: 1-line block ×4, first 2 shown]
	v_mul_u32_u24_e32 v74, 0x10001, v74
	v_mul_u32_u24_e32 v75, 0x10001, v75
	v_pk_fma_f16 v38, v35, v159, v52
	v_pk_fma_f16 v32, v34, v73, v32
	v_pk_fma_f16 v33, v35, v73, v33
	v_pk_fma_f16 v34, v28, v184, v36
	v_and_b32_e32 v197, 0xffff, v69
	v_mul_u32_u24_e32 v185, 0x10001, v193
	v_mul_u32_u24_e32 v186, 0x10001, v195
	v_pk_fma_f16 v36, v29, v184, v38
	v_pk_fma_f16 v28, v28, v74, v32
	;; [unrolled: 1-line block ×4, first 2 shown]
	v_lshrrev_b32_e32 v196, 16, v69
	v_and_b32_e32 v199, 0xffff, v70
	v_mul_u32_u24_e32 v187, 0x10001, v194
	v_mul_u32_u24_e32 v188, 0x10001, v197
	v_pk_fma_f16 v34, v31, v75, v36
	v_pk_fma_f16 v28, v30, v185, v28
	v_pk_fma_f16 v29, v31, v185, v29
	v_pk_fma_f16 v30, v24, v186, v32
	v_dual_lshrrev_b32 v198, 16, v70 :: v_dual_lshrrev_b32 v200, 16, v71
	v_and_b32_e32 v201, 0xffff, v71
	v_mul_u32_u24_e32 v189, 0x10001, v196
	v_mul_u32_u24_e32 v190, 0x10001, v199
	v_pk_fma_f16 v32, v25, v186, v34
	v_pk_fma_f16 v24, v24, v187, v28
	v_pk_fma_f16 v25, v25, v187, v29
	v_pk_fma_f16 v28, v26, v188, v30
	v_and_b32_e32 v203, 0xffff, v64
	v_mul_u32_u24_e32 v191, 0x10001, v198
	v_mul_u32_u24_e32 v192, 0x10001, v201
	v_pk_fma_f16 v30, v27, v188, v32
	v_pk_fma_f16 v24, v26, v189, v24
	v_pk_fma_f16 v25, v27, v189, v25
	v_pk_fma_f16 v26, v20, v190, v28
	v_dual_lshrrev_b32 v202, 16, v64 :: v_dual_lshrrev_b32 v204, 16, v65
	v_and_b32_e32 v205, 0xffff, v65
	v_mul_u32_u24_e32 v193, 0x10001, v200
	v_mul_u32_u24_e32 v194, 0x10001, v203
	v_pk_fma_f16 v28, v21, v190, v30
	v_pk_fma_f16 v20, v20, v191, v24
	v_pk_fma_f16 v21, v21, v191, v25
	v_pk_fma_f16 v24, v22, v192, v26
	;; [unrolled: 15-line block ×3, first 2 shown]
	v_dual_lshrrev_b32 v210, 16, v160 :: v_dual_lshrrev_b32 v211, 16, v161
	v_and_b32_e32 v160, 0xffff, v160
	v_mul_u32_u24_e32 v199, 0x10001, v206
	v_mul_u32_u24_e32 v200, 0x10001, v209
	v_pk_fma_f16 v22, v19, v196, v24
	v_pk_fma_f16 v16, v18, v197, v16
	v_pk_fma_f16 v17, v19, v197, v17
	v_pk_fma_f16 v18, v12, v198, v20
	v_and_b32_e32 v161, 0xffff, v161
	v_mul_u32_u24_e32 v201, 0x10001, v208
	v_mul_u32_u24_e32 v160, 0x10001, v160
	v_pk_fma_f16 v20, v13, v198, v22
	v_pk_fma_f16 v12, v12, v199, v16
	v_pk_fma_f16 v13, v13, v199, v17
	v_pk_fma_f16 v16, v14, v200, v18
	v_dual_lshrrev_b32 v212, 16, v162 :: v_dual_lshrrev_b32 v213, 16, v163
	v_and_b32_e32 v162, 0xffff, v162
	v_mul_u32_u24_e32 v202, 0x10001, v210
	v_mul_u32_u24_e32 v161, 0x10001, v161
	v_pk_fma_f16 v18, v15, v200, v20
	v_pk_fma_f16 v12, v14, v201, v12
	v_pk_fma_f16 v13, v15, v201, v13
	v_pk_fma_f16 v14, v4, v160, v16
	v_and_b32_e32 v163, 0xffff, v163
	v_mul_u32_u24_e32 v203, 0x10001, v211
	v_mul_u32_u24_e32 v162, 0x10001, v162
	v_pk_fma_f16 v16, v5, v160, v18
	v_pk_fma_f16 v4, v4, v202, v12
	v_pk_fma_f16 v5, v5, v202, v13
	v_pk_fma_f16 v12, v6, v161, v14
	;; [unrolled: 15-line block ×8, first 2 shown]
	v_and_b32_e32 v60, 0xffff, v60
	v_mul_u32_u24_e32 v12, 0x10001, v224
	v_mul_u32_u24_e32 v7, 0x10001, v175
	v_pk_fma_f16 v4, v59, v6, v4
	v_pk_fma_f16 v0, v58, v9, v0
	;; [unrolled: 1-line block ×3, first 2 shown]
	s_wait_dscnt 0x1
	v_pk_fma_f16 v2, v176, v11, v2
	v_mul_u32_u24_e32 v8, 0x10001, v225
	v_mul_u32_u24_e32 v3, 0x10001, v60
	v_pk_fma_f16 v4, v177, v11, v4
	v_pk_fma_f16 v0, v176, v12, v0
	;; [unrolled: 1-line block ×4, first 2 shown]
	ds_load_2addr_b64 v[64:67], v153 offset0:64 offset1:96
	ds_load_b128 v[68:71], v138 offset:144
	v_mul_u32_u24_e32 v5, 0x10001, v155
	v_mul_u32_u24_e32 v6, 0x10001, v54
	v_pk_fma_f16 v4, v179, v7, v4
	v_pk_fma_f16 v0, v178, v8, v0
	;; [unrolled: 1-line block ×3, first 2 shown]
	s_wait_dscnt 0x2
	v_pk_fma_f16 v2, v180, v3, v2
	v_mul_u32_u24_e32 v7, 0x10001, v147
	v_pk_fma_f16 v3, v181, v3, v4
	v_pk_fma_f16 v0, v180, v5, v0
	;; [unrolled: 1-line block ×4, first 2 shown]
	v_and_b32_e32 v2, 0xffff, v62
	v_dual_lshrrev_b32 v5, 16, v62 :: v_dual_lshrrev_b32 v11, 16, v63
	v_pk_fma_f16 v8, v182, v7, v0
	v_pk_fma_f16 v6, v183, v6, v3
	;; [unrolled: 1-line block ×3, first 2 shown]
	v_mul_u32_u24_e32 v9, 0x10001, v2
	ds_load_2addr_b64 v[0:3], v153 offset0:128 offset1:160
	v_mul_u32_u24_e32 v5, 0x10001, v5
	v_and_b32_e32 v10, 0xffff, v63
	s_wait_dscnt 0x1
	v_and_b32_e32 v18, 0xffff, v70
	v_pk_fma_f16 v4, v64, v9, v4
	v_pk_fma_f16 v6, v65, v9, v6
	;; [unrolled: 1-line block ×3, first 2 shown]
	v_mul_u32_u24_e32 v9, 0x10001, v10
	v_mul_u32_u24_e32 v10, 0x10001, v11
	v_pk_fma_f16 v11, v65, v5, v7
	v_and_b32_e32 v5, 0xffff, v68
	v_lshrrev_b32_e32 v7, 16, v68
	v_pk_fma_f16 v12, v66, v9, v4
	v_pk_fma_f16 v8, v66, v10, v8
	;; [unrolled: 1-line block ×3, first 2 shown]
	v_mul_u32_u24_e32 v13, 0x10001, v5
	v_pk_fma_f16 v15, v67, v10, v11
	v_and_b32_e32 v10, 0xffff, v69
	v_lshrrev_b32_e32 v11, 16, v69
	v_mul_u32_u24_e32 v14, 0x10001, v7
	ds_load_2addr_b64 v[4:7], v153 offset0:192 offset1:224
	s_wait_dscnt 0x1
	v_pk_fma_f16 v12, v0, v13, v12
	v_pk_fma_f16 v13, v1, v13, v9
	v_mul_u32_u24_e32 v16, 0x10001, v10
	v_pk_fma_f16 v0, v0, v14, v8
	v_mul_u32_u24_e32 v17, 0x10001, v11
	ds_load_b128 v[8:11], v138 offset:160
	v_pk_fma_f16 v1, v1, v14, v15
	v_add_nc_u32_e32 v20, 0x2800, v123
	v_pk_fma_f16 v12, v2, v16, v12
	v_pk_fma_f16 v14, v2, v17, v0
	v_dual_lshrrev_b32 v0, 16, v70 :: v_dual_lshrrev_b32 v19, 16, v71
	v_mul_u32_u24_e32 v15, 0x10001, v18
	v_pk_fma_f16 v13, v3, v16, v13
	v_pk_fma_f16 v16, v3, v17, v1
	s_delay_alu instid0(VALU_DEP_4)
	v_mul_u32_u24_e32 v17, 0x10001, v0
	ds_load_2addr_b64 v[0:3], v20 offset1:32
	v_mul_u32_u24_e32 v22, 0x10001, v19
	s_wait_dscnt 0x2
	v_pk_fma_f16 v18, v4, v15, v12
	v_and_b32_e32 v12, 0xffff, v71
	v_pk_fma_f16 v4, v4, v17, v14
	v_pk_fma_f16 v21, v5, v15, v13
	v_pk_fma_f16 v5, v5, v17, v16
	s_delay_alu instid0(VALU_DEP_4)
	v_mul_u32_u24_e32 v16, 0x10001, v12
	ds_load_b128 v[12:15], v138 offset:176
	s_wait_dscnt 0x2
	v_and_b32_e32 v17, 0xffff, v8
	v_lshrrev_b32_e32 v8, 16, v8
	v_pk_fma_f16 v4, v6, v22, v4
	v_pk_fma_f16 v23, v6, v16, v18
	;; [unrolled: 1-line block ×3, first 2 shown]
	v_mul_u32_u24_e32 v21, 0x10001, v17
	v_and_b32_e32 v24, 0xffff, v9
	ds_load_2addr_b64 v[16:19], v20 offset0:64 offset1:96
	v_pk_fma_f16 v5, v7, v22, v5
	v_lshrrev_b32_e32 v7, 16, v9
	v_mul_u32_u24_e32 v8, 0x10001, v8
	s_wait_dscnt 0x2
	v_pk_fma_f16 v9, v0, v21, v23
	v_mul_u32_u24_e32 v22, 0x10001, v24
	s_delay_alu instid0(VALU_DEP_3)
	v_pk_fma_f16 v0, v0, v8, v4
	v_pk_fma_f16 v4, v1, v21, v6
	v_mul_u32_u24_e32 v6, 0x10001, v7
	v_pk_fma_f16 v1, v1, v8, v5
	v_pk_fma_f16 v5, v2, v22, v9
	v_and_b32_e32 v7, 0xffff, v10
	v_lshrrev_b32_e32 v8, 16, v10
	v_pk_fma_f16 v9, v2, v6, v0
	v_pk_fma_f16 v4, v3, v22, v4
	;; [unrolled: 1-line block ×3, first 2 shown]
	ds_load_2addr_b64 v[0:3], v20 offset0:128 offset1:160
	v_mul_u32_u24_e32 v7, 0x10001, v7
	v_and_b32_e32 v10, 0xffff, v11
	v_lshrrev_b32_e32 v11, 16, v11
	v_mul_u32_u24_e32 v8, 0x10001, v8
	s_wait_dscnt 0x1
	v_pk_fma_f16 v5, v16, v7, v5
	v_pk_fma_f16 v4, v17, v7, v4
	v_mul_u32_u24_e32 v7, 0x10001, v10
	v_pk_fma_f16 v9, v16, v8, v9
	v_mul_u32_u24_e32 v10, 0x10001, v11
	v_pk_fma_f16 v8, v17, v8, v6
	v_and_b32_e32 v6, 0xffff, v12
	v_lshrrev_b32_e32 v11, 16, v12
	v_pk_fma_f16 v12, v18, v7, v5
	v_pk_fma_f16 v9, v18, v10, v9
	;; [unrolled: 1-line block ×3, first 2 shown]
	v_mul_u32_u24_e32 v17, 0x10001, v6
	ds_load_2addr_b64 v[4:7], v20 offset0:192 offset1:224
	v_pk_fma_f16 v19, v19, v10, v8
	v_and_b32_e32 v8, 0xffff, v13
	v_lshrrev_b32_e32 v10, 16, v13
	v_mul_u32_u24_e32 v18, 0x10001, v11
	s_wait_dscnt 0x1
	v_pk_fma_f16 v12, v0, v17, v12
	v_pk_fma_f16 v13, v1, v17, v16
	v_mul_u32_u24_e32 v16, 0x10001, v8
	v_mul_u32_u24_e32 v17, 0x10001, v10
	v_pk_fma_f16 v0, v0, v18, v9
	ds_load_b128 v[8:11], v138 offset:192
	v_and_b32_e32 v20, 0xffff, v14
	v_pk_fma_f16 v1, v1, v18, v19
	v_pk_fma_f16 v12, v2, v16, v12
	;; [unrolled: 1-line block ×3, first 2 shown]
	v_lshrrev_b32_e32 v0, 16, v14
	v_mul_u32_u24_e32 v14, 0x10001, v20
	v_add_nc_u32_e32 v20, 0x3000, v123
	v_pk_fma_f16 v13, v3, v16, v13
	v_pk_fma_f16 v16, v3, v17, v1
	s_wait_dscnt 0x1
	v_pk_fma_f16 v19, v4, v14, v12
	v_and_b32_e32 v12, 0xffff, v15
	v_lshrrev_b32_e32 v15, 16, v15
	v_mul_u32_u24_e32 v17, 0x10001, v0
	ds_load_2addr_b64 v[0:3], v20 offset1:32
	v_mul_u32_u24_e32 v21, 0x10001, v15
	v_pk_fma_f16 v4, v4, v17, v18
	v_pk_fma_f16 v18, v5, v14, v13
	;; [unrolled: 1-line block ×3, first 2 shown]
	v_mul_u32_u24_e32 v16, 0x10001, v12
	ds_load_b128 v[12:15], v138 offset:208
	s_wait_dscnt 0x2
	v_and_b32_e32 v17, 0xffff, v8
	v_lshrrev_b32_e32 v8, 16, v8
	v_pk_fma_f16 v4, v6, v21, v4
	v_pk_fma_f16 v22, v6, v16, v19
	;; [unrolled: 1-line block ×3, first 2 shown]
	v_mul_u32_u24_e32 v23, 0x10001, v17
	ds_load_2addr_b64 v[16:19], v20 offset0:64 offset1:96
	v_and_b32_e32 v24, 0xffff, v9
	v_pk_fma_f16 v5, v7, v21, v5
	v_lshrrev_b32_e32 v7, 16, v9
	v_mul_u32_u24_e32 v8, 0x10001, v8
	s_wait_dscnt 0x2
	v_pk_fma_f16 v9, v0, v23, v22
	v_mul_u32_u24_e32 v21, 0x10001, v24
	s_delay_alu instid0(VALU_DEP_3)
	v_pk_fma_f16 v0, v0, v8, v4
	v_pk_fma_f16 v4, v1, v23, v6
	v_mul_u32_u24_e32 v6, 0x10001, v7
	v_pk_fma_f16 v1, v1, v8, v5
	v_and_b32_e32 v7, 0xffff, v10
	v_lshrrev_b32_e32 v8, 16, v10
	v_pk_fma_f16 v5, v2, v21, v9
	v_pk_fma_f16 v9, v2, v6, v0
	;; [unrolled: 1-line block ×4, first 2 shown]
	v_mul_u32_u24_e32 v7, 0x10001, v7
	ds_load_2addr_b64 v[0:3], v20 offset0:128 offset1:160
	v_and_b32_e32 v10, 0xffff, v11
	v_lshrrev_b32_e32 v11, 16, v11
	v_mul_u32_u24_e32 v8, 0x10001, v8
	s_wait_dscnt 0x1
	v_pk_fma_f16 v5, v16, v7, v5
	v_pk_fma_f16 v4, v17, v7, v4
	v_mul_u32_u24_e32 v7, 0x10001, v10
	v_mul_u32_u24_e32 v10, 0x10001, v11
	v_pk_fma_f16 v9, v16, v8, v9
	v_pk_fma_f16 v8, v17, v8, v6
	v_and_b32_e32 v6, 0xffff, v12
	v_lshrrev_b32_e32 v11, 16, v12
	v_pk_fma_f16 v12, v18, v7, v5
	v_pk_fma_f16 v16, v19, v7, v4
	;; [unrolled: 1-line block ×3, first 2 shown]
	v_mul_u32_u24_e32 v17, 0x10001, v6
	ds_load_2addr_b64 v[4:7], v20 offset0:192 offset1:224
	v_pk_fma_f16 v19, v19, v10, v8
	v_and_b32_e32 v8, 0xffff, v13
	v_lshrrev_b32_e32 v10, 16, v13
	v_mul_u32_u24_e32 v18, 0x10001, v11
	s_wait_dscnt 0x1
	v_pk_fma_f16 v12, v0, v17, v12
	v_pk_fma_f16 v13, v1, v17, v16
	v_mul_u32_u24_e32 v16, 0x10001, v8
	v_mul_u32_u24_e32 v17, 0x10001, v10
	v_pk_fma_f16 v0, v0, v18, v9
	v_and_b32_e32 v20, 0xffff, v14
	ds_load_b128 v[8:11], v138 offset:224
	v_pk_fma_f16 v1, v1, v18, v19
	v_pk_fma_f16 v12, v2, v16, v12
	;; [unrolled: 1-line block ×3, first 2 shown]
	v_lshrrev_b32_e32 v0, 16, v14
	v_mul_u32_u24_e32 v14, 0x10001, v20
	v_add_nc_u32_e32 v20, 0x3800, v123
	v_pk_fma_f16 v13, v3, v16, v13
	v_pk_fma_f16 v16, v3, v17, v1
	s_wait_dscnt 0x1
	v_pk_fma_f16 v19, v4, v14, v12
	v_and_b32_e32 v12, 0xffff, v15
	v_lshrrev_b32_e32 v15, 16, v15
	v_mul_u32_u24_e32 v17, 0x10001, v0
	ds_load_2addr_b64 v[0:3], v20 offset1:32
	v_mul_u32_u24_e32 v21, 0x10001, v15
	v_pk_fma_f16 v4, v4, v17, v18
	v_pk_fma_f16 v18, v5, v14, v13
	;; [unrolled: 1-line block ×3, first 2 shown]
	v_mul_u32_u24_e32 v16, 0x10001, v12
	ds_load_b128 v[12:15], v138 offset:240
	s_wait_dscnt 0x2
	v_and_b32_e32 v17, 0xffff, v8
	v_lshrrev_b32_e32 v8, 16, v8
	v_pk_fma_f16 v4, v6, v21, v4
	v_pk_fma_f16 v22, v6, v16, v19
	;; [unrolled: 1-line block ×3, first 2 shown]
	v_mul_u32_u24_e32 v23, 0x10001, v17
	v_and_b32_e32 v24, 0xffff, v9
	ds_load_2addr_b64 v[16:19], v20 offset0:64 offset1:96
	v_pk_fma_f16 v5, v7, v21, v5
	v_lshrrev_b32_e32 v7, 16, v9
	v_mul_u32_u24_e32 v8, 0x10001, v8
	s_wait_dscnt 0x2
	v_pk_fma_f16 v9, v0, v23, v22
	v_mul_u32_u24_e32 v21, 0x10001, v24
	s_delay_alu instid0(VALU_DEP_3)
	v_pk_fma_f16 v0, v0, v8, v4
	v_pk_fma_f16 v4, v1, v23, v6
	v_mul_u32_u24_e32 v6, 0x10001, v7
	v_pk_fma_f16 v1, v1, v8, v5
	v_pk_fma_f16 v5, v2, v21, v9
	v_and_b32_e32 v7, 0xffff, v10
	v_lshrrev_b32_e32 v8, 16, v10
	v_pk_fma_f16 v9, v2, v6, v0
	v_pk_fma_f16 v4, v3, v21, v4
	;; [unrolled: 1-line block ×3, first 2 shown]
	ds_load_2addr_b64 v[0:3], v20 offset0:128 offset1:160
	v_mul_u32_u24_e32 v7, 0x10001, v7
	v_and_b32_e32 v10, 0xffff, v11
	v_lshrrev_b32_e32 v11, 16, v11
	v_mul_u32_u24_e32 v8, 0x10001, v8
	s_wait_dscnt 0x1
	v_pk_fma_f16 v5, v16, v7, v5
	v_pk_fma_f16 v4, v17, v7, v4
	v_mul_u32_u24_e32 v7, 0x10001, v10
	v_pk_fma_f16 v9, v16, v8, v9
	v_mul_u32_u24_e32 v10, 0x10001, v11
	v_pk_fma_f16 v8, v17, v8, v6
	v_and_b32_e32 v6, 0xffff, v12
	v_lshrrev_b32_e32 v11, 16, v12
	v_pk_fma_f16 v12, v18, v7, v5
	v_pk_fma_f16 v9, v18, v10, v9
	;; [unrolled: 1-line block ×3, first 2 shown]
	v_mul_u32_u24_e32 v17, 0x10001, v6
	ds_load_2addr_b64 v[4:7], v20 offset0:192 offset1:224
	v_pk_fma_f16 v19, v19, v10, v8
	v_and_b32_e32 v8, 0xffff, v13
	v_lshrrev_b32_e32 v10, 16, v13
	v_mul_u32_u24_e32 v18, 0x10001, v11
	s_wait_dscnt 0x1
	v_pk_fma_f16 v12, v0, v17, v12
	v_pk_fma_f16 v13, v1, v17, v16
	v_mul_u32_u24_e32 v16, 0x10001, v8
	v_mul_u32_u24_e32 v17, 0x10001, v10
	v_pk_fma_f16 v0, v0, v18, v9
	ds_load_b128 v[8:11], v138 offset:256
	v_and_b32_e32 v20, 0xffff, v14
	v_pk_fma_f16 v1, v1, v18, v19
	v_pk_fma_f16 v12, v2, v16, v12
	;; [unrolled: 1-line block ×3, first 2 shown]
	v_lshrrev_b32_e32 v0, 16, v14
	v_mul_u32_u24_e32 v14, 0x10001, v20
	v_add_nc_u32_e32 v20, 0x4000, v123
	v_pk_fma_f16 v13, v3, v16, v13
	v_pk_fma_f16 v16, v3, v17, v1
	s_wait_dscnt 0x1
	v_pk_fma_f16 v19, v4, v14, v12
	v_and_b32_e32 v12, 0xffff, v15
	v_lshrrev_b32_e32 v15, 16, v15
	v_mul_u32_u24_e32 v17, 0x10001, v0
	ds_load_2addr_b64 v[0:3], v20 offset1:32
	v_mul_u32_u24_e32 v21, 0x10001, v15
	v_pk_fma_f16 v4, v4, v17, v18
	v_pk_fma_f16 v18, v5, v14, v13
	;; [unrolled: 1-line block ×3, first 2 shown]
	v_mul_u32_u24_e32 v16, 0x10001, v12
	ds_load_b128 v[12:15], v138 offset:272
	s_wait_dscnt 0x2
	v_and_b32_e32 v17, 0xffff, v8
	v_lshrrev_b32_e32 v8, 16, v8
	v_pk_fma_f16 v4, v6, v21, v4
	v_pk_fma_f16 v22, v6, v16, v19
	;; [unrolled: 1-line block ×3, first 2 shown]
	v_mul_u32_u24_e32 v23, 0x10001, v17
	ds_load_2addr_b64 v[16:19], v20 offset0:64 offset1:96
	v_and_b32_e32 v24, 0xffff, v9
	v_pk_fma_f16 v5, v7, v21, v5
	v_lshrrev_b32_e32 v7, 16, v9
	v_mul_u32_u24_e32 v8, 0x10001, v8
	s_wait_dscnt 0x2
	v_pk_fma_f16 v9, v0, v23, v22
	v_mul_u32_u24_e32 v21, 0x10001, v24
	s_delay_alu instid0(VALU_DEP_3)
	v_pk_fma_f16 v0, v0, v8, v4
	v_pk_fma_f16 v4, v1, v23, v6
	v_mul_u32_u24_e32 v6, 0x10001, v7
	v_pk_fma_f16 v1, v1, v8, v5
	v_and_b32_e32 v7, 0xffff, v10
	v_lshrrev_b32_e32 v8, 16, v10
	v_pk_fma_f16 v5, v2, v21, v9
	v_pk_fma_f16 v9, v2, v6, v0
	;; [unrolled: 1-line block ×4, first 2 shown]
	v_mul_u32_u24_e32 v7, 0x10001, v7
	ds_load_2addr_b64 v[0:3], v20 offset0:128 offset1:160
	v_and_b32_e32 v10, 0xffff, v11
	v_lshrrev_b32_e32 v11, 16, v11
	v_mul_u32_u24_e32 v8, 0x10001, v8
	s_wait_dscnt 0x1
	v_pk_fma_f16 v5, v16, v7, v5
	v_pk_fma_f16 v4, v17, v7, v4
	v_mul_u32_u24_e32 v7, 0x10001, v10
	v_mul_u32_u24_e32 v10, 0x10001, v11
	v_pk_fma_f16 v9, v16, v8, v9
	v_pk_fma_f16 v8, v17, v8, v6
	v_and_b32_e32 v6, 0xffff, v12
	v_lshrrev_b32_e32 v11, 16, v12
	v_pk_fma_f16 v12, v18, v7, v5
	v_pk_fma_f16 v16, v19, v7, v4
	;; [unrolled: 1-line block ×3, first 2 shown]
	v_mul_u32_u24_e32 v17, 0x10001, v6
	ds_load_2addr_b64 v[4:7], v20 offset0:192 offset1:224
	v_pk_fma_f16 v19, v19, v10, v8
	v_and_b32_e32 v8, 0xffff, v13
	v_lshrrev_b32_e32 v10, 16, v13
	v_mul_u32_u24_e32 v18, 0x10001, v11
	s_wait_dscnt 0x1
	v_pk_fma_f16 v12, v0, v17, v12
	v_pk_fma_f16 v13, v1, v17, v16
	v_mul_u32_u24_e32 v16, 0x10001, v8
	v_mul_u32_u24_e32 v17, 0x10001, v10
	v_pk_fma_f16 v0, v0, v18, v9
	v_and_b32_e32 v20, 0xffff, v14
	ds_load_b128 v[8:11], v138 offset:288
	v_pk_fma_f16 v1, v1, v18, v19
	v_pk_fma_f16 v12, v2, v16, v12
	;; [unrolled: 1-line block ×3, first 2 shown]
	v_lshrrev_b32_e32 v0, 16, v14
	v_mul_u32_u24_e32 v14, 0x10001, v20
	v_add_nc_u32_e32 v20, 0x4800, v123
	v_pk_fma_f16 v13, v3, v16, v13
	v_pk_fma_f16 v16, v3, v17, v1
	s_wait_dscnt 0x1
	v_pk_fma_f16 v19, v4, v14, v12
	v_and_b32_e32 v12, 0xffff, v15
	v_lshrrev_b32_e32 v15, 16, v15
	v_mul_u32_u24_e32 v17, 0x10001, v0
	ds_load_2addr_b64 v[0:3], v20 offset1:32
	v_mul_u32_u24_e32 v21, 0x10001, v15
	v_pk_fma_f16 v4, v4, v17, v18
	v_pk_fma_f16 v18, v5, v14, v13
	;; [unrolled: 1-line block ×3, first 2 shown]
	v_mul_u32_u24_e32 v16, 0x10001, v12
	ds_load_b128 v[12:15], v138 offset:304
	s_wait_dscnt 0x2
	v_and_b32_e32 v17, 0xffff, v8
	v_lshrrev_b32_e32 v8, 16, v8
	v_pk_fma_f16 v4, v6, v21, v4
	v_pk_fma_f16 v22, v6, v16, v19
	;; [unrolled: 1-line block ×3, first 2 shown]
	v_mul_u32_u24_e32 v23, 0x10001, v17
	v_and_b32_e32 v24, 0xffff, v9
	ds_load_2addr_b64 v[16:19], v20 offset0:64 offset1:96
	v_pk_fma_f16 v5, v7, v21, v5
	v_lshrrev_b32_e32 v7, 16, v9
	v_mul_u32_u24_e32 v8, 0x10001, v8
	s_wait_dscnt 0x2
	v_pk_fma_f16 v9, v0, v23, v22
	v_mul_u32_u24_e32 v21, 0x10001, v24
	s_delay_alu instid0(VALU_DEP_3)
	v_pk_fma_f16 v0, v0, v8, v4
	v_pk_fma_f16 v4, v1, v23, v6
	v_mul_u32_u24_e32 v6, 0x10001, v7
	v_pk_fma_f16 v1, v1, v8, v5
	v_pk_fma_f16 v5, v2, v21, v9
	v_and_b32_e32 v7, 0xffff, v10
	v_lshrrev_b32_e32 v8, 16, v10
	v_pk_fma_f16 v9, v2, v6, v0
	v_pk_fma_f16 v4, v3, v21, v4
	;; [unrolled: 1-line block ×3, first 2 shown]
	ds_load_2addr_b64 v[0:3], v20 offset0:128 offset1:160
	v_mul_u32_u24_e32 v7, 0x10001, v7
	v_and_b32_e32 v10, 0xffff, v11
	v_lshrrev_b32_e32 v11, 16, v11
	v_mul_u32_u24_e32 v8, 0x10001, v8
	s_wait_dscnt 0x1
	v_pk_fma_f16 v5, v16, v7, v5
	v_pk_fma_f16 v4, v17, v7, v4
	v_mul_u32_u24_e32 v7, 0x10001, v10
	v_pk_fma_f16 v9, v16, v8, v9
	v_mul_u32_u24_e32 v10, 0x10001, v11
	v_pk_fma_f16 v8, v17, v8, v6
	v_and_b32_e32 v6, 0xffff, v12
	v_lshrrev_b32_e32 v11, 16, v12
	v_pk_fma_f16 v12, v18, v7, v5
	v_pk_fma_f16 v9, v18, v10, v9
	;; [unrolled: 1-line block ×3, first 2 shown]
	v_mul_u32_u24_e32 v17, 0x10001, v6
	ds_load_2addr_b64 v[4:7], v20 offset0:192 offset1:224
	v_pk_fma_f16 v19, v19, v10, v8
	v_and_b32_e32 v8, 0xffff, v13
	v_lshrrev_b32_e32 v10, 16, v13
	v_mul_u32_u24_e32 v18, 0x10001, v11
	s_wait_dscnt 0x1
	v_pk_fma_f16 v12, v0, v17, v12
	v_pk_fma_f16 v13, v1, v17, v16
	v_mul_u32_u24_e32 v16, 0x10001, v8
	v_mul_u32_u24_e32 v17, 0x10001, v10
	v_pk_fma_f16 v0, v0, v18, v9
	ds_load_b128 v[8:11], v138 offset:320
	v_and_b32_e32 v20, 0xffff, v14
	v_pk_fma_f16 v1, v1, v18, v19
	v_pk_fma_f16 v12, v2, v16, v12
	;; [unrolled: 1-line block ×3, first 2 shown]
	v_lshrrev_b32_e32 v0, 16, v14
	v_mul_u32_u24_e32 v14, 0x10001, v20
	v_add_nc_u32_e32 v20, 0x5000, v123
	v_pk_fma_f16 v13, v3, v16, v13
	v_pk_fma_f16 v16, v3, v17, v1
	s_wait_dscnt 0x1
	v_pk_fma_f16 v19, v4, v14, v12
	v_and_b32_e32 v12, 0xffff, v15
	v_lshrrev_b32_e32 v15, 16, v15
	v_mul_u32_u24_e32 v17, 0x10001, v0
	ds_load_2addr_b64 v[0:3], v20 offset1:32
	v_mul_u32_u24_e32 v21, 0x10001, v15
	v_pk_fma_f16 v4, v4, v17, v18
	v_pk_fma_f16 v18, v5, v14, v13
	;; [unrolled: 1-line block ×3, first 2 shown]
	v_mul_u32_u24_e32 v16, 0x10001, v12
	ds_load_b128 v[12:15], v138 offset:336
	s_wait_dscnt 0x2
	v_and_b32_e32 v17, 0xffff, v8
	v_lshrrev_b32_e32 v8, 16, v8
	v_pk_fma_f16 v4, v6, v21, v4
	v_pk_fma_f16 v22, v6, v16, v19
	;; [unrolled: 1-line block ×3, first 2 shown]
	v_mul_u32_u24_e32 v23, 0x10001, v17
	ds_load_2addr_b64 v[16:19], v20 offset0:64 offset1:96
	v_and_b32_e32 v24, 0xffff, v9
	v_pk_fma_f16 v5, v7, v21, v5
	v_lshrrev_b32_e32 v7, 16, v9
	v_mul_u32_u24_e32 v8, 0x10001, v8
	s_wait_dscnt 0x2
	v_pk_fma_f16 v9, v0, v23, v22
	v_mul_u32_u24_e32 v21, 0x10001, v24
	s_delay_alu instid0(VALU_DEP_3)
	v_pk_fma_f16 v0, v0, v8, v4
	v_pk_fma_f16 v4, v1, v23, v6
	v_mul_u32_u24_e32 v6, 0x10001, v7
	v_pk_fma_f16 v1, v1, v8, v5
	v_and_b32_e32 v7, 0xffff, v10
	v_lshrrev_b32_e32 v8, 16, v10
	v_pk_fma_f16 v5, v2, v21, v9
	v_pk_fma_f16 v9, v2, v6, v0
	;; [unrolled: 1-line block ×4, first 2 shown]
	v_mul_u32_u24_e32 v7, 0x10001, v7
	ds_load_2addr_b64 v[0:3], v20 offset0:128 offset1:160
	v_and_b32_e32 v10, 0xffff, v11
	v_lshrrev_b32_e32 v11, 16, v11
	v_mul_u32_u24_e32 v8, 0x10001, v8
	s_wait_dscnt 0x1
	v_pk_fma_f16 v5, v16, v7, v5
	v_pk_fma_f16 v4, v17, v7, v4
	v_mul_u32_u24_e32 v7, 0x10001, v10
	v_mul_u32_u24_e32 v10, 0x10001, v11
	v_pk_fma_f16 v9, v16, v8, v9
	v_pk_fma_f16 v8, v17, v8, v6
	v_and_b32_e32 v6, 0xffff, v12
	v_lshrrev_b32_e32 v11, 16, v12
	v_pk_fma_f16 v12, v18, v7, v5
	v_pk_fma_f16 v16, v19, v7, v4
	;; [unrolled: 1-line block ×3, first 2 shown]
	v_mul_u32_u24_e32 v17, 0x10001, v6
	ds_load_2addr_b64 v[4:7], v20 offset0:192 offset1:224
	v_pk_fma_f16 v19, v19, v10, v8
	v_and_b32_e32 v8, 0xffff, v13
	v_lshrrev_b32_e32 v10, 16, v13
	v_mul_u32_u24_e32 v18, 0x10001, v11
	s_wait_dscnt 0x1
	v_pk_fma_f16 v12, v0, v17, v12
	v_pk_fma_f16 v13, v1, v17, v16
	v_mul_u32_u24_e32 v16, 0x10001, v8
	v_mul_u32_u24_e32 v17, 0x10001, v10
	v_pk_fma_f16 v0, v0, v18, v9
	v_and_b32_e32 v20, 0xffff, v14
	ds_load_b128 v[8:11], v138 offset:352
	v_pk_fma_f16 v1, v1, v18, v19
	v_pk_fma_f16 v12, v2, v16, v12
	;; [unrolled: 1-line block ×3, first 2 shown]
	v_lshrrev_b32_e32 v0, 16, v14
	v_mul_u32_u24_e32 v14, 0x10001, v20
	v_add_nc_u32_e32 v20, 0x5800, v123
	v_pk_fma_f16 v13, v3, v16, v13
	v_pk_fma_f16 v16, v3, v17, v1
	s_wait_dscnt 0x1
	v_pk_fma_f16 v19, v4, v14, v12
	v_and_b32_e32 v12, 0xffff, v15
	v_lshrrev_b32_e32 v15, 16, v15
	v_mul_u32_u24_e32 v17, 0x10001, v0
	ds_load_2addr_b64 v[0:3], v20 offset1:32
	v_mul_u32_u24_e32 v21, 0x10001, v15
	v_pk_fma_f16 v4, v4, v17, v18
	v_pk_fma_f16 v18, v5, v14, v13
	;; [unrolled: 1-line block ×3, first 2 shown]
	v_mul_u32_u24_e32 v16, 0x10001, v12
	ds_load_b128 v[12:15], v138 offset:368
	s_wait_dscnt 0x2
	v_and_b32_e32 v17, 0xffff, v8
	v_lshrrev_b32_e32 v8, 16, v8
	v_pk_fma_f16 v4, v6, v21, v4
	v_pk_fma_f16 v22, v6, v16, v19
	;; [unrolled: 1-line block ×3, first 2 shown]
	v_mul_u32_u24_e32 v23, 0x10001, v17
	v_and_b32_e32 v24, 0xffff, v9
	ds_load_2addr_b64 v[16:19], v20 offset0:64 offset1:96
	v_pk_fma_f16 v5, v7, v21, v5
	v_lshrrev_b32_e32 v7, 16, v9
	v_mul_u32_u24_e32 v8, 0x10001, v8
	s_wait_dscnt 0x2
	v_pk_fma_f16 v9, v0, v23, v22
	v_mul_u32_u24_e32 v21, 0x10001, v24
	s_delay_alu instid0(VALU_DEP_3)
	v_pk_fma_f16 v0, v0, v8, v4
	v_pk_fma_f16 v4, v1, v23, v6
	v_mul_u32_u24_e32 v6, 0x10001, v7
	v_pk_fma_f16 v1, v1, v8, v5
	v_pk_fma_f16 v5, v2, v21, v9
	v_and_b32_e32 v7, 0xffff, v10
	v_lshrrev_b32_e32 v8, 16, v10
	v_pk_fma_f16 v9, v2, v6, v0
	v_pk_fma_f16 v4, v3, v21, v4
	;; [unrolled: 1-line block ×3, first 2 shown]
	ds_load_2addr_b64 v[0:3], v20 offset0:128 offset1:160
	v_mul_u32_u24_e32 v7, 0x10001, v7
	v_and_b32_e32 v10, 0xffff, v11
	v_lshrrev_b32_e32 v11, 16, v11
	v_mul_u32_u24_e32 v8, 0x10001, v8
	s_wait_dscnt 0x1
	v_pk_fma_f16 v5, v16, v7, v5
	v_pk_fma_f16 v4, v17, v7, v4
	v_mul_u32_u24_e32 v7, 0x10001, v10
	v_pk_fma_f16 v9, v16, v8, v9
	v_mul_u32_u24_e32 v10, 0x10001, v11
	v_pk_fma_f16 v8, v17, v8, v6
	v_and_b32_e32 v6, 0xffff, v12
	v_lshrrev_b32_e32 v11, 16, v12
	v_pk_fma_f16 v12, v18, v7, v5
	v_pk_fma_f16 v9, v18, v10, v9
	;; [unrolled: 1-line block ×3, first 2 shown]
	v_mul_u32_u24_e32 v17, 0x10001, v6
	ds_load_2addr_b64 v[4:7], v20 offset0:192 offset1:224
	v_pk_fma_f16 v19, v19, v10, v8
	v_and_b32_e32 v8, 0xffff, v13
	v_lshrrev_b32_e32 v10, 16, v13
	v_mul_u32_u24_e32 v18, 0x10001, v11
	s_wait_dscnt 0x1
	v_pk_fma_f16 v12, v0, v17, v12
	v_pk_fma_f16 v13, v1, v17, v16
	v_mul_u32_u24_e32 v16, 0x10001, v8
	v_mul_u32_u24_e32 v17, 0x10001, v10
	v_pk_fma_f16 v0, v0, v18, v9
	ds_load_b128 v[8:11], v138 offset:384
	v_and_b32_e32 v20, 0xffff, v14
	v_pk_fma_f16 v1, v1, v18, v19
	v_pk_fma_f16 v12, v2, v16, v12
	;; [unrolled: 1-line block ×3, first 2 shown]
	v_lshrrev_b32_e32 v0, 16, v14
	v_mul_u32_u24_e32 v14, 0x10001, v20
	v_add_nc_u32_e32 v20, 0x6000, v123
	v_pk_fma_f16 v13, v3, v16, v13
	v_pk_fma_f16 v16, v3, v17, v1
	s_wait_dscnt 0x1
	v_pk_fma_f16 v19, v4, v14, v12
	v_and_b32_e32 v12, 0xffff, v15
	v_lshrrev_b32_e32 v15, 16, v15
	v_mul_u32_u24_e32 v17, 0x10001, v0
	ds_load_2addr_b64 v[0:3], v20 offset1:32
	v_mul_u32_u24_e32 v21, 0x10001, v15
	v_pk_fma_f16 v4, v4, v17, v18
	v_pk_fma_f16 v18, v5, v14, v13
	;; [unrolled: 1-line block ×3, first 2 shown]
	v_mul_u32_u24_e32 v16, 0x10001, v12
	ds_load_b128 v[12:15], v138 offset:400
	s_wait_dscnt 0x2
	v_and_b32_e32 v17, 0xffff, v8
	v_lshrrev_b32_e32 v8, 16, v8
	v_pk_fma_f16 v4, v6, v21, v4
	v_pk_fma_f16 v22, v6, v16, v19
	;; [unrolled: 1-line block ×3, first 2 shown]
	v_mul_u32_u24_e32 v23, 0x10001, v17
	ds_load_2addr_b64 v[16:19], v20 offset0:64 offset1:96
	v_and_b32_e32 v24, 0xffff, v9
	v_pk_fma_f16 v5, v7, v21, v5
	v_lshrrev_b32_e32 v7, 16, v9
	v_mul_u32_u24_e32 v8, 0x10001, v8
	s_wait_dscnt 0x2
	v_pk_fma_f16 v9, v0, v23, v22
	v_mul_u32_u24_e32 v21, 0x10001, v24
	s_delay_alu instid0(VALU_DEP_3)
	v_pk_fma_f16 v0, v0, v8, v4
	v_pk_fma_f16 v4, v1, v23, v6
	v_mul_u32_u24_e32 v6, 0x10001, v7
	v_pk_fma_f16 v1, v1, v8, v5
	v_and_b32_e32 v7, 0xffff, v10
	v_lshrrev_b32_e32 v8, 16, v10
	v_pk_fma_f16 v5, v2, v21, v9
	v_pk_fma_f16 v9, v2, v6, v0
	;; [unrolled: 1-line block ×4, first 2 shown]
	v_mul_u32_u24_e32 v7, 0x10001, v7
	ds_load_2addr_b64 v[0:3], v20 offset0:128 offset1:160
	v_and_b32_e32 v10, 0xffff, v11
	v_lshrrev_b32_e32 v11, 16, v11
	v_mul_u32_u24_e32 v8, 0x10001, v8
	s_wait_dscnt 0x1
	v_pk_fma_f16 v5, v16, v7, v5
	v_pk_fma_f16 v4, v17, v7, v4
	v_mul_u32_u24_e32 v7, 0x10001, v10
	v_mul_u32_u24_e32 v10, 0x10001, v11
	v_pk_fma_f16 v9, v16, v8, v9
	v_pk_fma_f16 v8, v17, v8, v6
	v_and_b32_e32 v6, 0xffff, v12
	v_lshrrev_b32_e32 v11, 16, v12
	v_pk_fma_f16 v12, v18, v7, v5
	v_pk_fma_f16 v16, v19, v7, v4
	;; [unrolled: 1-line block ×3, first 2 shown]
	v_mul_u32_u24_e32 v17, 0x10001, v6
	ds_load_2addr_b64 v[4:7], v20 offset0:192 offset1:224
	v_pk_fma_f16 v19, v19, v10, v8
	v_and_b32_e32 v8, 0xffff, v13
	v_lshrrev_b32_e32 v10, 16, v13
	v_mul_u32_u24_e32 v18, 0x10001, v11
	s_wait_dscnt 0x1
	v_pk_fma_f16 v12, v0, v17, v12
	v_pk_fma_f16 v13, v1, v17, v16
	v_mul_u32_u24_e32 v16, 0x10001, v8
	v_mul_u32_u24_e32 v17, 0x10001, v10
	v_pk_fma_f16 v0, v0, v18, v9
	v_and_b32_e32 v20, 0xffff, v14
	ds_load_b128 v[8:11], v138 offset:416
	v_pk_fma_f16 v1, v1, v18, v19
	v_pk_fma_f16 v12, v2, v16, v12
	;; [unrolled: 1-line block ×3, first 2 shown]
	v_lshrrev_b32_e32 v0, 16, v14
	v_mul_u32_u24_e32 v14, 0x10001, v20
	v_add_nc_u32_e32 v20, 0x6800, v123
	v_pk_fma_f16 v13, v3, v16, v13
	v_pk_fma_f16 v16, v3, v17, v1
	s_wait_dscnt 0x1
	v_pk_fma_f16 v19, v4, v14, v12
	v_and_b32_e32 v12, 0xffff, v15
	v_lshrrev_b32_e32 v15, 16, v15
	v_mul_u32_u24_e32 v17, 0x10001, v0
	ds_load_2addr_b64 v[0:3], v20 offset1:32
	v_mul_u32_u24_e32 v21, 0x10001, v15
	v_pk_fma_f16 v4, v4, v17, v18
	v_pk_fma_f16 v18, v5, v14, v13
	;; [unrolled: 1-line block ×3, first 2 shown]
	v_mul_u32_u24_e32 v16, 0x10001, v12
	ds_load_b128 v[12:15], v138 offset:432
	s_wait_dscnt 0x2
	v_and_b32_e32 v17, 0xffff, v8
	v_lshrrev_b32_e32 v8, 16, v8
	v_pk_fma_f16 v4, v6, v21, v4
	v_pk_fma_f16 v22, v6, v16, v19
	;; [unrolled: 1-line block ×3, first 2 shown]
	v_mul_u32_u24_e32 v23, 0x10001, v17
	v_and_b32_e32 v24, 0xffff, v9
	ds_load_2addr_b64 v[16:19], v20 offset0:64 offset1:96
	v_pk_fma_f16 v5, v7, v21, v5
	v_lshrrev_b32_e32 v7, 16, v9
	v_mul_u32_u24_e32 v8, 0x10001, v8
	s_wait_dscnt 0x2
	v_pk_fma_f16 v9, v0, v23, v22
	v_mul_u32_u24_e32 v21, 0x10001, v24
	s_delay_alu instid0(VALU_DEP_3)
	v_pk_fma_f16 v0, v0, v8, v4
	v_pk_fma_f16 v4, v1, v23, v6
	v_mul_u32_u24_e32 v6, 0x10001, v7
	v_pk_fma_f16 v1, v1, v8, v5
	v_pk_fma_f16 v5, v2, v21, v9
	v_and_b32_e32 v7, 0xffff, v10
	v_lshrrev_b32_e32 v8, 16, v10
	v_pk_fma_f16 v9, v2, v6, v0
	v_pk_fma_f16 v4, v3, v21, v4
	;; [unrolled: 1-line block ×3, first 2 shown]
	ds_load_2addr_b64 v[0:3], v20 offset0:128 offset1:160
	v_mul_u32_u24_e32 v7, 0x10001, v7
	v_and_b32_e32 v10, 0xffff, v11
	v_lshrrev_b32_e32 v11, 16, v11
	v_mul_u32_u24_e32 v8, 0x10001, v8
	s_wait_dscnt 0x1
	v_pk_fma_f16 v5, v16, v7, v5
	v_pk_fma_f16 v4, v17, v7, v4
	v_mul_u32_u24_e32 v7, 0x10001, v10
	v_pk_fma_f16 v9, v16, v8, v9
	v_mul_u32_u24_e32 v10, 0x10001, v11
	v_pk_fma_f16 v8, v17, v8, v6
	v_and_b32_e32 v6, 0xffff, v12
	v_lshrrev_b32_e32 v11, 16, v12
	v_pk_fma_f16 v12, v18, v7, v5
	v_pk_fma_f16 v9, v18, v10, v9
	;; [unrolled: 1-line block ×3, first 2 shown]
	v_mul_u32_u24_e32 v17, 0x10001, v6
	ds_load_2addr_b64 v[4:7], v20 offset0:192 offset1:224
	v_pk_fma_f16 v19, v19, v10, v8
	v_and_b32_e32 v8, 0xffff, v13
	v_lshrrev_b32_e32 v10, 16, v13
	v_mul_u32_u24_e32 v18, 0x10001, v11
	s_wait_dscnt 0x1
	v_pk_fma_f16 v12, v0, v17, v12
	v_pk_fma_f16 v13, v1, v17, v16
	v_mul_u32_u24_e32 v16, 0x10001, v8
	v_mul_u32_u24_e32 v17, 0x10001, v10
	v_pk_fma_f16 v0, v0, v18, v9
	ds_load_b128 v[8:11], v138 offset:448
	v_and_b32_e32 v20, 0xffff, v14
	v_pk_fma_f16 v1, v1, v18, v19
	v_pk_fma_f16 v12, v2, v16, v12
	v_pk_fma_f16 v18, v2, v17, v0
	v_lshrrev_b32_e32 v0, 16, v14
	v_mul_u32_u24_e32 v14, 0x10001, v20
	v_add_nc_u32_e32 v20, 0x7000, v123
	v_pk_fma_f16 v13, v3, v16, v13
	v_pk_fma_f16 v16, v3, v17, v1
	s_wait_dscnt 0x1
	v_pk_fma_f16 v19, v4, v14, v12
	v_and_b32_e32 v12, 0xffff, v15
	v_lshrrev_b32_e32 v15, 16, v15
	v_mul_u32_u24_e32 v17, 0x10001, v0
	ds_load_2addr_b64 v[0:3], v20 offset1:32
	v_mul_u32_u24_e32 v21, 0x10001, v15
	v_pk_fma_f16 v4, v4, v17, v18
	v_pk_fma_f16 v18, v5, v14, v13
	v_pk_fma_f16 v5, v5, v17, v16
	v_mul_u32_u24_e32 v16, 0x10001, v12
	ds_load_b128 v[12:15], v138 offset:464
	s_wait_dscnt 0x2
	v_and_b32_e32 v17, 0xffff, v8
	v_lshrrev_b32_e32 v8, 16, v8
	v_pk_fma_f16 v4, v6, v21, v4
	v_pk_fma_f16 v22, v6, v16, v19
	;; [unrolled: 1-line block ×3, first 2 shown]
	v_mul_u32_u24_e32 v23, 0x10001, v17
	ds_load_2addr_b64 v[16:19], v20 offset0:64 offset1:96
	v_and_b32_e32 v24, 0xffff, v9
	v_pk_fma_f16 v5, v7, v21, v5
	v_lshrrev_b32_e32 v7, 16, v9
	v_mul_u32_u24_e32 v8, 0x10001, v8
	s_wait_dscnt 0x2
	v_pk_fma_f16 v9, v0, v23, v22
	v_mul_u32_u24_e32 v21, 0x10001, v24
	s_delay_alu instid0(VALU_DEP_3)
	v_pk_fma_f16 v0, v0, v8, v4
	v_pk_fma_f16 v4, v1, v23, v6
	v_mul_u32_u24_e32 v6, 0x10001, v7
	v_pk_fma_f16 v1, v1, v8, v5
	v_and_b32_e32 v7, 0xffff, v10
	v_lshrrev_b32_e32 v8, 16, v10
	v_pk_fma_f16 v5, v2, v21, v9
	v_pk_fma_f16 v9, v2, v6, v0
	;; [unrolled: 1-line block ×4, first 2 shown]
	v_mul_u32_u24_e32 v7, 0x10001, v7
	ds_load_2addr_b64 v[0:3], v20 offset0:128 offset1:160
	v_and_b32_e32 v10, 0xffff, v11
	v_lshrrev_b32_e32 v11, 16, v11
	v_mul_u32_u24_e32 v8, 0x10001, v8
	s_wait_dscnt 0x1
	v_pk_fma_f16 v5, v16, v7, v5
	v_pk_fma_f16 v4, v17, v7, v4
	v_mul_u32_u24_e32 v7, 0x10001, v10
	v_mul_u32_u24_e32 v10, 0x10001, v11
	v_pk_fma_f16 v9, v16, v8, v9
	v_pk_fma_f16 v8, v17, v8, v6
	v_and_b32_e32 v6, 0xffff, v12
	v_lshrrev_b32_e32 v11, 16, v12
	v_pk_fma_f16 v12, v18, v7, v5
	v_pk_fma_f16 v16, v19, v7, v4
	;; [unrolled: 1-line block ×3, first 2 shown]
	v_mul_u32_u24_e32 v17, 0x10001, v6
	ds_load_2addr_b64 v[4:7], v20 offset0:192 offset1:224
	v_pk_fma_f16 v19, v19, v10, v8
	v_and_b32_e32 v8, 0xffff, v13
	v_lshrrev_b32_e32 v10, 16, v13
	v_mul_u32_u24_e32 v18, 0x10001, v11
	s_wait_dscnt 0x1
	v_pk_fma_f16 v12, v0, v17, v12
	v_pk_fma_f16 v13, v1, v17, v16
	v_mul_u32_u24_e32 v16, 0x10001, v8
	v_mul_u32_u24_e32 v17, 0x10001, v10
	v_pk_fma_f16 v0, v0, v18, v9
	v_and_b32_e32 v20, 0xffff, v14
	ds_load_b128 v[8:11], v138 offset:480
	v_pk_fma_f16 v1, v1, v18, v19
	v_pk_fma_f16 v12, v2, v16, v12
	;; [unrolled: 1-line block ×3, first 2 shown]
	v_lshrrev_b32_e32 v0, 16, v14
	v_mul_u32_u24_e32 v14, 0x10001, v20
	v_add_nc_u32_e32 v20, 0x7800, v123
	v_pk_fma_f16 v13, v3, v16, v13
	v_pk_fma_f16 v16, v3, v17, v1
	s_wait_dscnt 0x1
	v_pk_fma_f16 v19, v4, v14, v12
	v_and_b32_e32 v12, 0xffff, v15
	v_lshrrev_b32_e32 v15, 16, v15
	v_mul_u32_u24_e32 v17, 0x10001, v0
	ds_load_2addr_b64 v[0:3], v20 offset1:32
	v_mul_u32_u24_e32 v21, 0x10001, v15
	v_pk_fma_f16 v4, v4, v17, v18
	v_pk_fma_f16 v18, v5, v14, v13
	v_pk_fma_f16 v5, v5, v17, v16
	v_mul_u32_u24_e32 v16, 0x10001, v12
	ds_load_b128 v[12:15], v138 offset:496
	s_wait_dscnt 0x2
	v_and_b32_e32 v17, 0xffff, v8
	v_lshrrev_b32_e32 v8, 16, v8
	v_pk_fma_f16 v4, v6, v21, v4
	v_pk_fma_f16 v22, v6, v16, v19
	;; [unrolled: 1-line block ×3, first 2 shown]
	v_mul_u32_u24_e32 v23, 0x10001, v17
	v_and_b32_e32 v24, 0xffff, v9
	ds_load_2addr_b64 v[16:19], v20 offset0:64 offset1:96
	v_pk_fma_f16 v5, v7, v21, v5
	v_lshrrev_b32_e32 v7, 16, v9
	v_mul_u32_u24_e32 v8, 0x10001, v8
	s_wait_dscnt 0x2
	v_pk_fma_f16 v9, v0, v23, v22
	v_pk_fma_f16 v6, v1, v23, v6
	v_mul_u32_u24_e32 v21, 0x10001, v7
	v_pk_fma_f16 v0, v0, v8, v4
	v_mul_u32_u24_e32 v4, 0x10001, v24
	v_pk_fma_f16 v1, v1, v8, v5
	v_and_b32_e32 v5, 0xffff, v10
	s_delay_alu instid0(VALU_DEP_4) | instskip(NEXT) | instid1(VALU_DEP_4)
	v_pk_fma_f16 v0, v2, v21, v0
	v_pk_fma_f16 v8, v2, v4, v9
	v_lshrrev_b32_e32 v9, 16, v10
	v_pk_fma_f16 v2, v3, v4, v6
	v_mul_u32_u24_e32 v10, 0x10001, v5
	ds_load_2addr_b64 v[4:7], v20 offset0:128 offset1:160
	v_pk_fma_f16 v1, v3, v21, v1
	v_and_b32_e32 v3, 0xffff, v11
	v_lshrrev_b32_e32 v11, 16, v11
	v_mul_u32_u24_e32 v9, 0x10001, v9
	s_wait_dscnt 0x1
	v_pk_fma_f16 v8, v16, v10, v8
	v_pk_fma_f16 v2, v17, v10, v2
	v_mul_u32_u24_e32 v3, 0x10001, v3
	v_mul_u32_u24_e32 v10, 0x10001, v11
	v_pk_fma_f16 v0, v16, v9, v0
	v_and_b32_e32 v11, 0xffff, v12
	v_lshrrev_b32_e32 v12, 16, v12
	v_pk_fma_f16 v1, v17, v9, v1
	v_pk_fma_f16 v16, v18, v3, v8
	v_pk_fma_f16 v0, v18, v10, v0
	v_mul_u32_u24_e32 v11, 0x10001, v11
	v_and_b32_e32 v18, 0xffff, v13
	v_lshrrev_b32_e32 v13, 16, v13
	v_mul_u32_u24_e32 v12, 0x10001, v12
	v_pk_fma_f16 v17, v19, v3, v2
	v_pk_fma_f16 v10, v19, v10, v1
	s_wait_dscnt 0x0
	v_pk_fma_f16 v16, v4, v11, v16
	v_pk_add_f32 v[8:9], v[116:117], v[118:119]
	v_pk_fma_f16 v4, v4, v12, v0
	ds_load_2addr_b64 v[0:3], v20 offset0:192 offset1:224
	s_wait_dscnt 0x0
	s_barrier_signal -1
	s_barrier_wait -1
	s_load_b32 s5, s[20:21], 0x4
	v_pk_fma_f16 v11, v5, v11, v17
	v_pk_fma_f16 v5, v5, v12, v10
	v_mul_u32_u24_e32 v10, 0x10001, v18
	v_mul_u32_u24_e32 v12, 0x10001, v13
	v_and_b32_e32 v13, 0xffff, v14
	v_lshrrev_b32_e32 v14, 16, v14
	v_pk_fma_f32 v[92:93], v[92:93], v[114:115], v[8:9]
	v_pk_fma_f16 v16, v6, v10, v16
	v_pk_fma_f16 v4, v6, v12, v4
	v_pk_fma_f16 v6, v7, v10, v11
	v_mul_u32_u24_e32 v10, 0x10001, v13
	v_mul_u32_u24_e32 v11, 0x10001, v14
	v_and_b32_e32 v13, 0xffff, v15
	v_lshrrev_b32_e32 v14, 16, v15
	v_pk_fma_f16 v5, v7, v12, v5
	v_pk_fma_f16 v7, v0, v10, v16
	;; [unrolled: 1-line block ×3, first 2 shown]
	v_mul_u32_u24_e32 v4, 0x10001, v13
	v_mul_u32_u24_e32 v12, 0x10001, v14
	v_pk_fma_f16 v6, v1, v10, v6
	v_pk_fma_f16 v1, v1, v11, v5
	s_wait_kmcnt 0x0
	s_lshl_b32 s5, s5, 7
	v_pk_fma_f16 v147, v2, v4, v7
	v_pk_fma_f16 v146, v2, v12, v0
	;; [unrolled: 1-line block ×4, first 2 shown]
	s_add_co_i32 s4, s5, s4
	s_delay_alu instid0(SALU_CYCLE_1)
	s_cmp_ge_i32 s4, s30
	s_cbranch_scc1 .LBB82_43
; %bb.42:                               ;   in Loop: Header=BB82_9 Depth=1
	v_dual_mov_b32 v35, v112 :: v_dual_mov_b32 v34, v113
	s_branch .LBB82_9
.LBB82_43:
	v_mov_b32_e32 v3, v125
.LBB82_44:
	v_cmp_lt_i32_e32 vcc_lo, v152, v126
	s_cmp_lg_u64 s[12:13], 0
	s_cselect_b32 s3, -1, 0
	s_cmp_eq_u32 s31, 0
	v_cndmask_b32_e32 v0, v3, v152, vcc_lo
	v_cmp_lt_i32_e32 vcc_lo, v148, v126
	s_cselect_b32 s4, -1, 0
	s_delay_alu instid0(SALU_CYCLE_1) | instskip(SKIP_2) | instid1(VALU_DEP_2)
	s_and_b32 s3, s4, s3
	v_cndmask_b32_e32 v2, v3, v148, vcc_lo
	v_cmp_lt_i32_e32 vcc_lo, v149, v126
	v_dual_lshlrev_b32 v2, 2, v2 :: v_dual_lshlrev_b32 v1, 2, v0
	ds_bpermute_b32 v0, v1, v92
	ds_bpermute_b32 v1, v1, v93
	s_wait_dscnt 0x0
	v_pk_add_f32 v[0:1], v[92:93], v[0:1]
	ds_bpermute_b32 v4, v2, v0
	ds_bpermute_b32 v5, v2, v1
	v_cndmask_b32_e32 v2, v3, v149, vcc_lo
	v_cmp_lt_i32_e32 vcc_lo, v150, v126
	s_delay_alu instid0(VALU_DEP_2)
	v_lshlrev_b32_e32 v2, 2, v2
	s_wait_dscnt 0x0
	v_pk_add_f32 v[0:1], v[0:1], v[4:5]
	ds_bpermute_b32 v4, v2, v0
	ds_bpermute_b32 v5, v2, v1
	v_cndmask_b32_e32 v2, v3, v150, vcc_lo
	v_cmp_lt_i32_e32 vcc_lo, v151, v126
	s_delay_alu instid0(VALU_DEP_2)
	v_lshlrev_b32_e32 v2, 2, v2
	s_wait_dscnt 0x0
	v_pk_add_f32 v[0:1], v[0:1], v[4:5]
	ds_bpermute_b32 v4, v2, v0
	ds_bpermute_b32 v5, v2, v1
	v_cndmask_b32_e32 v2, v3, v151, vcc_lo
	s_and_b32 vcc_lo, exec_lo, s3
	s_delay_alu instid0(VALU_DEP_1)
	v_lshlrev_b32_e32 v3, 2, v2
	s_wait_dscnt 0x0
	v_pk_add_f32 v[0:1], v[0:1], v[4:5]
	ds_bpermute_b32 v2, v3, v0
	ds_bpermute_b32 v3, v3, v1
	s_wait_dscnt 0x0
	v_pk_add_f32 v[0:1], v[0:1], v[2:3]
	s_cbranch_vccz .LBB82_46
; %bb.45:
	s_ashr_i32 s29, s28, 31
	v_dual_mov_b32 v2, 0 :: v_dual_max_num_f32 v4, v112, v112
	s_lshl_b64 s[4:5], s[28:29], 2
	v_max_num_f32_e32 v6, v113, v113
	s_add_nc_u64 s[4:5], s[12:13], s[4:5]
	global_load_b64 v[2:3], v2, s[4:5]
	s_wait_loadcnt 0x0
	v_dual_max_num_f32 v5, v2, v2 :: v_dual_max_num_f32 v7, v3, v3
	s_delay_alu instid0(VALU_DEP_1) | instskip(NEXT) | instid1(VALU_DEP_1)
	v_dual_max_num_f32 v4, v4, v5 :: v_dual_max_num_f32 v5, v6, v7
	v_dual_sub_f32 v6, v112, v4 :: v_dual_sub_f32 v7, v2, v4
	s_delay_alu instid0(VALU_DEP_2) | instskip(SKIP_1) | instid1(VALU_DEP_3)
	v_dual_sub_f32 v8, v113, v5 :: v_dual_sub_f32 v9, v3, v5
	v_mov_b64_e32 v[112:113], v[4:5]
	v_dual_mul_f32 v2, 0x3fb8aa3b, v6 :: v_dual_mul_f32 v3, 0x3fb8aa3b, v7
	s_delay_alu instid0(VALU_DEP_3) | instskip(SKIP_1) | instid1(VALU_DEP_3)
	v_mul_f32_e32 v10, 0x3fb8aa3b, v8
	v_cmp_ngt_f32_e32 vcc_lo, 0xc2ce8ed0, v6
	v_fma_f32 v12, 0x3fb8aa3b, v6, -v2
	v_rndne_f32_e32 v13, v2
	v_rndne_f32_e32 v15, v3
	v_fma_f32 v14, 0x3fb8aa3b, v7, -v3
	v_fma_f32 v16, 0x3fb8aa3b, v8, -v10
	v_fmac_f32_e32 v12, 0x32a5705f, v6
	s_delay_alu instid0(VALU_DEP_4) | instskip(SKIP_3) | instid1(VALU_DEP_4)
	v_dual_sub_f32 v2, v2, v13 :: v_dual_sub_f32 v3, v3, v15
	v_mul_f32_e32 v11, 0x3fb8aa3b, v9
	v_rndne_f32_e32 v17, v10
	v_cvt_i32_f32_e32 v13, v13
	v_add_f32_e32 v2, v2, v12
	v_fmac_f32_e32 v14, 0x32a5705f, v7
	v_fma_f32 v18, 0x3fb8aa3b, v9, -v11
	v_rndne_f32_e32 v19, v11
	v_fmac_f32_e32 v16, 0x32a5705f, v8
	v_exp_f32_e32 v2, v2
	s_delay_alu instid0(VALU_DEP_3) | instskip(NEXT) | instid1(VALU_DEP_3)
	v_dual_add_f32 v3, v3, v14 :: v_dual_fmac_f32 v18, 0x32a5705f, v9
	v_dual_sub_f32 v11, v11, v19 :: v_dual_sub_f32 v10, v10, v17
	v_cvt_i32_f32_e32 v14, v17
	s_delay_alu instid0(VALU_DEP_3) | instskip(NEXT) | instid1(TRANS32_DEP_2)
	v_exp_f32_e32 v3, v3
	v_ldexp_f32 v2, v2, v13
	s_delay_alu instid0(VALU_DEP_3) | instskip(SKIP_2) | instid1(VALU_DEP_4)
	v_dual_add_f32 v11, v11, v18 :: v_dual_add_f32 v10, v10, v16
	v_cvt_i32_f32_e32 v12, v15
	v_cvt_i32_f32_e32 v15, v19
	v_cndmask_b32_e32 v2, 0, v2, vcc_lo
	v_cmp_ngt_f32_e32 vcc_lo, 0xc2ce8ed0, v8
	v_exp_f32_e32 v10, v10
	v_exp_f32_e32 v11, v11
	s_delay_alu instid0(TRANS32_DEP_2) | instskip(NEXT) | instid1(VALU_DEP_1)
	v_ldexp_f32 v10, v10, v14
	v_cndmask_b32_e32 v10, 0, v10, vcc_lo
	v_cmp_nlt_f32_e32 vcc_lo, 0x42b17218, v6
	v_ldexp_f32 v6, v3, v12
	v_cndmask_b32_e32 v2, 0x7f800000, v2, vcc_lo
	v_cmp_nlt_f32_e32 vcc_lo, 0x42b17218, v8
	v_ldexp_f32 v8, v11, v15
	v_cndmask_b32_e32 v3, 0x7f800000, v10, vcc_lo
	v_cmp_ngt_f32_e32 vcc_lo, 0xc2ce8ed0, v7
	v_cvt_f16_f32_e32 v10, v2
	s_delay_alu instid0(VALU_DEP_3) | instskip(SKIP_2) | instid1(VALU_DEP_4)
	v_cvt_f16_f32_e32 v11, v3
	v_cndmask_b32_e32 v6, 0, v6, vcc_lo
	v_cmp_ngt_f32_e32 vcc_lo, 0xc2ce8ed0, v9
	v_and_b32_e32 v10, 0xffff, v10
	s_delay_alu instid0(VALU_DEP_4)
	v_and_b32_e32 v11, 0xffff, v11
	v_cndmask_b32_e32 v8, 0, v8, vcc_lo
	v_cmp_nlt_f32_e32 vcc_lo, 0x42b17218, v7
	v_cndmask_b32_e32 v6, 0x7f800000, v6, vcc_lo
	v_cmp_nlt_f32_e32 vcc_lo, 0x42b17218, v9
	v_mul_u32_u24_e32 v9, 0x10001, v11
	v_cndmask_b32_e32 v7, 0x7f800000, v8, vcc_lo
	v_mul_u32_u24_e32 v8, 0x10001, v10
	s_delay_alu instid0(VALU_DEP_3) | instskip(SKIP_1) | instid1(VALU_DEP_4)
	v_pk_mul_f16 v146, v146, v9
	v_pk_mul_f16 v32, v32, v9
	v_pk_fma_f32 v[0:1], v[0:1], v[2:3], v[6:7]
	s_delay_alu instid0(VALU_DEP_4)
	v_pk_mul_f16 v147, v147, v8
	v_pk_mul_f16 v33, v33, v8
.LBB82_46:
	s_mov_b32 s3, exec_lo
	v_cmpx_gt_i32_e64 s22, v121
	s_cbranch_execz .LBB82_55
; %bb.47:
	s_load_b32 s0, s[0:1], 0xd4
	v_mov_b32_e32 v2, 1.0
	s_wait_kmcnt 0x0
	s_cmp_lg_u32 s0, 1
	s_cselect_b32 s3, -1, 0
	s_cmp_eq_u32 s0, 1
	s_cselect_b32 s1, -1, 0
	s_and_b32 vcc_lo, exec_lo, s3
	s_cbranch_vccnz .LBB82_49
; %bb.48:
	v_div_scale_f32 v2, null, v0, v0, 1.0
	s_delay_alu instid0(VALU_DEP_1) | instskip(SKIP_1) | instid1(TRANS32_DEP_1)
	v_rcp_f32_e32 v3, v2
	v_nop
	v_fma_f32 v4, -v2, v3, 1.0
	s_delay_alu instid0(VALU_DEP_1) | instskip(SKIP_1) | instid1(VALU_DEP_1)
	v_fmac_f32_e32 v3, v4, v3
	v_div_scale_f32 v4, vcc_lo, 1.0, v0, 1.0
	v_mul_f32_e32 v5, v4, v3
	s_delay_alu instid0(VALU_DEP_1) | instskip(NEXT) | instid1(VALU_DEP_1)
	v_fma_f32 v6, -v2, v5, v4
	v_fmac_f32_e32 v5, v6, v3
	s_delay_alu instid0(VALU_DEP_1) | instskip(NEXT) | instid1(VALU_DEP_1)
	v_fma_f32 v2, -v2, v5, v4
	v_div_fmas_f32 v2, v2, v3, v5
	s_delay_alu instid0(VALU_DEP_1)
	v_div_fixup_f32 v2, v2, v0, 1.0
.LBB82_49:
	v_mad_u32 v3, s2, s22, v121
	v_dual_lshrrev_b32 v5, 16, v147 :: v_dual_mov_b32 v7, 0
	v_lshrrev_b32_e32 v9, 16, v33
	v_cvt_f32_f16_e64 v4, v147
	v_cvt_f32_f16_e32 v8, v33
	s_delay_alu instid0(VALU_DEP_4) | instskip(SKIP_4) | instid1(VALU_DEP_1)
	v_cvt_f32_f16_e32 v5, v5
	v_cmp_eq_u32_e32 vcc_lo, 0, v120
	v_cvt_f32_f16_e32 v9, v9
	v_mad_u32 v3, v3, s23, s28
	s_and_b32 s2, vcc_lo, s3
	v_mad_u32 v3, s0, v3, s31
	s_delay_alu instid0(VALU_DEP_1) | instskip(SKIP_1) | instid1(VALU_DEP_2)
	v_lshl_add_u32 v6, v3, 7, v122
	v_pk_mul_f32 v[4:5], v[2:3], v[4:5] op_sel_hi:[0,1]
	v_lshl_add_u64 v[10:11], v[6:7], 2, s[16:17]
	v_pk_mul_f32 v[6:7], v[2:3], v[8:9] op_sel_hi:[0,1]
	global_store_b128 v[10:11], v[4:7], off
	s_wait_xcnt 0x0
	s_and_saveexec_b32 s3, s2
	s_cbranch_execz .LBB82_51
; %bb.50:
	v_dual_mov_b32 v4, v112 :: v_dual_mov_b32 v5, v0
	global_store_b64 v3, v[4:5], s[18:19] scale_offset
.LBB82_51:
	s_wait_xcnt 0x0
	s_or_b32 exec_lo, exec_lo, s3
	v_mov_b32_e32 v0, 1.0
	s_and_not1_b32 vcc_lo, exec_lo, s1
	s_cbranch_vccnz .LBB82_53
; %bb.52:
	v_div_scale_f32 v0, null, v1, v1, 1.0
	s_delay_alu instid0(VALU_DEP_1) | instskip(SKIP_1) | instid1(TRANS32_DEP_1)
	v_rcp_f32_e32 v2, v0
	v_nop
	v_fma_f32 v4, -v0, v2, 1.0
	s_delay_alu instid0(VALU_DEP_1) | instskip(SKIP_1) | instid1(VALU_DEP_1)
	v_fmac_f32_e32 v2, v4, v2
	v_div_scale_f32 v4, vcc_lo, 1.0, v1, 1.0
	v_mul_f32_e32 v5, v4, v2
	s_delay_alu instid0(VALU_DEP_1) | instskip(NEXT) | instid1(VALU_DEP_1)
	v_fma_f32 v6, -v0, v5, v4
	v_fmac_f32_e32 v5, v6, v2
	s_delay_alu instid0(VALU_DEP_1) | instskip(NEXT) | instid1(VALU_DEP_1)
	v_fma_f32 v0, -v0, v5, v4
	v_div_fmas_f32 v0, v0, v2, v5
	s_delay_alu instid0(VALU_DEP_1)
	v_div_fixup_f32 v0, v0, v1, 1.0
.LBB82_53:
	v_dual_add_nc_u32 v2, s0, v3 :: v_dual_lshrrev_b32 v3, 16, v146
	v_dual_mov_b32 v5, 0 :: v_dual_lshrrev_b32 v9, 16, v32
	v_cvt_f32_f16_e64 v6, v146
	s_delay_alu instid0(VALU_DEP_3) | instskip(NEXT) | instid1(VALU_DEP_4)
	v_lshl_add_u32 v4, v2, 7, v122
	v_cvt_f32_f16_e32 v7, v3
	v_cvt_f32_f16_e32 v8, v32
	;; [unrolled: 1-line block ×3, first 2 shown]
	s_delay_alu instid0(VALU_DEP_4) | instskip(NEXT) | instid1(VALU_DEP_4)
	v_lshl_add_u64 v[10:11], v[4:5], 2, s[16:17]
	v_pk_mul_f32 v[4:5], v[0:1], v[6:7] op_sel_hi:[0,1]
	s_delay_alu instid0(VALU_DEP_3)
	v_pk_mul_f32 v[6:7], v[0:1], v[8:9] op_sel_hi:[0,1]
	global_store_b128 v[10:11], v[4:7], off
	s_wait_xcnt 0x0
	s_and_b32 exec_lo, exec_lo, s2
	s_cbranch_execz .LBB82_55
; %bb.54:
	v_mov_b32_e32 v0, v113
	global_store_b64 v2, v[0:1], s[18:19] scale_offset
.LBB82_55:
	s_sendmsg sendmsg(MSG_DEALLOC_VGPRS)
	s_endpgm
	.section	.rodata,"a",@progbits
	.p2align	6, 0x0
	.amdhsa_kernel _ZL15flash_attn_tileILi128ELi128ELi8ELi2ELb1EEvPKcS1_S1_S1_S1_PKiPfP15HIP_vector_typeIfLj2EEffffjfiS5_IjLj3EEiiiiiiiiiiiliiliiiiil
		.amdhsa_group_segment_fixed_size 43008
		.amdhsa_private_segment_fixed_size 0
		.amdhsa_kernarg_size 464
		.amdhsa_user_sgpr_count 2
		.amdhsa_user_sgpr_dispatch_ptr 0
		.amdhsa_user_sgpr_queue_ptr 0
		.amdhsa_user_sgpr_kernarg_segment_ptr 1
		.amdhsa_user_sgpr_dispatch_id 0
		.amdhsa_user_sgpr_kernarg_preload_length 0
		.amdhsa_user_sgpr_kernarg_preload_offset 0
		.amdhsa_user_sgpr_private_segment_size 0
		.amdhsa_wavefront_size32 1
		.amdhsa_uses_dynamic_stack 0
		.amdhsa_enable_private_segment 0
		.amdhsa_system_sgpr_workgroup_id_x 1
		.amdhsa_system_sgpr_workgroup_id_y 1
		.amdhsa_system_sgpr_workgroup_id_z 1
		.amdhsa_system_sgpr_workgroup_info 0
		.amdhsa_system_vgpr_workitem_id 1
		.amdhsa_next_free_vgpr 226
		.amdhsa_next_free_sgpr 43
		.amdhsa_named_barrier_count 0
		.amdhsa_reserve_vcc 1
		.amdhsa_float_round_mode_32 0
		.amdhsa_float_round_mode_16_64 0
		.amdhsa_float_denorm_mode_32 3
		.amdhsa_float_denorm_mode_16_64 3
		.amdhsa_fp16_overflow 0
		.amdhsa_memory_ordered 1
		.amdhsa_forward_progress 1
		.amdhsa_inst_pref_size 139
		.amdhsa_round_robin_scheduling 0
		.amdhsa_exception_fp_ieee_invalid_op 0
		.amdhsa_exception_fp_denorm_src 0
		.amdhsa_exception_fp_ieee_div_zero 0
		.amdhsa_exception_fp_ieee_overflow 0
		.amdhsa_exception_fp_ieee_underflow 0
		.amdhsa_exception_fp_ieee_inexact 0
		.amdhsa_exception_int_div_zero 0
	.end_amdhsa_kernel
	.section	.text._ZL15flash_attn_tileILi128ELi128ELi8ELi2ELb1EEvPKcS1_S1_S1_S1_PKiPfP15HIP_vector_typeIfLj2EEffffjfiS5_IjLj3EEiiiiiiiiiiiliiliiiiil,"axG",@progbits,_ZL15flash_attn_tileILi128ELi128ELi8ELi2ELb1EEvPKcS1_S1_S1_S1_PKiPfP15HIP_vector_typeIfLj2EEffffjfiS5_IjLj3EEiiiiiiiiiiiliiliiiiil,comdat
.Lfunc_end82:
	.size	_ZL15flash_attn_tileILi128ELi128ELi8ELi2ELb1EEvPKcS1_S1_S1_S1_PKiPfP15HIP_vector_typeIfLj2EEffffjfiS5_IjLj3EEiiiiiiiiiiiliiliiiiil, .Lfunc_end82-_ZL15flash_attn_tileILi128ELi128ELi8ELi2ELb1EEvPKcS1_S1_S1_S1_PKiPfP15HIP_vector_typeIfLj2EEffffjfiS5_IjLj3EEiiiiiiiiiiiliiliiiiil
                                        ; -- End function
	.set _ZL15flash_attn_tileILi128ELi128ELi8ELi2ELb1EEvPKcS1_S1_S1_S1_PKiPfP15HIP_vector_typeIfLj2EEffffjfiS5_IjLj3EEiiiiiiiiiiiliiliiiiil.num_vgpr, 226
	.set _ZL15flash_attn_tileILi128ELi128ELi8ELi2ELb1EEvPKcS1_S1_S1_S1_PKiPfP15HIP_vector_typeIfLj2EEffffjfiS5_IjLj3EEiiiiiiiiiiiliiliiiiil.num_agpr, 0
	.set _ZL15flash_attn_tileILi128ELi128ELi8ELi2ELb1EEvPKcS1_S1_S1_S1_PKiPfP15HIP_vector_typeIfLj2EEffffjfiS5_IjLj3EEiiiiiiiiiiiliiliiiiil.numbered_sgpr, 43
	.set _ZL15flash_attn_tileILi128ELi128ELi8ELi2ELb1EEvPKcS1_S1_S1_S1_PKiPfP15HIP_vector_typeIfLj2EEffffjfiS5_IjLj3EEiiiiiiiiiiiliiliiiiil.num_named_barrier, 0
	.set _ZL15flash_attn_tileILi128ELi128ELi8ELi2ELb1EEvPKcS1_S1_S1_S1_PKiPfP15HIP_vector_typeIfLj2EEffffjfiS5_IjLj3EEiiiiiiiiiiiliiliiiiil.private_seg_size, 0
	.set _ZL15flash_attn_tileILi128ELi128ELi8ELi2ELb1EEvPKcS1_S1_S1_S1_PKiPfP15HIP_vector_typeIfLj2EEffffjfiS5_IjLj3EEiiiiiiiiiiiliiliiiiil.uses_vcc, 1
	.set _ZL15flash_attn_tileILi128ELi128ELi8ELi2ELb1EEvPKcS1_S1_S1_S1_PKiPfP15HIP_vector_typeIfLj2EEffffjfiS5_IjLj3EEiiiiiiiiiiiliiliiiiil.uses_flat_scratch, 0
	.set _ZL15flash_attn_tileILi128ELi128ELi8ELi2ELb1EEvPKcS1_S1_S1_S1_PKiPfP15HIP_vector_typeIfLj2EEffffjfiS5_IjLj3EEiiiiiiiiiiiliiliiiiil.has_dyn_sized_stack, 0
	.set _ZL15flash_attn_tileILi128ELi128ELi8ELi2ELb1EEvPKcS1_S1_S1_S1_PKiPfP15HIP_vector_typeIfLj2EEffffjfiS5_IjLj3EEiiiiiiiiiiiliiliiiiil.has_recursion, 0
	.set _ZL15flash_attn_tileILi128ELi128ELi8ELi2ELb1EEvPKcS1_S1_S1_S1_PKiPfP15HIP_vector_typeIfLj2EEffffjfiS5_IjLj3EEiiiiiiiiiiiliiliiiiil.has_indirect_call, 0
	.section	.AMDGPU.csdata,"",@progbits
; Kernel info:
; codeLenInByte = 17760
; TotalNumSgprs: 45
; NumVgprs: 226
; ScratchSize: 0
; MemoryBound: 0
; FloatMode: 240
; IeeeMode: 1
; LDSByteSize: 43008 bytes/workgroup (compile time only)
; SGPRBlocks: 0
; VGPRBlocks: 14
; NumSGPRsForWavesPerEU: 45
; NumVGPRsForWavesPerEU: 226
; NamedBarCnt: 0
; Occupancy: 4
; WaveLimiterHint : 1
; COMPUTE_PGM_RSRC2:SCRATCH_EN: 0
; COMPUTE_PGM_RSRC2:USER_SGPR: 2
; COMPUTE_PGM_RSRC2:TRAP_HANDLER: 0
; COMPUTE_PGM_RSRC2:TGID_X_EN: 1
; COMPUTE_PGM_RSRC2:TGID_Y_EN: 1
; COMPUTE_PGM_RSRC2:TGID_Z_EN: 1
; COMPUTE_PGM_RSRC2:TIDIG_COMP_CNT: 1
	.section	.text._ZL15flash_attn_tileILi128ELi128ELi4ELi2ELb1EEvPKcS1_S1_S1_S1_PKiPfP15HIP_vector_typeIfLj2EEffffjfiS5_IjLj3EEiiiiiiiiiiiliiliiiiil,"axG",@progbits,_ZL15flash_attn_tileILi128ELi128ELi4ELi2ELb1EEvPKcS1_S1_S1_S1_PKiPfP15HIP_vector_typeIfLj2EEffffjfiS5_IjLj3EEiiiiiiiiiiiliiliiiiil,comdat
	.globl	_ZL15flash_attn_tileILi128ELi128ELi4ELi2ELb1EEvPKcS1_S1_S1_S1_PKiPfP15HIP_vector_typeIfLj2EEffffjfiS5_IjLj3EEiiiiiiiiiiiliiliiiiil ; -- Begin function _ZL15flash_attn_tileILi128ELi128ELi4ELi2ELb1EEvPKcS1_S1_S1_S1_PKiPfP15HIP_vector_typeIfLj2EEffffjfiS5_IjLj3EEiiiiiiiiiiiliiliiiiil
	.p2align	8
	.type	_ZL15flash_attn_tileILi128ELi128ELi4ELi2ELb1EEvPKcS1_S1_S1_S1_PKiPfP15HIP_vector_typeIfLj2EEffffjfiS5_IjLj3EEiiiiiiiiiiiliiliiiiil,@function
_ZL15flash_attn_tileILi128ELi128ELi4ELi2ELb1EEvPKcS1_S1_S1_S1_PKiPfP15HIP_vector_typeIfLj2EEffffjfiS5_IjLj3EEiiiiiiiiiiiliiliiiiil: ; @_ZL15flash_attn_tileILi128ELi128ELi4ELi2ELb1EEvPKcS1_S1_S1_S1_PKiPfP15HIP_vector_typeIfLj2EEffffjfiS5_IjLj3EEiiiiiiiiiiiliiliiiiil
; %bb.0:
	s_clause 0x1
	s_load_b128 s[20:23], s[0:1], 0x5c
	s_load_b64 s[34:35], s[0:1], 0x80
	s_bfe_u32 s5, ttmp6, 0x40014
	s_lshr_b32 s4, ttmp7, 16
	s_add_co_i32 s5, s5, 1
	s_bfe_u32 s6, ttmp6, 0x40008
	s_mul_i32 s5, s4, s5
	s_load_b64 s[38:39], s[0:1], 0xb8
	s_add_co_i32 s6, s6, s5
	s_mov_b64 s[36:37], 0
	s_wait_kmcnt 0x0
	s_lshr_b32 s2, s23, 31
	s_delay_alu instid0(SALU_CYCLE_1) | instskip(NEXT) | instid1(SALU_CYCLE_1)
	s_add_co_i32 s2, s23, s2
	s_ashr_i32 s3, s2, 1
	s_delay_alu instid0(SALU_CYCLE_1) | instskip(SKIP_1) | instid1(SALU_CYCLE_2)
	s_cvt_f32_u32 s2, s3
	s_sub_co_i32 s8, 0, s3
	v_rcp_iflag_f32_e32 v1, s2
	v_nop
	s_delay_alu instid0(TRANS32_DEP_1) | instskip(SKIP_1) | instid1(SALU_CYCLE_3)
	v_readfirstlane_b32 s2, v1
	s_mul_f32 s2, s2, 0x4f7ffffe
	s_cvt_u32_f32 s7, s2
	s_getreg_b32 s2, hwreg(HW_REG_IB_STS2, 6, 4)
	s_delay_alu instid0(SALU_CYCLE_2) | instskip(NEXT) | instid1(SALU_CYCLE_1)
	s_mul_i32 s8, s8, s7
	s_mul_hi_u32 s8, s7, s8
	s_delay_alu instid0(SALU_CYCLE_1) | instskip(SKIP_2) | instid1(SALU_CYCLE_1)
	s_add_co_i32 s7, s7, s8
	s_cmp_eq_u32 s2, 0
	s_cselect_b32 s4, s4, s6
	s_mul_hi_u32 s5, s4, s7
	s_delay_alu instid0(SALU_CYCLE_1) | instskip(SKIP_2) | instid1(SALU_CYCLE_1)
	s_mul_i32 s6, s5, s3
	s_add_co_i32 s7, s5, 1
	s_sub_co_i32 s6, s4, s6
	s_sub_co_i32 s8, s6, s3
	s_cmp_ge_u32 s6, s3
	s_cselect_b32 s5, s7, s5
	s_cselect_b32 s6, s8, s6
	s_add_co_i32 s7, s5, 1
	s_cmp_ge_u32 s6, s3
	s_cselect_b32 s28, s7, s5
	s_abs_i32 s3, s35
	s_lshl_b32 s4, s4, 1
	s_cvt_f32_u32 s5, s3
	s_sub_co_i32 s6, 0, s3
	s_mul_i32 s7, s28, s23
	s_abs_i32 s8, s23
	v_rcp_iflag_f32_e32 v1, s5
	s_sub_co_i32 s30, s4, s7
	v_nop
	s_delay_alu instid0(TRANS32_DEP_1) | instskip(SKIP_1) | instid1(SALU_CYCLE_3)
	v_readfirstlane_b32 s5, v1
	s_mul_f32 s5, s5, 0x4f7ffffe
	s_cvt_u32_f32 s5, s5
	s_delay_alu instid0(SALU_CYCLE_3) | instskip(NEXT) | instid1(SALU_CYCLE_1)
	s_mul_i32 s6, s6, s5
	s_mul_hi_u32 s6, s5, s6
	s_delay_alu instid0(SALU_CYCLE_1) | instskip(NEXT) | instid1(SALU_CYCLE_1)
	s_add_co_i32 s5, s5, s6
	s_mul_hi_u32 s4, s8, s5
	s_xor_b32 s5, s23, s35
	s_mul_i32 s6, s4, s3
	s_ashr_i32 s24, s5, 31
	s_sub_co_i32 s5, s8, s6
	s_add_co_i32 s6, s4, 1
	s_sub_co_i32 s7, s5, s3
	s_cmp_ge_u32 s5, s3
	s_cselect_b32 s4, s6, s4
	s_cselect_b32 s5, s7, s5
	s_add_co_i32 s6, s4, 1
	s_cmp_ge_u32 s5, s3
	s_cselect_b32 s3, s6, s4
	s_load_b512 s[4:19], s[0:1], 0x0
	s_xor_b32 s3, s3, s24
	s_delay_alu instid0(SALU_CYCLE_1) | instskip(NEXT) | instid1(SALU_CYCLE_1)
	s_sub_co_i32 s29, s3, s24
	s_abs_i32 s31, s29
	s_delay_alu instid0(SALU_CYCLE_1) | instskip(NEXT) | instid1(SALU_CYCLE_3)
	s_cvt_f32_u32 s3, s31
	v_rcp_iflag_f32_e32 v1, s3
	s_mov_b32 s3, 0
	v_nop
	s_delay_alu instid0(TRANS32_DEP_1)
	v_readfirstlane_b32 s24, v1
	s_wait_kmcnt 0x0
	s_cmp_eq_u64 s[10:11], 0
	s_cbranch_scc1 .LBB83_2
; %bb.1:
	s_abs_i32 s25, s38
	s_abs_i32 s33, s28
	s_cvt_f32_u32 s26, s25
	s_sub_co_i32 s27, 0, s25
	s_delay_alu instid0(SALU_CYCLE_2) | instskip(SKIP_1) | instid1(TRANS32_DEP_1)
	v_rcp_iflag_f32_e32 v1, s26
	v_nop
	v_readfirstlane_b32 s26, v1
	s_mul_f32 s26, s26, 0x4f7ffffe
	s_delay_alu instid0(SALU_CYCLE_3) | instskip(NEXT) | instid1(SALU_CYCLE_3)
	s_cvt_u32_f32 s26, s26
	s_mul_i32 s27, s27, s26
	s_delay_alu instid0(SALU_CYCLE_1) | instskip(NEXT) | instid1(SALU_CYCLE_1)
	s_mul_hi_u32 s27, s26, s27
	s_add_co_i32 s26, s26, s27
	s_delay_alu instid0(SALU_CYCLE_1) | instskip(SKIP_2) | instid1(SALU_CYCLE_1)
	s_mul_hi_u32 s35, s33, s26
	s_load_b64 s[26:27], s[0:1], 0xc8
	s_mul_i32 s35, s35, s25
	s_sub_co_i32 s33, s33, s35
	s_ashr_i32 s35, s28, 31
	s_sub_co_i32 s36, s33, s25
	s_cmp_ge_u32 s33, s25
	s_cselect_b32 s33, s36, s33
	s_delay_alu instid0(SALU_CYCLE_1) | instskip(SKIP_2) | instid1(SALU_CYCLE_1)
	s_sub_co_i32 s36, s33, s25
	s_cmp_ge_u32 s33, s25
	s_cselect_b32 s25, s36, s33
	s_xor_b32 s25, s25, s35
	s_delay_alu instid0(SALU_CYCLE_1) | instskip(NEXT) | instid1(SALU_CYCLE_1)
	s_sub_co_i32 s36, s25, s35
	s_ashr_i32 s37, s36, 31
	s_wait_kmcnt 0x0
	s_mul_u64 s[26:27], s[26:27], s[36:37]
	s_delay_alu instid0(SALU_CYCLE_1)
	s_add_nc_u64 s[36:37], s[10:11], s[26:27]
.LBB83_2:
	s_bfe_u32 s10, ttmp6, 0x4000c
	s_and_b32 s11, ttmp6, 15
	s_add_co_i32 s10, s10, 1
	v_bfe_u32 v1, v0, 10, 10
	s_mul_i32 s10, ttmp9, s10
	s_load_b96 s[40:42], s[0:1], 0x70
	s_add_co_i32 s11, s11, s10
	s_cmp_eq_u32 s2, 0
	v_and_b32_e32 v76, 0x3ff, v0
	s_cselect_b32 s10, ttmp9, s11
	v_lshl_add_u32 v79, v1, 9, 0x2400
	v_lshl_add_u32 v77, s10, 2, v1
	s_delay_alu instid0(VALU_DEP_3) | instskip(NEXT) | instid1(VALU_DEP_2)
	v_dual_mov_b32 v3, 0 :: v_dual_lshlrev_b32 v6, 4, v76
	v_mul_hi_u32 v2, s20, v77
	s_delay_alu instid0(VALU_DEP_2) | instskip(SKIP_3) | instid1(VALU_DEP_2)
	v_mov_b32_e32 v7, v3
	s_wait_kmcnt 0x0
	s_mul_i32 s20, s30, s41
	s_ashr_i32 s27, s41, 31
	v_add_nc_u32_e32 v2, v77, v2
	s_mov_b32 s26, s41
	s_ashr_i32 s41, s40, 31
	s_delay_alu instid0(SALU_CYCLE_1) | instskip(NEXT) | instid1(VALU_DEP_1)
	s_lshr_b64 s[40:41], s[40:41], 2
	v_lshrrev_b32_e32 v2, s21, v2
	s_ashr_i32 s21, s20, 31
	s_delay_alu instid0(VALU_DEP_1) | instskip(NEXT) | instid1(VALU_DEP_1)
	v_mul_lo_u32 v2, v2, s22
	v_sub_nc_u32_e32 v2, v77, v2
	s_delay_alu instid0(VALU_DEP_1) | instskip(SKIP_1) | instid1(SALU_CYCLE_1)
	v_mul_u64_e32 v[4:5], s[40:41], v[2:3]
	s_mul_i32 s40, s28, s42
	s_ashr_i32 s41, s40, 31
	s_delay_alu instid0(SALU_CYCLE_1) | instskip(NEXT) | instid1(SALU_CYCLE_1)
	s_add_nc_u64 s[4:5], s[4:5], s[40:41]
	s_add_nc_u64 s[4:5], s[4:5], s[20:21]
	s_delay_alu instid0(VALU_DEP_1) | instid1(SALU_CYCLE_1)
	v_lshl_add_u64 v[4:5], v[4:5], 2, s[4:5]
	s_and_b64 s[4:5], s[26:27], -4
	s_cmp_eq_u64 s[14:15], 0
	s_delay_alu instid0(VALU_DEP_1) | instskip(NEXT) | instid1(VALU_DEP_1)
	v_add_nc_u64_e32 v[12:13], v[4:5], v[6:7]
	v_add_nc_u64_e32 v[14:15], s[4:5], v[12:13]
	s_load_b32 s4, s[0:1], 0x40
	s_clause 0x1
	global_load_b128 v[4:7], v[12:13], off
	global_load_b128 v[8:11], v[14:15], off
	s_wait_loadcnt 0x1
	s_wait_kmcnt 0x0
	v_fma_mixlo_f16 v0, s4, v5, 0
	v_fma_mixlo_f16 v3, s4, v4, 0
	;; [unrolled: 1-line block ×4, first 2 shown]
	s_wait_loadcnt 0x0
	v_fma_mixlo_f16 v6, s4, v9, 0
	v_fma_mixlo_f16 v7, s4, v8, 0
	v_lshlrev_b32_e32 v0, 16, v0
	v_and_b32_e32 v3, 0xffff, v3
	v_fma_mixlo_f16 v8, s4, v10, 0
	v_fma_mixlo_f16 v9, s4, v11, 0
	v_lshlrev_b32_e32 v6, 16, v6
	v_and_b32_e32 v7, 0xffff, v7
	v_dual_lshlrev_b32 v80, 3, v76 :: v_dual_lshlrev_b32 v5, 16, v5
	v_and_b32_e32 v4, 0xffff, v4
	v_dual_lshlrev_b32 v3, 16, v9 :: v_dual_bitop2_b32 v0, v0, v3 bitop3:0x54
	v_and_b32_e32 v8, 0xffff, v8
	s_delay_alu instid0(VALU_DEP_4) | instskip(NEXT) | instid1(VALU_DEP_4)
	v_dual_add_nc_u32 v9, v79, v80 :: v_dual_bitop2_b32 v6, v6, v7 bitop3:0x54
	v_or3_b32 v5, v5, v4, 0
	s_delay_alu instid0(VALU_DEP_4) | instskip(NEXT) | instid1(VALU_DEP_4)
	v_or3_b32 v4, 0, 0, v0
	v_or3_b32 v7, v3, v8, 0
	s_delay_alu instid0(VALU_DEP_4)
	v_or3_b32 v6, 0, 0, v6
	ds_store_2addr_b64 v9, v[4:5], v[6:7] offset1:32
	s_wait_dscnt 0x0
	s_barrier_signal -1
	s_barrier_wait -1
	s_cbranch_scc1 .LBB83_4
; %bb.3:
	s_load_b32 s4, s[0:1], 0xd0
	s_wait_kmcnt 0x0
	s_mul_i32 s4, s4, s28
	s_delay_alu instid0(SALU_CYCLE_1)
	s_add_co_i32 s4, s4, s10
	s_load_b32 s34, s[14:15], s4 offset:0x0 scale_offset
.LBB83_4:
	s_wait_xcnt 0x0
	s_bfe_u32 s4, ttmp6, 0x40010
	s_and_b32 s5, ttmp7, 0xffff
	s_add_co_i32 s4, s4, 1
	s_bfe_u32 s10, ttmp6, 0x40004
	s_mul_i32 s4, s5, s4
	v_mbcnt_lo_u32_b32 v81, -1, 0
	s_add_co_i32 s10, s10, s4
	s_cmp_eq_u32 s2, 0
	s_mov_b32 s2, 0
	s_cselect_b32 s33, s5, s10
	s_delay_alu instid0(SALU_CYCLE_1)
	s_lshl_b32 s10, s33, 6
	s_wait_kmcnt 0x0
	s_cmp_lt_i32 s10, s34
	s_cbranch_scc1 .LBB83_7
; %bb.5:
	v_mbcnt_lo_u32_b32 v0, -1, 0
	s_delay_alu instid0(VALU_DEP_1)
	v_dual_mov_b32 v82, 32 :: v_dual_bitop2_b32 v98, 16, v0 bitop3:0x14
	v_xor_b32_e32 v94, 8, v0
	v_xor_b32_e32 v95, 4, v0
	v_xor_b32_e32 v96, 2, v0
	v_xor_b32_e32 v97, 1, v0
	v_lshlrev_b32_e32 v78, 2, v76
	s_and_not1_b32 vcc_lo, exec_lo, s2
	s_cbranch_vccz .LBB83_8
; %bb.6:
	v_dual_mov_b32 v75, 0xfeffffff :: v_dual_mov_b32 v24, 0
	v_dual_mov_b32 v55, 0 :: v_dual_mov_b32 v25, 0
	;; [unrolled: 1-line block ×3, first 2 shown]
	s_delay_alu instid0(VALU_DEP_2)
	v_dual_mov_b32 v74, v75 :: v_dual_mov_b32 v54, v55
	s_branch .LBB83_28
.LBB83_7:
                                        ; implicit-def: $vgpr0
                                        ; implicit-def: $vgpr82
                                        ; implicit-def: $vgpr98
                                        ; implicit-def: $vgpr94
                                        ; implicit-def: $vgpr95
                                        ; implicit-def: $vgpr96
                                        ; implicit-def: $vgpr97
	v_lshlrev_b32_e32 v78, 2, v76
.LBB83_8:
	s_mul_f32 s2, s24, 0x4f7ffffe
	s_clause 0x1
	s_load_b128 s[24:27], s[0:1], 0x98
	s_load_b64 s[4:5], s[0:1], 0x8c
	s_sub_co_i32 s11, 0, s31
	s_mov_b32 s15, s3
	s_cvt_u32_f32 s14, s2
	s_abs_i32 s2, s30
	s_ashr_i32 s35, s39, 1
	s_load_b64 s[38:39], s[0:1], 0xa8
	s_mul_i32 s11, s11, s14
	s_ashr_i32 s20, s30, 31
	s_mul_hi_u32 s11, s14, s11
	s_ashr_i32 s21, s29, 31
	s_add_co_i32 s14, s14, s11
	v_dual_lshrrev_b32 v0, 3, v76 :: v_dual_lshrrev_b32 v4, 4, v76
	s_mul_u64 s[14:15], s[2:3], s[14:15]
	s_ashr_i32 s29, s28, 31
	s_mul_i32 s3, s15, s31
	s_xor_b32 s11, s20, s21
	s_sub_co_i32 s2, s2, s3
	s_wait_kmcnt 0x0
	s_ashr_i32 s14, s26, 2
	s_ashr_i32 s20, s4, 2
	s_add_co_i32 s3, s15, 1
	s_sub_co_i32 s4, s2, s31
	s_cmp_ge_u32 s2, s31
	v_lshl_add_u32 v3, v1, 2, v0
	s_cselect_b32 s3, s3, s15
	s_cselect_b32 s2, s4, s2
	s_add_co_i32 s4, s3, 1
	s_cmp_ge_u32 s2, s31
	v_mul_lo_u32 v52, s20, v3
	s_cselect_b32 s4, s4, s3
	s_mul_u64 s[2:3], s[24:25], s[28:29]
	s_xor_b32 s4, s4, s11
	s_load_b32 s31, s[0:1], 0x54
	s_sub_co_i32 s11, s4, s11
	s_add_nc_u64 s[2:3], s[6:7], s[2:3]
	s_mul_i32 s4, s11, s5
	s_mul_u64 s[6:7], s[38:39], s[28:29]
	s_ashr_i32 s5, s4, 31
	v_lshl_add_u32 v7, v1, 1, v4
	s_add_nc_u64 s[6:7], s[8:9], s[6:7]
	s_add_nc_u64 s[8:9], s[2:3], s[4:5]
	s_lshl_b32 s2, s20, 4
	s_delay_alu instid0(SALU_CYCLE_1) | instskip(SKIP_2) | instid1(VALU_DEP_3)
	v_dual_add_nc_u32 v56, s2, v52 :: v_dual_bitop2_b32 v0, 28, v78 bitop3:0x40
	v_mul_lo_u32 v4, s14, v7
	v_dual_ashrrev_i32 v53, 31, v52 :: v_dual_bitop2_b32 v6, 60, v78 bitop3:0x40
	v_dual_lshlrev_b32 v5, 2, v0 :: v_dual_mov_b32 v59, 0
	s_delay_alu instid0(VALU_DEP_4) | instskip(SKIP_1) | instid1(VALU_DEP_3)
	v_dual_add_nc_u32 v60, s2, v56 :: v_dual_ashrrev_i32 v57, 31, v56
	v_mad_u32 v89, v2, s35, v76
	v_mad_u32_u24 v83, 0x90, v3, v5
	s_mul_i32 s24, s11, s27
	s_delay_alu instid0(VALU_DEP_3) | instskip(SKIP_1) | instid1(SALU_CYCLE_1)
	v_dual_ashrrev_i32 v61, 31, v60 :: v_dual_add_nc_u32 v62, s2, v60
	s_lshl_b32 s2, s14, 3
	v_dual_lshlrev_b32 v3, 2, v6 :: v_dual_add_nc_u32 v8, s2, v4
	v_dual_mov_b32 v65, v59 :: v_dual_add_nc_u32 v84, 0x900, v83
	s_delay_alu instid0(VALU_DEP_3) | instskip(NEXT) | instid1(VALU_DEP_3)
	v_ashrrev_i32_e32 v63, 31, v62
	v_lshl_or_b32 v88, v7, 8, v3
	s_delay_alu instid0(VALU_DEP_4)
	v_add_nc_u32_e32 v10, s2, v8
	v_ashrrev_i32_e32 v5, 31, v4
	v_ashrrev_i32_e32 v9, 31, v8
	v_lshlrev_b32_e32 v64, 2, v0
	v_dual_mov_b32 v82, 32 :: v_dual_add_nc_u32 v85, 0x1200, v83
	v_dual_add_nc_u32 v2, s2, v10 :: v_dual_ashrrev_i32 v11, 31, v10
	v_lshlrev_b64_e32 v[66:67], 2, v[4:5]
	v_lshlrev_b64_e32 v[68:69], 2, v[8:9]
	v_dual_mov_b32 v23, v59 :: v_dual_add_nc_u32 v86, 0x1b00, v83
	s_delay_alu instid0(VALU_DEP_4)
	v_ashrrev_i32_e32 v3, 31, v2
	v_lshlrev_b64_e32 v[70:71], 2, v[10:11]
	v_mul_u32_u24_e32 v87, 0x90, v76
	v_lshl_add_u32 v90, v1, 8, 0x2c00
	v_dual_mov_b32 v22, v59 :: v_dual_add_nc_u32 v91, 0x800, v88
	v_lshlrev_b64_e32 v[72:73], 2, v[2:3]
	v_dual_mov_b32 v25, v59 :: v_dual_add_nc_u32 v92, 0x1000, v88
	v_dual_mov_b32 v24, v59 :: v_dual_add_nc_u32 v93, 0x1800, v88
	v_dual_mov_b32 v17, 0xfeffffff :: v_dual_lshlrev_b32 v58, 2, v6
	v_dual_mov_b32 v16, 0xfeffffff :: v_dual_mov_b32 v55, v59
	v_mov_b32_e32 v54, v59
	s_ashr_i32 s25, s24, 31
	s_ashr_i32 s21, s20, 31
	s_add_nc_u64 s[24:25], s[6:7], s[24:25]
	s_ashr_i32 s15, s14, 31
	s_add_nc_u64 s[26:27], s[0:1], 0xd0
	s_mov_b32 s7, 0xbbbac73d
.LBB83_9:                               ; =>This Inner Loop Header: Depth=1
	s_ashr_i32 s11, s10, 31
	v_mov_b32_e32 v36, 0
	s_mul_u64 s[2:3], s[10:11], s[20:21]
	v_mov_b32_e32 v37, 0
	s_lshl_b64 s[2:3], s[2:3], 2
	s_delay_alu instid0(SALU_CYCLE_1) | instskip(NEXT) | instid1(SALU_CYCLE_1)
	s_add_nc_u64 s[2:3], s[8:9], s[2:3]
	v_lshl_add_u64 v[0:1], v[52:53], 2, s[2:3]
	v_lshl_add_u64 v[2:3], v[56:57], 2, s[2:3]
	;; [unrolled: 1-line block ×4, first 2 shown]
	s_delay_alu instid0(VALU_DEP_4) | instskip(NEXT) | instid1(VALU_DEP_4)
	v_add_nc_u64_e32 v[6:7], v[0:1], v[64:65]
	v_add_nc_u64_e32 v[4:5], v[2:3], v[64:65]
	s_delay_alu instid0(VALU_DEP_4) | instskip(NEXT) | instid1(VALU_DEP_4)
	v_add_nc_u64_e32 v[2:3], v[8:9], v[64:65]
	v_add_nc_u64_e32 v[0:1], v[10:11], v[64:65]
	s_clause 0x3
	global_load_b128 v[8:11], v[6:7], off
	global_load_b128 v[12:15], v[4:5], off
	;; [unrolled: 1-line block ×4, first 2 shown]
	s_wait_loadcnt 0x3
	ds_store_b128 v83, v[8:11]
	s_wait_loadcnt 0x2
	ds_store_b128 v84, v[12:15]
	;; [unrolled: 2-line block ×4, first 2 shown]
	s_wait_dscnt 0x0
	s_barrier_signal -1
	s_barrier_wait -1
	ds_load_b128 v[10:13], v87
	ds_load_b128 v[18:21], v79
	ds_load_b128 v[26:29], v79 offset:256
	ds_load_b128 v[30:33], v87 offset:4608
	v_dual_mov_b32 v8, 0 :: v_dual_mov_b32 v9, 0
	s_wait_dscnt 0x2
	;;#ASMSTART
	v_dot2_f32_f16 v8, v10, v18, v8
	;;#ASMEND
	;;#ASMSTART
	v_dot2_f32_f16 v8, v11, v19, v8
	;;#ASMEND
	;;#ASMSTART
	v_dot2_f32_f16 v8, v12, v20, v8
	;;#ASMEND
	;;#ASMSTART
	v_dot2_f32_f16 v8, v13, v21, v8
	;;#ASMEND
	s_wait_dscnt 0x1
	;;#ASMSTART
	v_dot2_f32_f16 v36, v10, v26, v36
	;;#ASMEND
	;;#ASMSTART
	v_dot2_f32_f16 v36, v11, v27, v36
	;;#ASMEND
	;;#ASMSTART
	v_dot2_f32_f16 v36, v12, v28, v36
	;;#ASMEND
	;;#ASMSTART
	v_dot2_f32_f16 v36, v13, v29, v36
	;;#ASMEND
	s_wait_dscnt 0x0
	;;#ASMSTART
	v_dot2_f32_f16 v9, v30, v18, v9
	;;#ASMEND
	;;#ASMSTART
	v_dot2_f32_f16 v9, v31, v19, v9
	;;#ASMEND
	;;#ASMSTART
	v_dot2_f32_f16 v9, v32, v20, v9
	;;#ASMEND
	;;#ASMSTART
	v_dot2_f32_f16 v9, v33, v21, v9
	;;#ASMEND
	;;#ASMSTART
	v_dot2_f32_f16 v37, v30, v26, v37
	;;#ASMEND
	;;#ASMSTART
	v_dot2_f32_f16 v37, v31, v27, v37
	;;#ASMEND
	;;#ASMSTART
	v_dot2_f32_f16 v37, v32, v28, v37
	;;#ASMEND
	;;#ASMSTART
	v_dot2_f32_f16 v37, v33, v29, v37
	;;#ASMEND
	ds_load_b128 v[10:13], v87 offset:16
	ds_load_b128 v[18:21], v79 offset:16
	ds_load_b128 v[26:29], v79 offset:272
	ds_load_b128 v[30:33], v87 offset:4624
	s_wait_dscnt 0x2
	;;#ASMSTART
	v_dot2_f32_f16 v8, v10, v18, v8
	;;#ASMEND
	;;#ASMSTART
	v_dot2_f32_f16 v8, v11, v19, v8
	;;#ASMEND
	;;#ASMSTART
	v_dot2_f32_f16 v8, v12, v20, v8
	;;#ASMEND
	;;#ASMSTART
	v_dot2_f32_f16 v8, v13, v21, v8
	;;#ASMEND
	s_wait_dscnt 0x1
	;;#ASMSTART
	v_dot2_f32_f16 v36, v10, v26, v36
	;;#ASMEND
	;;#ASMSTART
	v_dot2_f32_f16 v36, v11, v27, v36
	;;#ASMEND
	;;#ASMSTART
	v_dot2_f32_f16 v36, v12, v28, v36
	;;#ASMEND
	;;#ASMSTART
	v_dot2_f32_f16 v36, v13, v29, v36
	;;#ASMEND
	s_wait_dscnt 0x0
	;;#ASMSTART
	v_dot2_f32_f16 v9, v30, v18, v9
	;;#ASMEND
	;;#ASMSTART
	v_dot2_f32_f16 v9, v31, v19, v9
	;;#ASMEND
	;;#ASMSTART
	v_dot2_f32_f16 v9, v32, v20, v9
	;;#ASMEND
	;;#ASMSTART
	v_dot2_f32_f16 v9, v33, v21, v9
	;;#ASMEND
	;;#ASMSTART
	v_dot2_f32_f16 v37, v30, v26, v37
	;;#ASMEND
	;;#ASMSTART
	v_dot2_f32_f16 v37, v31, v27, v37
	;;#ASMEND
	;;#ASMSTART
	v_dot2_f32_f16 v37, v32, v28, v37
	;;#ASMEND
	;;#ASMSTART
	v_dot2_f32_f16 v37, v33, v29, v37
	;;#ASMEND
	ds_load_b128 v[10:13], v87 offset:32
	ds_load_b128 v[18:21], v79 offset:32
	ds_load_b128 v[26:29], v79 offset:288
	ds_load_b128 v[30:33], v87 offset:4640
	;; [unrolled: 55-line block ×7, first 2 shown]
	s_wait_dscnt 0x2
	;;#ASMSTART
	v_dot2_f32_f16 v8, v10, v18, v8
	;;#ASMEND
	;;#ASMSTART
	v_dot2_f32_f16 v8, v11, v19, v8
	;;#ASMEND
	;;#ASMSTART
	v_dot2_f32_f16 v8, v12, v20, v8
	;;#ASMEND
	;;#ASMSTART
	v_dot2_f32_f16 v8, v13, v21, v8
	;;#ASMEND
	s_wait_dscnt 0x1
	;;#ASMSTART
	v_dot2_f32_f16 v36, v10, v26, v36
	;;#ASMEND
	;;#ASMSTART
	v_dot2_f32_f16 v36, v11, v27, v36
	;;#ASMEND
	;;#ASMSTART
	v_dot2_f32_f16 v36, v12, v28, v36
	;;#ASMEND
	;;#ASMSTART
	v_dot2_f32_f16 v36, v13, v29, v36
	;;#ASMEND
	;; [unrolled: 13-line block ×3, first 2 shown]
	;;#ASMSTART
	v_dot2_f32_f16 v37, v30, v26, v37
	;;#ASMEND
	;;#ASMSTART
	v_dot2_f32_f16 v37, v31, v27, v37
	;;#ASMEND
	;; [unrolled: 3-line block ×4, first 2 shown]
	s_barrier_signal -1
	s_barrier_wait -1
	s_clause 0x3
	global_load_b128 v[10:13], v[6:7], off offset:128
	global_load_b128 v[4:7], v[4:5], off offset:128
	;; [unrolled: 1-line block ×4, first 2 shown]
	s_wait_loadcnt 0x3
	ds_store_b128 v83, v[10:13]
	s_wait_loadcnt 0x2
	ds_store_b128 v84, v[4:7]
	;; [unrolled: 2-line block ×4, first 2 shown]
	s_wait_dscnt 0x0
	s_barrier_signal -1
	s_barrier_wait -1
	ds_load_b128 v[0:3], v87
	ds_load_b128 v[4:7], v79 offset:128
	ds_load_b128 v[10:13], v79 offset:384
	ds_load_b128 v[18:21], v87 offset:4608
	s_wait_dscnt 0x2
	;;#ASMSTART
	v_dot2_f32_f16 v8, v0, v4, v8
	;;#ASMEND
	;;#ASMSTART
	v_dot2_f32_f16 v8, v1, v5, v8
	;;#ASMEND
	;;#ASMSTART
	v_dot2_f32_f16 v8, v2, v6, v8
	;;#ASMEND
	;;#ASMSTART
	v_dot2_f32_f16 v8, v3, v7, v8
	;;#ASMEND
	s_wait_dscnt 0x1
	;;#ASMSTART
	v_dot2_f32_f16 v36, v0, v10, v36
	;;#ASMEND
	;;#ASMSTART
	v_dot2_f32_f16 v36, v1, v11, v36
	;;#ASMEND
	;;#ASMSTART
	v_dot2_f32_f16 v36, v2, v12, v36
	;;#ASMEND
	;;#ASMSTART
	v_dot2_f32_f16 v36, v3, v13, v36
	;;#ASMEND
	s_wait_dscnt 0x0
	;;#ASMSTART
	v_dot2_f32_f16 v9, v18, v4, v9
	;;#ASMEND
	;;#ASMSTART
	v_dot2_f32_f16 v9, v19, v5, v9
	;;#ASMEND
	;;#ASMSTART
	v_dot2_f32_f16 v9, v20, v6, v9
	;;#ASMEND
	;;#ASMSTART
	v_dot2_f32_f16 v9, v21, v7, v9
	;;#ASMEND
	;;#ASMSTART
	v_dot2_f32_f16 v37, v18, v10, v37
	;;#ASMEND
	;;#ASMSTART
	v_dot2_f32_f16 v37, v19, v11, v37
	;;#ASMEND
	;;#ASMSTART
	v_dot2_f32_f16 v37, v20, v12, v37
	;;#ASMEND
	;;#ASMSTART
	v_dot2_f32_f16 v37, v21, v13, v37
	;;#ASMEND
	ds_load_b128 v[0:3], v87 offset:16
	ds_load_b128 v[4:7], v79 offset:144
	ds_load_b128 v[10:13], v79 offset:400
	ds_load_b128 v[18:21], v87 offset:4624
	s_wait_dscnt 0x2
	;;#ASMSTART
	v_dot2_f32_f16 v8, v0, v4, v8
	;;#ASMEND
	;;#ASMSTART
	v_dot2_f32_f16 v8, v1, v5, v8
	;;#ASMEND
	;;#ASMSTART
	v_dot2_f32_f16 v8, v2, v6, v8
	;;#ASMEND
	;;#ASMSTART
	v_dot2_f32_f16 v8, v3, v7, v8
	;;#ASMEND
	s_wait_dscnt 0x1
	;;#ASMSTART
	v_dot2_f32_f16 v36, v0, v10, v36
	;;#ASMEND
	;;#ASMSTART
	v_dot2_f32_f16 v36, v1, v11, v36
	;;#ASMEND
	;;#ASMSTART
	v_dot2_f32_f16 v36, v2, v12, v36
	;;#ASMEND
	;;#ASMSTART
	v_dot2_f32_f16 v36, v3, v13, v36
	;;#ASMEND
	s_wait_dscnt 0x0
	;;#ASMSTART
	v_dot2_f32_f16 v9, v18, v4, v9
	;;#ASMEND
	;;#ASMSTART
	v_dot2_f32_f16 v9, v19, v5, v9
	;;#ASMEND
	;;#ASMSTART
	v_dot2_f32_f16 v9, v20, v6, v9
	;;#ASMEND
	;;#ASMSTART
	v_dot2_f32_f16 v9, v21, v7, v9
	;;#ASMEND
	;;#ASMSTART
	v_dot2_f32_f16 v37, v18, v10, v37
	;;#ASMEND
	;;#ASMSTART
	v_dot2_f32_f16 v37, v19, v11, v37
	;;#ASMEND
	;;#ASMSTART
	v_dot2_f32_f16 v37, v20, v12, v37
	;;#ASMEND
	;;#ASMSTART
	v_dot2_f32_f16 v37, v21, v13, v37
	;;#ASMEND
	ds_load_b128 v[0:3], v87 offset:32
	;; [unrolled: 55-line block ×7, first 2 shown]
	ds_load_b128 v[4:7], v79 offset:240
	ds_load_b128 v[10:13], v79 offset:496
	;; [unrolled: 1-line block ×3, first 2 shown]
	s_wait_dscnt 0x2
	;;#ASMSTART
	v_dot2_f32_f16 v8, v0, v4, v8
	;;#ASMEND
	;;#ASMSTART
	v_dot2_f32_f16 v8, v1, v5, v8
	;;#ASMEND
	;; [unrolled: 3-line block ×4, first 2 shown]
	s_wait_dscnt 0x1
	;;#ASMSTART
	v_dot2_f32_f16 v36, v0, v10, v36
	;;#ASMEND
	;;#ASMSTART
	v_dot2_f32_f16 v36, v1, v11, v36
	;;#ASMEND
	;; [unrolled: 3-line block ×4, first 2 shown]
	s_wait_dscnt 0x0
	;;#ASMSTART
	v_dot2_f32_f16 v9, v18, v4, v9
	;;#ASMEND
	v_cmp_ngt_f32_e64 s2, 0x3f200000, |v8|
	;;#ASMSTART
	v_dot2_f32_f16 v9, v19, v5, v9
	;;#ASMEND
	;;#ASMSTART
	v_dot2_f32_f16 v9, v20, v6, v9
	;;#ASMEND
	;; [unrolled: 3-line block ×7, first 2 shown]
                                        ; implicit-def: $vgpr2
	s_and_saveexec_b32 s3, s2
	s_delay_alu instid0(SALU_CYCLE_1)
	s_xor_b32 s2, exec_lo, s3
	s_cbranch_execz .LBB83_11
; %bb.10:                               ;   in Loop: Header=BB83_9 Depth=1
	v_add_f32_e64 v0, |v8|, |v8|
	s_delay_alu instid0(VALU_DEP_1) | instskip(SKIP_1) | instid1(VALU_DEP_2)
	v_mul_f32_e32 v1, 0x3fb8aa3b, v0
	v_cmp_ngt_f32_e32 vcc_lo, 0xc2ce8ed0, v0
	v_rndne_f32_e32 v2, v1
	v_fma_f32 v3, 0x3fb8aa3b, v0, -v1
	s_delay_alu instid0(VALU_DEP_2) | instskip(NEXT) | instid1(VALU_DEP_2)
	v_sub_f32_e32 v1, v1, v2
	v_fmac_f32_e32 v3, 0x32a5705f, v0
	v_cvt_i32_f32_e32 v2, v2
	s_delay_alu instid0(VALU_DEP_2) | instskip(NEXT) | instid1(VALU_DEP_1)
	v_add_f32_e32 v1, v1, v3
	v_exp_f32_e32 v1, v1
	v_nop
	s_delay_alu instid0(TRANS32_DEP_1) | instskip(NEXT) | instid1(VALU_DEP_1)
	v_ldexp_f32 v1, v1, v2
	v_cndmask_b32_e32 v1, 0, v1, vcc_lo
	v_cmp_nlt_f32_e32 vcc_lo, 0x42b17218, v0
	s_delay_alu instid0(VALU_DEP_2) | instskip(NEXT) | instid1(VALU_DEP_1)
	v_cndmask_b32_e32 v0, 0x7f800000, v1, vcc_lo
	v_add_f32_e32 v0, 1.0, v0
	s_delay_alu instid0(VALU_DEP_1) | instskip(SKIP_1) | instid1(TRANS32_DEP_1)
	v_rcp_f32_e32 v0, v0
	v_nop
	v_fma_f32 v2, v0, -2.0, 1.0
.LBB83_11:                              ;   in Loop: Header=BB83_9 Depth=1
	s_and_not1_saveexec_b32 s2, s2
	s_cbranch_execz .LBB83_13
; %bb.12:                               ;   in Loop: Header=BB83_9 Depth=1
	v_mul_f32_e32 v0, v8, v8
	s_delay_alu instid0(VALU_DEP_1) | instskip(NEXT) | instid1(VALU_DEP_1)
	v_fmaak_f32 v1, s7, v0, 0x3ca908c9
	v_fmaak_f32 v1, v0, v1, 0xbd5c1c4e
	s_delay_alu instid0(VALU_DEP_1) | instskip(NEXT) | instid1(VALU_DEP_1)
	v_fmaak_f32 v1, v0, v1, 0x3e088382
	v_fmaak_f32 v1, v0, v1, 0xbeaaaa99
	s_delay_alu instid0(VALU_DEP_1) | instskip(NEXT) | instid1(VALU_DEP_1)
	v_mul_f32_e64 v1, |v8|, v1
	v_fma_f32 v2, v0, v1, |v8|
.LBB83_13:                              ;   in Loop: Header=BB83_9 Depth=1
	s_or_b32 exec_lo, exec_lo, s2
	v_add_nc_u32_e32 v0, s10, v89
	v_cmp_ngt_f32_e64 s2, 0x3f200000, |v9|
                                        ; implicit-def: $vgpr3
	global_load_u16 v19, v0, s[36:37] scale_offset
	s_wait_xcnt 0x0
	s_and_saveexec_b32 s3, s2
	s_delay_alu instid0(SALU_CYCLE_1)
	s_xor_b32 s2, exec_lo, s3
	s_cbranch_execz .LBB83_15
; %bb.14:                               ;   in Loop: Header=BB83_9 Depth=1
	v_add_f32_e64 v1, |v9|, |v9|
	s_delay_alu instid0(VALU_DEP_1) | instskip(SKIP_1) | instid1(VALU_DEP_2)
	v_mul_f32_e32 v3, 0x3fb8aa3b, v1
	v_cmp_ngt_f32_e32 vcc_lo, 0xc2ce8ed0, v1
	v_rndne_f32_e32 v4, v3
	v_fma_f32 v5, 0x3fb8aa3b, v1, -v3
	s_delay_alu instid0(VALU_DEP_2) | instskip(NEXT) | instid1(VALU_DEP_2)
	v_sub_f32_e32 v3, v3, v4
	v_fmac_f32_e32 v5, 0x32a5705f, v1
	v_cvt_i32_f32_e32 v4, v4
	s_delay_alu instid0(VALU_DEP_2) | instskip(NEXT) | instid1(VALU_DEP_1)
	v_add_f32_e32 v3, v3, v5
	v_exp_f32_e32 v3, v3
	v_nop
	s_delay_alu instid0(TRANS32_DEP_1) | instskip(NEXT) | instid1(VALU_DEP_1)
	v_ldexp_f32 v3, v3, v4
	v_cndmask_b32_e32 v3, 0, v3, vcc_lo
	v_cmp_nlt_f32_e32 vcc_lo, 0x42b17218, v1
	s_delay_alu instid0(VALU_DEP_2) | instskip(NEXT) | instid1(VALU_DEP_1)
	v_cndmask_b32_e32 v1, 0x7f800000, v3, vcc_lo
	v_add_f32_e32 v1, 1.0, v1
	s_delay_alu instid0(VALU_DEP_1) | instskip(SKIP_1) | instid1(TRANS32_DEP_1)
	v_rcp_f32_e32 v1, v1
	v_nop
	v_fma_f32 v3, v1, -2.0, 1.0
.LBB83_15:                              ;   in Loop: Header=BB83_9 Depth=1
	s_and_not1_saveexec_b32 s2, s2
	s_cbranch_execz .LBB83_17
; %bb.16:                               ;   in Loop: Header=BB83_9 Depth=1
	v_mul_f32_e32 v1, v9, v9
	s_delay_alu instid0(VALU_DEP_1) | instskip(NEXT) | instid1(VALU_DEP_1)
	v_fmaak_f32 v3, s7, v1, 0x3ca908c9
	v_fmaak_f32 v3, v1, v3, 0xbd5c1c4e
	s_delay_alu instid0(VALU_DEP_1) | instskip(NEXT) | instid1(VALU_DEP_1)
	v_fmaak_f32 v3, v1, v3, 0x3e088382
	v_fmaak_f32 v3, v1, v3, 0xbeaaaa99
	s_delay_alu instid0(VALU_DEP_1) | instskip(NEXT) | instid1(VALU_DEP_1)
	v_mul_f32_e64 v3, |v9|, v3
	v_fma_f32 v3, v1, v3, |v9|
.LBB83_17:                              ;   in Loop: Header=BB83_9 Depth=1
	s_or_b32 exec_lo, exec_lo, s2
	v_dual_ashrrev_i32 v1, 31, v0 :: v_dual_bitop2_b32 v98, 16, v81 bitop3:0x14
	v_xor_b32_e32 v94, 8, v81
	v_xor_b32_e32 v96, 2, v81
	;; [unrolled: 1-line block ×3, first 2 shown]
	s_delay_alu instid0(VALU_DEP_4)
	v_lshl_add_u64 v[0:1], v[0:1], 1, s[36:37]
	v_cmp_gt_i32_e32 vcc_lo, 32, v98
	v_xor_b32_e32 v97, 1, v81
	v_cmp_ngt_f32_e64 s2, 0x3f200000, |v36|
                                        ; implicit-def: $vgpr34
	global_load_u16 v26, v[0:1], off offset:64
	s_wait_xcnt 0x0
	v_bfi_b32 v0, 0x7fffffff, v2, v8
	v_bfi_b32 v1, 0x7fffffff, v3, v9
	s_wait_loadcnt 0x1
	s_wait_kmcnt 0x0
	s_delay_alu instid0(VALU_DEP_2) | instskip(NEXT) | instid1(VALU_DEP_1)
	v_fma_mix_f32 v21, s31, v0, v19 op_sel_hi:[0,0,1]
	v_add_f32_e32 v0, 0x40051340, v21
	s_wait_loadcnt 0x0
	v_fma_mix_f32 v29, s31, v1, v26 op_sel_hi:[0,0,1]
	v_cndmask_b32_e32 v1, v81, v98, vcc_lo
	v_cmp_gt_i32_e32 vcc_lo, 32, v94
	s_delay_alu instid0(VALU_DEP_3) | instskip(NEXT) | instid1(VALU_DEP_3)
	v_add_f32_e32 v2, 0x40051340, v29
	v_lshlrev_b32_e32 v27, 2, v1
	s_delay_alu instid0(VALU_DEP_2)
	v_max3_num_f32 v0, v17, v0, v2
	v_cndmask_b32_e32 v2, v81, v94, vcc_lo
	v_cmp_gt_i32_e32 vcc_lo, 32, v95
	ds_bpermute_b32 v1, v27, v0
	v_dual_lshlrev_b32 v28, 2, v2 :: v_dual_cndmask_b32 v2, v81, v95, vcc_lo
	v_cmp_gt_i32_e32 vcc_lo, 32, v96
	s_delay_alu instid0(VALU_DEP_2) | instskip(SKIP_1) | instid1(VALU_DEP_2)
	v_dual_lshlrev_b32 v30, 2, v2 :: v_dual_cndmask_b32 v2, v81, v96, vcc_lo
	v_cmp_gt_i32_e32 vcc_lo, 32, v97
	v_dual_cndmask_b32 v2, v81, v97 :: v_dual_lshlrev_b32 v31, 2, v2
	s_wait_dscnt 0x0
	s_delay_alu instid0(VALU_DEP_1) | instskip(NEXT) | instid1(VALU_DEP_1)
	v_dual_max_num_f32 v1, v1, v1 :: v_dual_lshlrev_b32 v18, 2, v2
	v_max_num_f32_e32 v0, v0, v1
	ds_bpermute_b32 v1, v28, v0
	s_wait_dscnt 0x0
	v_max_num_f32_e32 v1, v1, v1
	s_delay_alu instid0(VALU_DEP_1) | instskip(SKIP_3) | instid1(VALU_DEP_1)
	v_max_num_f32_e32 v0, v0, v1
	ds_bpermute_b32 v1, v30, v0
	s_wait_dscnt 0x0
	v_max_num_f32_e32 v1, v1, v1
	v_max_num_f32_e32 v0, v0, v1
	ds_bpermute_b32 v1, v31, v0
	s_wait_dscnt 0x0
	v_max_num_f32_e32 v1, v1, v1
	s_delay_alu instid0(VALU_DEP_1) | instskip(SKIP_2) | instid1(SALU_CYCLE_1)
	v_max_num_f32_e32 v32, v0, v1
	ds_bpermute_b32 v33, v18, v32
	s_and_saveexec_b32 s3, s2
	s_xor_b32 s2, exec_lo, s3
	s_cbranch_execz .LBB83_19
; %bb.18:                               ;   in Loop: Header=BB83_9 Depth=1
	v_add_f32_e64 v0, |v36|, |v36|
	s_delay_alu instid0(VALU_DEP_1) | instskip(SKIP_1) | instid1(VALU_DEP_2)
	v_mul_f32_e32 v1, 0x3fb8aa3b, v0
	v_cmp_ngt_f32_e32 vcc_lo, 0xc2ce8ed0, v0
	v_rndne_f32_e32 v2, v1
	v_fma_f32 v3, 0x3fb8aa3b, v0, -v1
	s_delay_alu instid0(VALU_DEP_2) | instskip(NEXT) | instid1(VALU_DEP_2)
	v_sub_f32_e32 v1, v1, v2
	v_fmac_f32_e32 v3, 0x32a5705f, v0
	v_cvt_i32_f32_e32 v2, v2
	s_delay_alu instid0(VALU_DEP_2) | instskip(NEXT) | instid1(VALU_DEP_1)
	v_add_f32_e32 v1, v1, v3
	v_exp_f32_e32 v1, v1
	v_nop
	s_delay_alu instid0(TRANS32_DEP_1) | instskip(NEXT) | instid1(VALU_DEP_1)
	v_ldexp_f32 v1, v1, v2
	v_cndmask_b32_e32 v1, 0, v1, vcc_lo
	v_cmp_nlt_f32_e32 vcc_lo, 0x42b17218, v0
	s_delay_alu instid0(VALU_DEP_2) | instskip(NEXT) | instid1(VALU_DEP_1)
	v_cndmask_b32_e32 v0, 0x7f800000, v1, vcc_lo
	v_add_f32_e32 v0, 1.0, v0
	s_delay_alu instid0(VALU_DEP_1) | instskip(SKIP_1) | instid1(TRANS32_DEP_1)
	v_rcp_f32_e32 v0, v0
	v_nop
	v_fma_f32 v34, v0, -2.0, 1.0
.LBB83_19:                              ;   in Loop: Header=BB83_9 Depth=1
	s_and_not1_saveexec_b32 s2, s2
	s_cbranch_execz .LBB83_21
; %bb.20:                               ;   in Loop: Header=BB83_9 Depth=1
	v_mul_f32_e32 v0, v36, v36
	s_delay_alu instid0(VALU_DEP_1) | instskip(NEXT) | instid1(VALU_DEP_1)
	v_fmaak_f32 v1, s7, v0, 0x3ca908c9
	v_fmaak_f32 v1, v0, v1, 0xbd5c1c4e
	s_delay_alu instid0(VALU_DEP_1) | instskip(NEXT) | instid1(VALU_DEP_1)
	v_fmaak_f32 v1, v0, v1, 0x3e088382
	v_fmaak_f32 v1, v0, v1, 0xbeaaaa99
	s_delay_alu instid0(VALU_DEP_1) | instskip(NEXT) | instid1(VALU_DEP_1)
	v_mul_f32_e64 v1, |v36|, v1
	v_fma_f32 v34, v0, v1, |v36|
.LBB83_21:                              ;   in Loop: Header=BB83_9 Depth=1
	s_or_b32 exec_lo, exec_lo, s2
	v_cmp_ngt_f32_e64 s2, 0x3f200000, |v37|
                                        ; implicit-def: $vgpr35
	s_and_saveexec_b32 s3, s2
	s_delay_alu instid0(SALU_CYCLE_1)
	s_xor_b32 s2, exec_lo, s3
	s_cbranch_execz .LBB83_23
; %bb.22:                               ;   in Loop: Header=BB83_9 Depth=1
	v_add_f32_e64 v0, |v37|, |v37|
	s_delay_alu instid0(VALU_DEP_1) | instskip(SKIP_1) | instid1(VALU_DEP_2)
	v_mul_f32_e32 v1, 0x3fb8aa3b, v0
	v_cmp_ngt_f32_e32 vcc_lo, 0xc2ce8ed0, v0
	v_rndne_f32_e32 v2, v1
	v_fma_f32 v3, 0x3fb8aa3b, v0, -v1
	s_delay_alu instid0(VALU_DEP_2) | instskip(NEXT) | instid1(VALU_DEP_2)
	v_sub_f32_e32 v1, v1, v2
	v_fmac_f32_e32 v3, 0x32a5705f, v0
	v_cvt_i32_f32_e32 v2, v2
	s_delay_alu instid0(VALU_DEP_2) | instskip(NEXT) | instid1(VALU_DEP_1)
	v_add_f32_e32 v1, v1, v3
	v_exp_f32_e32 v1, v1
	v_nop
	s_delay_alu instid0(TRANS32_DEP_1) | instskip(NEXT) | instid1(VALU_DEP_1)
	v_ldexp_f32 v1, v1, v2
	v_cndmask_b32_e32 v1, 0, v1, vcc_lo
	v_cmp_nlt_f32_e32 vcc_lo, 0x42b17218, v0
	s_delay_alu instid0(VALU_DEP_2) | instskip(NEXT) | instid1(VALU_DEP_1)
	v_cndmask_b32_e32 v0, 0x7f800000, v1, vcc_lo
	v_add_f32_e32 v0, 1.0, v0
	s_delay_alu instid0(VALU_DEP_1) | instskip(SKIP_1) | instid1(TRANS32_DEP_1)
	v_rcp_f32_e32 v0, v0
	v_nop
	v_fma_f32 v35, v0, -2.0, 1.0
.LBB83_23:                              ;   in Loop: Header=BB83_9 Depth=1
	s_and_not1_saveexec_b32 s2, s2
	s_cbranch_execz .LBB83_25
; %bb.24:                               ;   in Loop: Header=BB83_9 Depth=1
	v_mul_f32_e32 v0, v37, v37
	s_delay_alu instid0(VALU_DEP_1) | instskip(NEXT) | instid1(VALU_DEP_1)
	v_fmaak_f32 v1, s7, v0, 0x3ca908c9
	v_fmaak_f32 v1, v0, v1, 0xbd5c1c4e
	s_delay_alu instid0(VALU_DEP_1) | instskip(NEXT) | instid1(VALU_DEP_1)
	v_fmaak_f32 v1, v0, v1, 0x3e088382
	v_fmaak_f32 v1, v0, v1, 0xbeaaaa99
	s_delay_alu instid0(VALU_DEP_1) | instskip(NEXT) | instid1(VALU_DEP_1)
	v_mul_f32_e64 v1, |v37|, v1
	v_fma_f32 v35, v0, v1, |v37|
.LBB83_25:                              ;   in Loop: Header=BB83_9 Depth=1
	s_or_b32 exec_lo, exec_lo, s2
	s_mul_u64 s[2:3], s[10:11], s[14:15]
	s_wait_dscnt 0x0
	s_lshl_b64 s[2:3], s[2:3], 2
	s_barrier_signal -1
	s_add_nc_u64 s[2:3], s[24:25], s[2:3]
	s_barrier_wait -1
	v_add_nc_u64_e32 v[0:1], s[2:3], v[66:67]
	v_add_nc_u64_e32 v[2:3], s[2:3], v[68:69]
	;; [unrolled: 1-line block ×4, first 2 shown]
	v_cvt_f32_f16_e32 v20, v19
	v_cvt_f32_f16_e32 v19, v26
	v_add_nc_u64_e32 v[0:1], v[0:1], v[58:59]
	v_add_nc_u64_e32 v[8:9], v[2:3], v[58:59]
	;; [unrolled: 1-line block ×4, first 2 shown]
	v_bfi_b32 v26, 0x7fffffff, v34, v36
	v_bfi_b32 v34, 0x7fffffff, v35, v37
	v_add_nc_u32_e32 v99, 0x1000, v80
	s_clause 0x3
	global_load_b128 v[0:3], v[0:1], off
	global_load_b128 v[4:7], v[8:9], off
	;; [unrolled: 1-line block ×4, first 2 shown]
	v_add_nc_u32_e32 v44, 0x800, v80
	v_fmac_f32_e32 v20, s31, v26
	s_delay_alu instid0(VALU_DEP_1) | instskip(NEXT) | instid1(VALU_DEP_1)
	v_dual_fmac_f32 v19, s31, v34 :: v_dual_add_f32 v26, 0x40051340, v20
	v_add_f32_e32 v34, 0x40051340, v19
	s_delay_alu instid0(VALU_DEP_1) | instskip(SKIP_3) | instid1(VALU_DEP_1)
	v_max3_num_f32 v26, v16, v26, v34
	ds_bpermute_b32 v27, v27, v26
	s_wait_dscnt 0x0
	v_max_num_f32_e32 v27, v27, v27
	v_max_num_f32_e32 v26, v26, v27
	ds_bpermute_b32 v27, v28, v26
	s_wait_dscnt 0x0
	v_dual_max_num_f32 v28, v33, v33 :: v_dual_max_num_f32 v27, v27, v27
	s_delay_alu instid0(VALU_DEP_1) | instskip(SKIP_3) | instid1(VALU_DEP_1)
	v_max_num_f32_e32 v26, v26, v27
	ds_bpermute_b32 v27, v30, v26
	s_wait_dscnt 0x0
	v_max_num_f32_e32 v27, v27, v27
	v_max_num_f32_e32 v27, v26, v27
	ds_bpermute_b32 v26, v31, v27
	v_max_num_f32_e32 v30, v32, v32
	s_delay_alu instid0(VALU_DEP_1) | instskip(SKIP_2) | instid1(VALU_DEP_1)
	v_max_num_f32_e32 v74, v30, v28
	s_wait_dscnt 0x0
	v_max_num_f32_e32 v28, v26, v26
	v_dual_max_num_f32 v27, v27, v28 :: v_dual_sub_f32 v17, v17, v74
	v_sub_f32_e32 v26, v21, v74
	v_sub_f32_e32 v21, v29, v74
	ds_bpermute_b32 v18, v18, v27
	v_mul_f32_e32 v30, 0x3fb8aa3b, v21
	v_mul_f32_e32 v31, 0x3fb8aa3b, v17
	v_cmp_ngt_f32_e64 s2, 0xc2ce8ed0, v21
	v_cmp_nlt_f32_e64 s5, 0x42b17218, v21
	v_cmp_ngt_f32_e32 vcc_lo, 0xc2ce8ed0, v26
	v_fma_f32 v34, 0x3fb8aa3b, v21, -v30
	v_rndne_f32_e32 v35, v30
	v_mul_f32_e32 v28, 0x3fb8aa3b, v26
	v_cmp_nlt_f32_e64 s4, 0x42b17218, v26
	v_fma_f32 v36, 0x3fb8aa3b, v17, -v31
	v_rndne_f32_e32 v37, v31
	v_cmp_ngt_f32_e64 s3, 0xc2ce8ed0, v17
	v_cmp_nlt_f32_e64 s6, 0x42b17218, v17
	s_wait_dscnt 0x0
	v_max_num_f32_e32 v18, v18, v18
	v_dual_fmac_f32 v34, 0x32a5705f, v21 :: v_dual_sub_f32 v21, v30, v35
	v_fma_f32 v32, 0x3fb8aa3b, v26, -v28
	v_rndne_f32_e32 v33, v28
	v_add_nc_u32_e32 v29, v90, v78
	v_dual_max_num_f32 v75, v27, v18 :: v_dual_fmac_f32 v36, 0x32a5705f, v17
	v_add_f32_e32 v21, v21, v34
	v_fmac_f32_e32 v32, 0x32a5705f, v26
	s_delay_alu instid0(VALU_DEP_3) | instskip(SKIP_3) | instid1(VALU_DEP_3)
	v_dual_sub_f32 v26, v28, v33 :: v_dual_sub_f32 v19, v19, v75
	v_sub_f32_e32 v28, v31, v37
	v_cvt_i32_f32_e32 v30, v33
	v_exp_f32_e32 v21, v21
	v_add_f32_e32 v26, v26, v32
	v_cvt_i32_f32_e32 v31, v35
	v_add_f32_e32 v28, v28, v36
	v_cvt_i32_f32_e32 v17, v37
	v_mul_f32_e32 v27, 0x3fb8aa3b, v19
	v_exp_f32_e32 v26, v26
	v_ldexp_f32 v21, v21, v31
	v_exp_f32_e32 v18, v28
	v_nop
	v_sub_f32_e32 v28, v16, v75
	v_fma_f32 v31, 0x3fb8aa3b, v19, -v27
	v_rndne_f32_e32 v32, v27
	v_cndmask_b32_e64 v21, 0, v21, s2
	v_ldexp_f32 v26, v26, v30
	v_sub_f32_e32 v20, v20, v75
	v_ldexp_f32 v17, v18, v17
	v_fmac_f32_e32 v31, 0x32a5705f, v19
	v_cmp_ngt_f32_e64 s2, 0xc2ce8ed0, v19
	v_cndmask_b32_e32 v18, 0, v26, vcc_lo
	v_mul_f32_e32 v26, 0x3fb8aa3b, v20
	v_cmp_ngt_f32_e32 vcc_lo, 0xc2ce8ed0, v20
	s_delay_alu instid0(VALU_DEP_3) | instskip(NEXT) | instid1(VALU_DEP_3)
	v_cndmask_b32_e64 v18, 0x7f800000, v18, s4
	v_fma_f32 v16, 0x3fb8aa3b, v20, -v26
	v_rndne_f32_e32 v30, v26
	v_cndmask_b32_e64 v17, 0, v17, s3
	v_cmp_nlt_f32_e64 s3, 0x42b17218, v20
	v_cmp_nlt_f32_e64 s4, 0x42b17218, v19
	v_fmac_f32_e32 v16, 0x32a5705f, v20
	v_sub_f32_e32 v26, v26, v30
	v_cvt_i32_f32_e32 v30, v30
	s_delay_alu instid0(VALU_DEP_2) | instskip(NEXT) | instid1(VALU_DEP_1)
	v_add_f32_e32 v16, v26, v16
	v_exp_f32_e32 v16, v16
	v_nop
	s_delay_alu instid0(TRANS32_DEP_1) | instskip(NEXT) | instid1(VALU_DEP_1)
	v_ldexp_f32 v16, v16, v30
	v_cndmask_b32_e32 v16, 0, v16, vcc_lo
	v_cmp_ngt_f32_e32 vcc_lo, 0xc2ce8ed0, v28
	v_sub_f32_e32 v27, v27, v32
	s_delay_alu instid0(VALU_DEP_1) | instskip(NEXT) | instid1(VALU_DEP_1)
	v_dual_mul_f32 v33, 0x3fb8aa3b, v28 :: v_dual_add_f32 v26, v27, v31
	v_fma_f32 v34, 0x3fb8aa3b, v28, -v33
	v_rndne_f32_e32 v35, v33
	v_cvt_i32_f32_e32 v31, v32
	s_delay_alu instid0(VALU_DEP_4) | instskip(NEXT) | instid1(VALU_DEP_2)
	v_exp_f32_e32 v26, v26
	v_dual_fmac_f32 v34, 0x32a5705f, v28 :: v_dual_sub_f32 v27, v33, v35
	v_cvt_i32_f32_e32 v19, v35
	s_delay_alu instid0(VALU_DEP_2) | instskip(NEXT) | instid1(TRANS32_DEP_1)
	v_add_f32_e32 v27, v27, v34
	v_ldexp_f32 v20, v26, v31
	s_delay_alu instid0(VALU_DEP_2) | instskip(SKIP_1) | instid1(VALU_DEP_2)
	v_exp_f32_e32 v26, v27
	v_nop
	v_cndmask_b32_e64 v27, 0, v20, s2
	v_cndmask_b32_e64 v20, 0x7f800000, v21, s5
	v_cmp_nlt_f32_e64 s2, 0x42b17218, v28
	s_delay_alu instid0(VALU_DEP_3) | instskip(NEXT) | instid1(TRANS32_DEP_1)
	v_cndmask_b32_e64 v21, 0x7f800000, v27, s4
	v_ldexp_f32 v26, v26, v19
	v_cndmask_b32_e64 v19, 0x7f800000, v16, s3
	v_cndmask_b32_e64 v16, 0x7f800000, v17, s6
	s_or_b32 s4, s10, 32
	v_cvt_pk_f16_f32 v27, v20, v21
	v_cndmask_b32_e32 v17, 0, v26, vcc_lo
	v_cvt_pk_f16_f32 v26, v18, v19
	v_cvt_f16_f32_e32 v28, v16
	s_ashr_i32 s5, s4, 31
	ds_store_2addr_b32 v29, v26, v27 offset1:32
	s_wait_loadcnt 0x3
	ds_store_b128 v88, v[0:3]
	s_wait_loadcnt 0x2
	ds_store_b128 v91, v[4:7]
	s_wait_loadcnt 0x1
	ds_store_b128 v92, v[8:11]
	s_wait_loadcnt 0x0
	ds_store_b128 v93, v[12:15]
	v_cndmask_b32_e64 v17, 0x7f800000, v17, s2
	s_wait_dscnt 0x0
	s_barrier_signal -1
	s_barrier_wait -1
	ds_load_b128 v[4:7], v90
	ds_load_b128 v[8:11], v90 offset:16
	v_and_b32_e32 v0, 0xffff, v28
	v_cvt_f16_f32_e32 v2, v17
	s_mul_u64 s[2:3], s[4:5], s[14:15]
	s_delay_alu instid0(SALU_CYCLE_1) | instskip(NEXT) | instid1(VALU_DEP_2)
	s_lshl_b64 s[2:3], s[2:3], 2
	v_mul_u32_u24_e32 v100, 0x10001, v0
	v_pk_add_f32 v[0:1], v[18:19], v[20:21]
	v_and_b32_e32 v2, 0xffff, v2
	s_add_nc_u64 s[2:3], s[24:25], s[2:3]
	s_delay_alu instid0(VALU_DEP_3) | instskip(NEXT) | instid1(VALU_DEP_3)
	v_pk_mul_f16 v112, v25, v100
	v_pk_fma_f32 v[54:55], v[54:55], v[16:17], v[0:1]
	s_delay_alu instid0(VALU_DEP_3)
	v_mul_u32_u24_e32 v41, 0x10001, v2
	ds_load_2addr_b64 v[0:3], v80 offset1:32
	ds_load_b128 v[12:15], v90 offset:32
	ds_load_b128 v[36:39], v90 offset:48
	;; [unrolled: 1-line block ×4, first 2 shown]
	s_wait_dscnt 0x6
	v_and_b32_e32 v45, 0xffff, v4
	s_wait_dscnt 0x5
	v_dual_lshrrev_b32 v4, 16, v4 :: v_dual_lshrrev_b32 v30, 16, v9
	v_and_b32_e32 v43, 0xffff, v5
	v_lshrrev_b32_e32 v42, 16, v5
	v_mul_u32_u24_e32 v113, 0x10001, v45
	v_and_b32_e32 v35, 0xffff, v6
	v_dual_lshrrev_b32 v33, 16, v6 :: v_dual_lshrrev_b32 v32, 16, v7
	v_and_b32_e32 v34, 0xffff, v7
	v_dual_lshrrev_b32 v31, 16, v8 :: v_dual_lshrrev_b32 v26, 16, v10
	s_wait_dscnt 0x4
	v_pk_mul_f16 v5, v0, v113
	v_and_b32_e32 v40, 0xffff, v8
	s_wait_dscnt 0x0
	v_dual_lshrrev_b32 v102, 16, v49 :: v_dual_lshrrev_b32 v50, 16, v108
	v_and_b32_e32 v101, 0xffff, v108
	v_mul_u32_u24_e32 v108, 0x10001, v4
	v_and_b32_e32 v29, 0xffff, v10
	v_dual_lshrrev_b32 v25, 16, v11 :: v_dual_lshrrev_b32 v17, 16, v12
	v_and_b32_e32 v19, 0xffff, v12
	v_dual_lshrrev_b32 v16, 16, v13 :: v_dual_lshrrev_b32 v21, 16, v14
	v_and_b32_e32 v18, 0xffff, v13
	v_and_b32_e32 v28, 0xffff, v14
	v_dual_lshrrev_b32 v20, 16, v15 :: v_dual_lshrrev_b32 v13, 16, v36
	v_and_b32_e32 v106, 0xffff, v15
	v_and_b32_e32 v15, 0xffff, v36
	v_and_b32_e32 v14, 0xffff, v37
	v_dual_lshrrev_b32 v12, 16, v37 :: v_dual_lshrrev_b32 v8, 16, v39
	v_lshrrev_b32_e32 v37, 16, v46
	v_and_b32_e32 v10, 0xffff, v39
	v_and_b32_e32 v39, 0xffff, v46
	v_dual_lshrrev_b32 v36, 16, v47 :: v_dual_lshrrev_b32 v104, 16, v48
	v_and_b32_e32 v105, 0xffff, v48
	v_and_b32_e32 v103, 0xffff, v49
	v_dual_lshrrev_b32 v49, 16, v109 :: v_dual_lshrrev_b32 v46, 16, v110
	v_and_b32_e32 v48, 0xffff, v110
	v_pk_fma_f16 v24, v24, v100, v5
	ds_load_2addr_b64 v[4:7], v80 offset0:64 offset1:96
	v_pk_mul_f16 v0, v0, v108
	v_pk_mul_f16 v110, v23, v41
	v_and_b32_e32 v51, 0xffff, v109
	v_pk_fma_f16 v109, v1, v113, v112
	v_mul_u32_u24_e32 v43, 0x10001, v43
	v_pk_fma_f16 v0, v22, v41, v0
	v_mul_u32_u24_e32 v41, 0x10001, v42
	v_pk_fma_f16 v1, v1, v108, v110
	v_mul_u32_u24_e32 v35, 0x10001, v35
	v_pk_fma_f16 v108, v3, v43, v109
	v_pk_fma_f16 v24, v2, v43, v24
	v_mul_u32_u24_e32 v33, 0x10001, v33
	v_pk_fma_f16 v110, v3, v41, v1
	v_pk_fma_f16 v41, v2, v41, v0
	ds_load_2addr_b64 v[0:3], v80 offset0:128 offset1:160
	v_add_nc_u64_e32 v[22:23], s[2:3], v[66:67]
	v_and_b32_e32 v107, 0xffff, v9
	v_and_b32_e32 v27, 0xffff, v11
	;; [unrolled: 1-line block ×3, first 2 shown]
	v_lshrrev_b32_e32 v9, 16, v38
	v_and_b32_e32 v38, 0xffff, v47
	v_lshrrev_b32_e32 v45, 16, v111
	v_and_b32_e32 v47, 0xffff, v111
	v_mul_u32_u24_e32 v34, 0x10001, v34
	s_wait_dscnt 0x1
	v_pk_fma_f16 v111, v5, v35, v108
	v_pk_fma_f16 v24, v4, v35, v24
	v_mul_u32_u24_e32 v112, 0x10001, v32
	v_pk_fma_f16 v5, v5, v33, v110
	v_pk_fma_f16 v4, v4, v33, v41
	v_add_nc_u64_e32 v[42:43], s[2:3], v[68:69]
	v_add_nc_u64_e32 v[108:109], s[2:3], v[70:71]
	v_pk_fma_f16 v113, v7, v34, v111
	v_pk_fma_f16 v24, v6, v34, v24
	v_add_nc_u64_e32 v[34:35], v[22:23], v[58:59]
	v_pk_fma_f16 v22, v7, v112, v5
	v_pk_fma_f16 v23, v6, v112, v4
	ds_load_2addr_b64 v[4:7], v80 offset0:192 offset1:224
	v_mul_u32_u24_e32 v112, 0x10001, v40
	v_add_nc_u64_e32 v[110:111], s[2:3], v[72:73]
	v_add_nc_u64_e32 v[32:33], v[42:43], v[58:59]
	;; [unrolled: 1-line block ×3, first 2 shown]
	v_mul_u32_u24_e32 v31, 0x10001, v31
	v_mul_u32_u24_e32 v107, 0x10001, v107
	s_wait_dscnt 0x1
	v_pk_fma_f16 v108, v1, v112, v113
	v_pk_fma_f16 v24, v0, v112, v24
	v_add_nc_u64_e32 v[40:41], v[110:111], v[58:59]
	v_mul_u32_u24_e32 v30, 0x10001, v30
	v_pk_fma_f16 v1, v1, v31, v22
	v_pk_fma_f16 v0, v0, v31, v23
	;; [unrolled: 1-line block ×3, first 2 shown]
	ds_load_2addr_b64 v[108:111], v44 offset1:32
	v_pk_fma_f16 v23, v2, v107, v24
	v_mul_u32_u24_e32 v24, 0x10001, v29
	v_pk_fma_f16 v29, v3, v30, v1
	v_pk_fma_f16 v30, v2, v30, v0
	v_mul_u32_u24_e32 v26, 0x10001, v26
	ds_load_2addr_b64 v[0:3], v44 offset0:64 offset1:96
	v_mul_u32_u24_e32 v27, 0x10001, v27
	s_wait_dscnt 0x2
	v_pk_fma_f16 v22, v5, v24, v22
	v_pk_fma_f16 v23, v4, v24, v23
	v_mul_u32_u24_e32 v24, 0x10001, v25
	v_pk_fma_f16 v5, v5, v26, v29
	v_pk_fma_f16 v4, v4, v26, v30
	v_pk_fma_f16 v22, v7, v27, v22
	v_pk_fma_f16 v23, v6, v27, v23
	v_mul_u32_u24_e32 v19, 0x10001, v19
	v_pk_fma_f16 v5, v7, v24, v5
	v_pk_fma_f16 v4, v6, v24, v4
	v_mul_u32_u24_e32 v6, 0x10001, v17
	ds_load_2addr_b64 v[112:115], v44 offset0:128 offset1:160
	v_mul_u32_u24_e32 v7, 0x10001, v18
	s_wait_dscnt 0x2
	v_pk_fma_f16 v17, v109, v19, v22
	v_pk_fma_f16 v18, v108, v19, v23
	v_mul_u32_u24_e32 v22, 0x10001, v16
	v_pk_fma_f16 v5, v109, v6, v5
	v_pk_fma_f16 v4, v108, v6, v4
	v_pk_fma_f16 v6, v111, v7, v17
	;; [unrolled: 14-line block ×3, first 2 shown]
	v_pk_fma_f16 v5, v2, v22, v7
	v_mul_u32_u24_e32 v6, 0x10001, v15
	v_pk_fma_f16 v7, v3, v106, v1
	v_pk_fma_f16 v15, v2, v106, v0
	v_mul_u32_u24_e32 v13, 0x10001, v13
	ds_load_2addr_b64 v[16:19], v99 offset1:32
	v_mul_u32_u24_e32 v14, 0x10001, v14
	s_wait_dscnt 0x2
	v_pk_fma_f16 v4, v113, v6, v4
	v_pk_fma_f16 v5, v112, v6, v5
	v_mul_u32_u24_e32 v12, 0x10001, v12
	v_pk_fma_f16 v106, v113, v13, v7
	v_pk_fma_f16 v13, v112, v13, v15
	;; [unrolled: 1-line block ×4, first 2 shown]
	v_mul_u32_u24_e32 v11, 0x10001, v11
	v_pk_fma_f16 v106, v115, v12, v106
	v_pk_fma_f16 v109, v114, v12, v13
	v_mul_u32_u24_e32 v9, 0x10001, v9
	ds_load_2addr_b64 v[28:31], v99 offset0:64 offset1:96
	v_mul_u32_u24_e32 v10, 0x10001, v10
	s_wait_dscnt 0x2
	v_pk_fma_f16 v107, v25, v11, v107
	v_pk_fma_f16 v11, v24, v11, v108
	v_mul_u32_u24_e32 v108, 0x10001, v8
	v_pk_fma_f16 v25, v25, v9, v106
	v_pk_fma_f16 v24, v24, v9, v109
	;; [unrolled: 1-line block ×4, first 2 shown]
	v_mul_u32_u24_e32 v39, 0x10001, v39
	v_pk_fma_f16 v25, v27, v108, v25
	v_pk_fma_f16 v24, v26, v108, v24
	ds_load_b128 v[106:109], v90 offset:96
	v_mul_u32_u24_e32 v26, 0x10001, v37
	ds_load_2addr_b64 v[20:23], v99 offset0:128 offset1:160
	v_mul_u32_u24_e32 v27, 0x10001, v38
	s_wait_dscnt 0x3
	v_pk_fma_f16 v37, v17, v39, v110
	v_pk_fma_f16 v38, v16, v39, v111
	v_mul_u32_u24_e32 v110, 0x10001, v36
	v_pk_fma_f16 v17, v17, v26, v25
	v_pk_fma_f16 v16, v16, v26, v24
	v_add_nc_u32_e32 v100, 0x1800, v80
	v_pk_fma_f16 v24, v19, v27, v37
	v_pk_fma_f16 v25, v18, v27, v38
	;; [unrolled: 1-line block ×4, first 2 shown]
	v_mul_u32_u24_e32 v26, 0x10001, v105
	v_mul_u32_u24_e32 v104, 0x10001, v104
	ds_load_2addr_b64 v[0:3], v99 offset0:192 offset1:224
	ds_load_2addr_b64 v[4:7], v100 offset1:32
	ds_load_2addr_b64 v[12:15], v100 offset0:64 offset1:96
	ds_load_2addr_b64 v[8:11], v100 offset0:128 offset1:160
	ds_load_b128 v[36:39], v90 offset:112
	ds_load_2addr_b64 v[16:19], v100 offset0:192 offset1:224
	s_wait_dscnt 0x0
	s_barrier_signal -1
	s_barrier_wait -1
	v_pk_fma_f16 v105, v29, v26, v24
	v_pk_fma_f16 v112, v28, v26, v25
	global_load_b128 v[24:27], v[34:35], off
	s_wait_xcnt 0x0
	v_mul_u32_u24_e32 v34, 0x10001, v103
	v_mul_u32_u24_e32 v35, 0x10001, v102
	v_pk_fma_f16 v29, v29, v104, v111
	v_pk_fma_f16 v28, v28, v104, v110
	v_lshrrev_b32_e32 v102, 16, v106
	v_pk_fma_f16 v103, v31, v34, v105
	v_pk_fma_f16 v34, v30, v34, v112
	v_and_b32_e32 v104, 0xffff, v106
	v_pk_fma_f16 v105, v31, v35, v29
	v_pk_fma_f16 v106, v30, v35, v28
	v_mul_u32_u24_e32 v35, 0x10001, v101
	v_mul_u32_u24_e32 v50, 0x10001, v50
	global_load_b128 v[28:31], v[32:33], off
	v_mul_u32_u24_e32 v45, 0x10001, v45
	v_dual_lshrrev_b32 v110, 16, v107 :: v_dual_lshrrev_b32 v111, 16, v108
	v_pk_fma_f16 v103, v21, v35, v103
	v_pk_fma_f16 v112, v20, v35, v34
	global_load_b128 v[32:35], v[42:43], off
	s_wait_xcnt 0x0
	v_mul_u32_u24_e32 v42, 0x10001, v51
	v_mul_u32_u24_e32 v43, 0x10001, v49
	v_pk_fma_f16 v21, v21, v50, v105
	v_pk_fma_f16 v20, v20, v50, v106
	v_and_b32_e32 v107, 0xffff, v107
	v_pk_fma_f16 v50, v23, v42, v103
	v_pk_fma_f16 v42, v22, v42, v112
	v_pk_fma_f16 v51, v23, v43, v21
	v_pk_fma_f16 v43, v22, v43, v20
	global_load_b128 v[20:23], v[40:41], off
	s_wait_xcnt 0x0
	v_mul_u32_u24_e32 v40, 0x10001, v48
	v_mul_u32_u24_e32 v41, 0x10001, v46
	v_mul_u32_u24_e32 v46, 0x10001, v47
	v_mul_u32_u24_e32 v47, 0x10001, v104
	v_mul_u32_u24_e32 v48, 0x10001, v102
	v_pk_fma_f16 v50, v1, v40, v50
	v_pk_fma_f16 v1, v1, v41, v51
	;; [unrolled: 1-line block ×4, first 2 shown]
	v_and_b32_e32 v108, 0xffff, v108
	v_pk_fma_f16 v41, v3, v46, v50
	v_pk_fma_f16 v1, v3, v45, v1
	v_pk_fma_f16 v3, v2, v46, v40
	v_pk_fma_f16 v0, v2, v45, v0
	v_mul_u32_u24_e32 v102, 0x10001, v107
	v_mul_u32_u24_e32 v104, 0x10001, v110
	v_pk_fma_f16 v2, v5, v47, v41
	v_pk_fma_f16 v1, v5, v48, v1
	;; [unrolled: 1-line block ×4, first 2 shown]
	v_dual_lshrrev_b32 v101, 16, v109 :: v_dual_lshrrev_b32 v49, 16, v36
	v_and_b32_e32 v109, 0xffff, v109
	v_mul_u32_u24_e32 v107, 0x10001, v108
	v_mul_u32_u24_e32 v108, 0x10001, v111
	v_pk_fma_f16 v2, v7, v102, v2
	v_pk_fma_f16 v1, v7, v104, v1
	;; [unrolled: 1-line block ×4, first 2 shown]
	v_and_b32_e32 v36, 0xffff, v36
	v_mul_u32_u24_e32 v109, 0x10001, v109
	v_mul_u32_u24_e32 v101, 0x10001, v101
	v_pk_fma_f16 v2, v13, v107, v2
	v_pk_fma_f16 v1, v13, v108, v1
	;; [unrolled: 1-line block ×4, first 2 shown]
	v_dual_lshrrev_b32 v103, 16, v37 :: v_dual_lshrrev_b32 v105, 16, v38
	v_and_b32_e32 v37, 0xffff, v37
	v_mul_u32_u24_e32 v36, 0x10001, v36
	v_mul_u32_u24_e32 v40, 0x10001, v49
	v_pk_fma_f16 v2, v15, v109, v2
	v_pk_fma_f16 v1, v15, v101, v1
	;; [unrolled: 1-line block ×4, first 2 shown]
	v_and_b32_e32 v38, 0xffff, v38
	v_mul_u32_u24_e32 v5, 0x10001, v37
	v_mul_u32_u24_e32 v4, 0x10001, v103
	v_pk_fma_f16 v2, v9, v36, v2
	v_pk_fma_f16 v1, v9, v40, v1
	;; [unrolled: 1-line block ×4, first 2 shown]
	v_mul_u32_u24_e32 v6, 0x10001, v38
	v_mul_u32_u24_e32 v7, 0x10001, v105
	v_pk_fma_f16 v2, v11, v5, v2
	v_pk_fma_f16 v1, v11, v4, v1
	v_pk_fma_f16 v3, v10, v5, v3
	v_pk_fma_f16 v0, v10, v4, v0
	s_wait_loadcnt 0x3
	ds_store_b128 v88, v[24:27]
	s_wait_loadcnt 0x2
	ds_store_b128 v91, v[28:31]
	;; [unrolled: 2-line block ×4, first 2 shown]
	s_wait_dscnt 0x0
	s_barrier_signal -1
	s_barrier_wait -1
	ds_load_b128 v[24:27], v90 offset:128
	v_lshrrev_b32_e32 v106, 16, v39
	v_and_b32_e32 v39, 0xffff, v39
	v_pk_fma_f16 v2, v17, v6, v2
	v_pk_fma_f16 v1, v17, v7, v1
	;; [unrolled: 1-line block ×4, first 2 shown]
	v_mul_u32_u24_e32 v9, 0x10001, v39
	ds_load_b128 v[36:39], v90 offset:144
	v_pk_fma_f16 v47, v19, v9, v2
	v_pk_fma_f16 v49, v18, v9, v3
	s_wait_dscnt 0x1
	v_lshrrev_b32_e32 v51, 16, v24
	v_mul_u32_u24_e32 v4, 0x10001, v106
	v_and_b32_e32 v24, 0xffff, v24
	v_dual_lshrrev_b32 v112, 16, v25 :: v_dual_lshrrev_b32 v114, 16, v26
	v_and_b32_e32 v113, 0xffff, v25
	s_delay_alu instid0(VALU_DEP_4)
	v_pk_fma_f16 v48, v19, v4, v1
	v_pk_fma_f16 v50, v18, v4, v0
	ds_load_2addr_b64 v[28:31], v80 offset1:32
	ds_load_b128 v[32:35], v90 offset:160
	ds_load_b128 v[0:3], v90 offset:176
	ds_load_2addr_b64 v[20:23], v80 offset0:64 offset1:96
	ds_load_2addr_b64 v[12:15], v80 offset0:128 offset1:160
	;; [unrolled: 1-line block ×3, first 2 shown]
	ds_load_2addr_b64 v[8:11], v44 offset1:32
	ds_load_2addr_b64 v[4:7], v44 offset0:64 offset1:96
	s_wait_dscnt 0x8
	v_lshrrev_b32_e32 v110, 16, v39
	v_and_b32_e32 v115, 0xffff, v26
	v_dual_lshrrev_b32 v46, 16, v27 :: v_dual_lshrrev_b32 v41, 16, v36
	v_and_b32_e32 v45, 0xffff, v36
	v_mul_u32_u24_e32 v36, 0x10001, v112
	v_and_b32_e32 v116, 0xffff, v27
	s_delay_alu instid0(VALU_DEP_4)
	v_mul_u32_u24_e32 v46, 0x10001, v46
	v_dual_lshrrev_b32 v42, 16, v37 :: v_dual_lshrrev_b32 v109, 16, v38
	v_and_b32_e32 v43, 0xffff, v37
	v_mul_u32_u24_e32 v45, 0x10001, v45
	v_and_b32_e32 v40, 0xffff, v38
	s_wait_dscnt 0x6
	v_lshrrev_b32_e32 v107, 16, v32
	v_and_b32_e32 v108, 0xffff, v32
	v_dual_lshrrev_b32 v105, 16, v33 :: v_dual_lshrrev_b32 v102, 16, v34
	v_and_b32_e32 v106, 0xffff, v33
	v_mul_u32_u24_e32 v32, 0x10001, v24
	v_mul_u32_u24_e32 v33, 0x10001, v51
	v_and_b32_e32 v104, 0xffff, v34
	v_lshrrev_b32_e32 v101, 16, v35
	v_and_b32_e32 v103, 0xffff, v35
	v_mul_u32_u24_e32 v34, 0x10001, v113
	v_pk_fma_f16 v35, v28, v32, v49
	v_pk_fma_f16 v32, v29, v32, v47
	;; [unrolled: 1-line block ×4, first 2 shown]
	v_mul_u32_u24_e32 v49, 0x10001, v115
	v_pk_fma_f16 v47, v30, v34, v35
	v_pk_fma_f16 v48, v31, v34, v32
	;; [unrolled: 1-line block ×4, first 2 shown]
	v_mul_u32_u24_e32 v30, 0x10001, v114
	v_mul_u32_u24_e32 v31, 0x10001, v116
	s_wait_dscnt 0x4
	v_pk_fma_f16 v47, v20, v49, v47
	v_pk_fma_f16 v48, v21, v49, v48
	v_and_b32_e32 v111, 0xffff, v39
	v_pk_fma_f16 v20, v20, v30, v28
	v_pk_fma_f16 v21, v21, v30, v29
	v_pk_fma_f16 v47, v22, v31, v47
	v_pk_fma_f16 v112, v23, v31, v48
	ds_load_b128 v[24:27], v90 offset:192
	ds_load_b128 v[32:35], v90 offset:208
	v_pk_fma_f16 v20, v22, v46, v20
	v_pk_fma_f16 v21, v23, v46, v21
	v_mul_u32_u24_e32 v22, 0x10001, v41
	v_mul_u32_u24_e32 v23, 0x10001, v43
	;; [unrolled: 1-line block ×3, first 2 shown]
	s_wait_dscnt 0x5
	v_pk_fma_f16 v42, v12, v45, v47
	v_pk_fma_f16 v43, v13, v45, v112
	;; [unrolled: 1-line block ×4, first 2 shown]
	v_mul_u32_u24_e32 v20, 0x10001, v40
	v_pk_fma_f16 v21, v14, v23, v42
	v_pk_fma_f16 v22, v15, v23, v43
	;; [unrolled: 1-line block ×4, first 2 shown]
	v_mul_u32_u24_e32 v14, 0x10001, v109
	v_mul_u32_u24_e32 v15, 0x10001, v111
	;; [unrolled: 1-line block ×3, first 2 shown]
	s_wait_dscnt 0x4
	v_pk_fma_f16 v110, v16, v20, v21
	v_pk_fma_f16 v111, v17, v20, v22
	;; [unrolled: 1-line block ×4, first 2 shown]
	v_mul_u32_u24_e32 v14, 0x10001, v108
	v_pk_fma_f16 v108, v18, v15, v110
	v_pk_fma_f16 v15, v19, v15, v111
	;; [unrolled: 1-line block ×4, first 2 shown]
	v_mul_u32_u24_e32 v107, 0x10001, v107
	ds_load_2addr_b64 v[48:51], v44 offset0:128 offset1:160
	ds_load_2addr_b64 v[40:43], v99 offset1:32
	ds_load_2addr_b64 v[20:23], v99 offset0:64 offset1:96
	ds_load_2addr_b64 v[16:19], v99 offset0:128 offset1:160
	s_wait_dscnt 0x7
	v_pk_fma_f16 v108, v8, v14, v108
	v_pk_fma_f16 v111, v9, v14, v15
	ds_load_2addr_b64 v[12:15], v99 offset0:192 offset1:224
	v_mul_u32_u24_e32 v99, 0x10001, v106
	v_mul_u32_u24_e32 v105, 0x10001, v105
	v_pk_fma_f16 v8, v8, v107, v110
	v_pk_fma_f16 v9, v9, v107, v109
	v_lshrrev_b32_e32 v106, 16, v0
	v_pk_fma_f16 v107, v10, v99, v108
	v_pk_fma_f16 v99, v11, v99, v111
	v_and_b32_e32 v108, 0xffff, v0
	v_pk_fma_f16 v8, v10, v105, v8
	v_pk_fma_f16 v9, v11, v105, v9
	v_mul_u32_u24_e32 v0, 0x10001, v104
	v_mul_u32_u24_e32 v102, 0x10001, v102
	ds_load_2addr_b64 v[44:47], v44 offset0:192 offset1:224
	v_mul_u32_u24_e32 v103, 0x10001, v103
	v_mul_u32_u24_e32 v101, 0x10001, v101
	s_wait_dscnt 0x8
	v_pk_fma_f16 v107, v4, v0, v107
	v_pk_fma_f16 v99, v5, v0, v99
	;; [unrolled: 1-line block ×4, first 2 shown]
	v_dual_lshrrev_b32 v10, 16, v1 :: v_dual_lshrrev_b32 v105, 16, v2
	v_and_b32_e32 v11, 0xffff, v1
	s_wait_dscnt 0x7
	v_dual_lshrrev_b32 v109, 16, v3 :: v_dual_lshrrev_b32 v102, 16, v24
	v_pk_fma_f16 v8, v6, v103, v107
	v_pk_fma_f16 v9, v7, v103, v99
	v_and_b32_e32 v99, 0xffff, v24
	v_pk_fma_f16 v24, v6, v101, v4
	v_pk_fma_f16 v101, v7, v101, v5
	v_dual_lshrrev_b32 v103, 16, v25 :: v_dual_lshrrev_b32 v111, 16, v26
	v_and_b32_e32 v107, 0xffff, v25
	v_mul_u32_u24_e32 v4, 0x10001, v108
	v_mul_u32_u24_e32 v25, 0x10001, v106
	v_and_b32_e32 v104, 0xffff, v2
	v_mul_u32_u24_e32 v11, 0x10001, v11
	v_mul_u32_u24_e32 v10, 0x10001, v10
	s_wait_dscnt 0x5
	v_pk_fma_f16 v8, v48, v4, v8
	v_pk_fma_f16 v9, v49, v4, v9
	;; [unrolled: 1-line block ×4, first 2 shown]
	v_and_b32_e32 v110, 0xffff, v3
	v_and_b32_e32 v108, 0xffff, v26
	v_pk_fma_f16 v8, v50, v11, v8
	v_pk_fma_f16 v9, v51, v11, v9
	v_pk_fma_f16 v24, v50, v10, v24
	v_pk_fma_f16 v25, v51, v10, v25
	v_mul_u32_u24_e32 v10, 0x10001, v104
	v_mul_u32_u24_e32 v26, 0x10001, v105
	v_dual_lshrrev_b32 v112, 16, v27 :: v_dual_lshrrev_b32 v48, 16, v32
	v_and_b32_e32 v113, 0xffff, v27
	s_wait_dscnt 0x0
	v_pk_fma_f16 v27, v44, v10, v8
	v_pk_fma_f16 v101, v45, v10, v9
	v_mul_u32_u24_e32 v104, 0x10001, v110
	v_mul_u32_u24_e32 v105, 0x10001, v109
	v_pk_fma_f16 v24, v44, v26, v24
	v_pk_fma_f16 v25, v45, v26, v25
	ds_load_2addr_b64 v[0:3], v100 offset1:32
	ds_load_2addr_b64 v[4:7], v100 offset0:64 offset1:96
	ds_load_2addr_b64 v[8:11], v100 offset0:128 offset1:160
	v_pk_fma_f16 v45, v46, v104, v27
	v_pk_fma_f16 v101, v47, v104, v101
	;; [unrolled: 1-line block ×4, first 2 shown]
	ds_load_2addr_b64 v[24:27], v100 offset0:192 offset1:224
	v_mul_u32_u24_e32 v99, 0x10001, v99
	v_mul_u32_u24_e32 v100, 0x10001, v102
	;; [unrolled: 1-line block ×4, first 2 shown]
	ds_load_b128 v[36:39], v90 offset:224
	ds_load_b128 v[28:31], v90 offset:240
	v_pk_fma_f16 v45, v40, v99, v45
	v_pk_fma_f16 v99, v41, v99, v101
	;; [unrolled: 1-line block ×4, first 2 shown]
	v_mul_u32_u24_e32 v100, 0x10001, v111
	v_pk_fma_f16 v45, v42, v102, v45
	v_pk_fma_f16 v46, v43, v102, v99
	;; [unrolled: 1-line block ×4, first 2 shown]
	v_mul_u32_u24_e32 v99, 0x10001, v108
	v_and_b32_e32 v32, 0xffff, v32
	v_mul_u32_u24_e32 v102, 0x10001, v113
	v_mul_u32_u24_e32 v103, 0x10001, v112
	v_dual_lshrrev_b32 v49, 16, v33 :: v_dual_lshrrev_b32 v50, 16, v34
	v_pk_fma_f16 v45, v20, v99, v45
	v_pk_fma_f16 v20, v20, v100, v40
	;; [unrolled: 1-line block ×4, first 2 shown]
	v_and_b32_e32 v33, 0xffff, v33
	v_mul_u32_u24_e32 v32, 0x10001, v32
	v_mul_u32_u24_e32 v48, 0x10001, v48
	v_pk_fma_f16 v41, v22, v102, v45
	v_pk_fma_f16 v20, v22, v103, v20
	v_pk_fma_f16 v22, v23, v102, v40
	v_pk_fma_f16 v21, v23, v103, v21
	v_and_b32_e32 v34, 0xffff, v34
	v_mul_u32_u24_e32 v33, 0x10001, v33
	v_mul_u32_u24_e32 v49, 0x10001, v49
	v_pk_fma_f16 v40, v16, v32, v41
	v_pk_fma_f16 v16, v16, v48, v20
	;; [unrolled: 1-line block ×4, first 2 shown]
	s_wait_dscnt 0x1
	v_dual_lshrrev_b32 v51, 16, v35 :: v_dual_lshrrev_b32 v44, 16, v36
	v_and_b32_e32 v35, 0xffff, v35
	v_mul_u32_u24_e32 v34, 0x10001, v34
	v_mul_u32_u24_e32 v50, 0x10001, v50
	v_pk_fma_f16 v22, v18, v33, v40
	v_pk_fma_f16 v16, v18, v49, v16
	;; [unrolled: 1-line block ×4, first 2 shown]
	v_and_b32_e32 v36, 0xffff, v36
	v_mul_u32_u24_e32 v35, 0x10001, v35
	v_mul_u32_u24_e32 v51, 0x10001, v51
	v_pk_fma_f16 v20, v12, v34, v22
	v_pk_fma_f16 v12, v12, v50, v16
	;; [unrolled: 1-line block ×4, first 2 shown]
	v_dual_lshrrev_b32 v104, 16, v37 :: v_dual_lshrrev_b32 v105, 16, v38
	v_and_b32_e32 v37, 0xffff, v37
	v_mul_u32_u24_e32 v36, 0x10001, v36
	v_mul_u32_u24_e32 v44, 0x10001, v44
	v_pk_fma_f16 v18, v14, v35, v20
	v_pk_fma_f16 v12, v14, v51, v12
	;; [unrolled: 1-line block ×4, first 2 shown]
	v_and_b32_e32 v38, 0xffff, v38
	v_mul_u32_u24_e32 v37, 0x10001, v37
	v_mul_u32_u24_e32 v104, 0x10001, v104
	v_pk_fma_f16 v16, v0, v36, v18
	v_pk_fma_f16 v0, v0, v44, v12
	;; [unrolled: 1-line block ×4, first 2 shown]
	s_wait_dscnt 0x0
	v_dual_lshrrev_b32 v106, 16, v39 :: v_dual_lshrrev_b32 v101, 16, v28
	v_and_b32_e32 v39, 0xffff, v39
	v_mul_u32_u24_e32 v38, 0x10001, v38
	v_mul_u32_u24_e32 v23, 0x10001, v105
	v_pk_fma_f16 v14, v2, v37, v16
	v_pk_fma_f16 v0, v2, v104, v0
	;; [unrolled: 1-line block ×4, first 2 shown]
	v_and_b32_e32 v28, 0xffff, v28
	v_mul_u32_u24_e32 v21, 0x10001, v39
	v_mul_u32_u24_e32 v19, 0x10001, v106
	v_pk_fma_f16 v12, v4, v38, v14
	v_pk_fma_f16 v0, v4, v23, v0
	;; [unrolled: 1-line block ×4, first 2 shown]
	s_barrier_signal -1
	s_barrier_wait -1
	s_load_b32 s2, s[26:27], 0x4
	v_dual_lshrrev_b32 v47, 16, v29 :: v_dual_lshrrev_b32 v42, 16, v30
	v_and_b32_e32 v29, 0xffff, v29
	v_mul_u32_u24_e32 v17, 0x10001, v28
	v_mul_u32_u24_e32 v15, 0x10001, v101
	v_pk_fma_f16 v5, v6, v21, v12
	v_pk_fma_f16 v0, v6, v19, v0
	;; [unrolled: 1-line block ×4, first 2 shown]
	v_and_b32_e32 v30, 0xffff, v30
	v_mul_u32_u24_e32 v13, 0x10001, v29
	v_mul_u32_u24_e32 v3, 0x10001, v47
	v_pk_fma_f16 v5, v8, v17, v5
	v_pk_fma_f16 v0, v8, v15, v0
	v_pk_fma_f16 v2, v9, v17, v2
	v_pk_fma_f16 v1, v9, v15, v1
	v_lshrrev_b32_e32 v43, 16, v31
	v_and_b32_e32 v31, 0xffff, v31
	v_mul_u32_u24_e32 v4, 0x10001, v30
	v_mul_u32_u24_e32 v6, 0x10001, v42
	v_pk_fma_f16 v5, v10, v13, v5
	v_pk_fma_f16 v0, v10, v3, v0
	;; [unrolled: 1-line block ×4, first 2 shown]
	v_mul_u32_u24_e32 v7, 0x10001, v31
	v_mul_u32_u24_e32 v3, 0x10001, v43
	v_pk_fma_f16 v5, v24, v4, v5
	v_pk_fma_f16 v0, v24, v6, v0
	v_pk_fma_f16 v2, v25, v4, v2
	v_pk_fma_f16 v1, v25, v6, v1
	s_wait_kmcnt 0x0
	s_lshl_b32 s2, s2, 6
	v_pk_fma_f16 v24, v26, v7, v5
	v_pk_fma_f16 v22, v26, v3, v0
	;; [unrolled: 1-line block ×4, first 2 shown]
	s_add_co_i32 s10, s2, s10
	s_delay_alu instid0(SALU_CYCLE_1)
	s_cmp_ge_i32 s10, s34
	s_cbranch_scc1 .LBB83_27
; %bb.26:                               ;   in Loop: Header=BB83_9 Depth=1
	v_dual_mov_b32 v17, v74 :: v_dual_mov_b32 v16, v75
	s_branch .LBB83_9
.LBB83_27:
	v_mov_b32_e32 v0, v81
.LBB83_28:
	v_cmp_lt_i32_e32 vcc_lo, v98, v82
	s_cmp_lg_u64 s[12:13], 0
	s_cselect_b32 s2, -1, 0
	s_cmp_eq_u32 s33, 0
	v_cndmask_b32_e32 v1, v0, v98, vcc_lo
	v_cmp_lt_i32_e32 vcc_lo, v94, v82
	s_cselect_b32 s3, -1, 0
	s_delay_alu instid0(SALU_CYCLE_1) | instskip(NEXT) | instid1(VALU_DEP_2)
	s_and_b32 s2, s3, s2
	v_lshlrev_b32_e32 v1, 2, v1
	ds_bpermute_b32 v2, v1, v54
	ds_bpermute_b32 v3, v1, v55
	v_cndmask_b32_e32 v1, v0, v94, vcc_lo
	v_cmp_lt_i32_e32 vcc_lo, v95, v82
	s_delay_alu instid0(VALU_DEP_2)
	v_lshlrev_b32_e32 v1, 2, v1
	s_wait_dscnt 0x0
	v_pk_add_f32 v[2:3], v[54:55], v[2:3]
	ds_bpermute_b32 v4, v1, v2
	ds_bpermute_b32 v5, v1, v3
	v_cndmask_b32_e32 v1, v0, v95, vcc_lo
	v_cmp_lt_i32_e32 vcc_lo, v96, v82
	s_delay_alu instid0(VALU_DEP_2)
	v_lshlrev_b32_e32 v1, 2, v1
	s_wait_dscnt 0x0
	v_pk_add_f32 v[2:3], v[2:3], v[4:5]
	ds_bpermute_b32 v4, v1, v2
	ds_bpermute_b32 v5, v1, v3
	v_cndmask_b32_e32 v1, v0, v96, vcc_lo
	v_cmp_lt_i32_e32 vcc_lo, v97, v82
	s_delay_alu instid0(VALU_DEP_2) | instskip(SKIP_2) | instid1(VALU_DEP_1)
	v_lshlrev_b32_e32 v1, 2, v1
	v_cndmask_b32_e32 v0, v0, v97, vcc_lo
	s_and_b32 vcc_lo, exec_lo, s2
	v_lshlrev_b32_e32 v6, 2, v0
	s_wait_dscnt 0x0
	v_pk_add_f32 v[2:3], v[2:3], v[4:5]
	ds_bpermute_b32 v4, v1, v2
	ds_bpermute_b32 v5, v1, v3
	s_wait_dscnt 0x0
	v_pk_add_f32 v[0:1], v[2:3], v[4:5]
	ds_bpermute_b32 v2, v6, v0
	ds_bpermute_b32 v3, v6, v1
	s_wait_dscnt 0x0
	v_pk_add_f32 v[0:1], v[0:1], v[2:3]
	s_cbranch_vccz .LBB83_30
; %bb.29:
	s_ashr_i32 s31, s30, 31
	v_dual_mov_b32 v2, 0 :: v_dual_max_num_f32 v4, v74, v74
	s_lshl_b64 s[2:3], s[30:31], 2
	v_max_num_f32_e32 v6, v75, v75
	s_add_nc_u64 s[2:3], s[12:13], s[2:3]
	global_load_b64 v[2:3], v2, s[2:3]
	s_wait_loadcnt 0x0
	v_dual_max_num_f32 v5, v2, v2 :: v_dual_max_num_f32 v7, v3, v3
	s_delay_alu instid0(VALU_DEP_1) | instskip(NEXT) | instid1(VALU_DEP_1)
	v_dual_max_num_f32 v4, v4, v5 :: v_dual_max_num_f32 v5, v6, v7
	v_sub_f32_e32 v6, v74, v4
	s_delay_alu instid0(VALU_DEP_1) | instskip(NEXT) | instid1(VALU_DEP_3)
	v_dual_sub_f32 v7, v2, v4 :: v_dual_mul_f32 v2, 0x3fb8aa3b, v6
	v_sub_f32_e32 v8, v75, v5
	v_sub_f32_e32 v9, v3, v5
	s_delay_alu instid0(VALU_DEP_3)
	v_mul_f32_e32 v3, 0x3fb8aa3b, v7
	v_cmp_ngt_f32_e32 vcc_lo, 0xc2ce8ed0, v6
	v_fma_f32 v12, 0x3fb8aa3b, v6, -v2
	v_rndne_f32_e32 v13, v2
	v_mul_f32_e32 v10, 0x3fb8aa3b, v8
	v_rndne_f32_e32 v15, v3
	v_fma_f32 v14, 0x3fb8aa3b, v7, -v3
	v_fmac_f32_e32 v12, 0x32a5705f, v6
	v_sub_f32_e32 v2, v2, v13
	v_fma_f32 v16, 0x3fb8aa3b, v8, -v10
	v_sub_f32_e32 v3, v3, v15
	v_mul_f32_e32 v11, 0x3fb8aa3b, v9
	v_rndne_f32_e32 v17, v10
	v_add_f32_e32 v2, v2, v12
	v_cvt_i32_f32_e32 v13, v13
	v_fmac_f32_e32 v14, 0x32a5705f, v7
	v_fma_f32 v18, 0x3fb8aa3b, v9, -v11
	v_rndne_f32_e32 v19, v11
	v_exp_f32_e32 v2, v2
	s_delay_alu instid0(VALU_DEP_3) | instskip(NEXT) | instid1(VALU_DEP_2)
	v_dual_fmac_f32 v16, 0x32a5705f, v8 :: v_dual_add_f32 v3, v3, v14
	v_dual_fmac_f32 v18, 0x32a5705f, v9 :: v_dual_sub_f32 v11, v11, v19
	v_sub_f32_e32 v10, v10, v17
	v_cvt_i32_f32_e32 v14, v17
	s_delay_alu instid0(TRANS32_DEP_1) | instskip(SKIP_1) | instid1(VALU_DEP_3)
	v_ldexp_f32 v2, v2, v13
	v_exp_f32_e32 v3, v3
	v_dual_add_f32 v11, v11, v18 :: v_dual_add_f32 v10, v10, v16
	v_cvt_i32_f32_e32 v12, v15
	s_delay_alu instid0(VALU_DEP_3) | instskip(SKIP_1) | instid1(VALU_DEP_4)
	v_cndmask_b32_e32 v2, 0, v2, vcc_lo
	v_cmp_ngt_f32_e32 vcc_lo, 0xc2ce8ed0, v8
	v_exp_f32_e32 v11, v11
	v_exp_f32_e32 v10, v10
	v_cvt_i32_f32_e32 v15, v19
	v_mov_b64_e32 v[74:75], v[4:5]
	s_delay_alu instid0(TRANS32_DEP_1) | instskip(NEXT) | instid1(VALU_DEP_1)
	v_ldexp_f32 v10, v10, v14
	v_cndmask_b32_e32 v10, 0, v10, vcc_lo
	v_cmp_nlt_f32_e32 vcc_lo, 0x42b17218, v6
	v_ldexp_f32 v6, v3, v12
	v_cndmask_b32_e32 v2, 0x7f800000, v2, vcc_lo
	v_cmp_nlt_f32_e32 vcc_lo, 0x42b17218, v8
	v_ldexp_f32 v8, v11, v15
	v_cndmask_b32_e32 v3, 0x7f800000, v10, vcc_lo
	v_cmp_ngt_f32_e32 vcc_lo, 0xc2ce8ed0, v7
	v_cvt_f16_f32_e32 v10, v2
	s_delay_alu instid0(VALU_DEP_3) | instskip(SKIP_2) | instid1(VALU_DEP_4)
	v_cvt_f16_f32_e32 v11, v3
	v_cndmask_b32_e32 v6, 0, v6, vcc_lo
	v_cmp_ngt_f32_e32 vcc_lo, 0xc2ce8ed0, v9
	v_and_b32_e32 v10, 0xffff, v10
	s_delay_alu instid0(VALU_DEP_4)
	v_and_b32_e32 v11, 0xffff, v11
	v_cndmask_b32_e32 v8, 0, v8, vcc_lo
	v_cmp_nlt_f32_e32 vcc_lo, 0x42b17218, v7
	v_cndmask_b32_e32 v6, 0x7f800000, v6, vcc_lo
	v_cmp_nlt_f32_e32 vcc_lo, 0x42b17218, v9
	v_mul_u32_u24_e32 v9, 0x10001, v11
	v_cndmask_b32_e32 v7, 0x7f800000, v8, vcc_lo
	v_mul_u32_u24_e32 v8, 0x10001, v10
	s_delay_alu instid0(VALU_DEP_3) | instskip(SKIP_1) | instid1(VALU_DEP_4)
	v_pk_mul_f16 v22, v22, v9
	v_pk_mul_f16 v23, v23, v9
	v_pk_fma_f32 v[0:1], v[0:1], v[2:3], v[6:7]
	s_delay_alu instid0(VALU_DEP_4)
	v_pk_mul_f16 v24, v24, v8
	v_pk_mul_f16 v25, v25, v8
.LBB83_30:
	s_mov_b32 s2, exec_lo
	v_cmpx_gt_i32_e64 s22, v77
	s_cbranch_execz .LBB83_39
; %bb.31:
	s_load_b32 s0, s[0:1], 0xd4
	v_mov_b32_e32 v2, 1.0
	s_wait_kmcnt 0x0
	s_cmp_lg_u32 s0, 1
	s_cselect_b32 s2, -1, 0
	s_cmp_eq_u32 s0, 1
	s_cselect_b32 s1, -1, 0
	s_and_b32 vcc_lo, exec_lo, s2
	s_cbranch_vccnz .LBB83_33
; %bb.32:
	v_div_scale_f32 v2, null, v0, v0, 1.0
	s_delay_alu instid0(VALU_DEP_1) | instskip(SKIP_1) | instid1(TRANS32_DEP_1)
	v_rcp_f32_e32 v3, v2
	v_nop
	v_fma_f32 v4, -v2, v3, 1.0
	s_delay_alu instid0(VALU_DEP_1) | instskip(SKIP_1) | instid1(VALU_DEP_1)
	v_fmac_f32_e32 v3, v4, v3
	v_div_scale_f32 v4, vcc_lo, 1.0, v0, 1.0
	v_mul_f32_e32 v5, v4, v3
	s_delay_alu instid0(VALU_DEP_1) | instskip(NEXT) | instid1(VALU_DEP_1)
	v_fma_f32 v6, -v2, v5, v4
	v_fmac_f32_e32 v5, v6, v3
	s_delay_alu instid0(VALU_DEP_1) | instskip(NEXT) | instid1(VALU_DEP_1)
	v_fma_f32 v2, -v2, v5, v4
	v_div_fmas_f32 v2, v2, v3, v5
	s_delay_alu instid0(VALU_DEP_1)
	v_div_fixup_f32 v2, v2, v0, 1.0
.LBB83_33:
	v_mad_u32 v3, s28, s22, v77
	v_dual_lshrrev_b32 v5, 16, v24 :: v_dual_mov_b32 v7, 0
	v_lshrrev_b32_e32 v9, 16, v25
	v_cvt_f32_f16_e32 v4, v24
	v_cvt_f32_f16_e32 v8, v25
	s_delay_alu instid0(VALU_DEP_4) | instskip(SKIP_4) | instid1(VALU_DEP_1)
	v_cvt_f32_f16_e32 v5, v5
	v_cmp_eq_u32_e32 vcc_lo, 0, v76
	v_cvt_f32_f16_e32 v9, v9
	v_mad_u32 v3, v3, s23, s30
	s_and_b32 s2, vcc_lo, s2
	v_mad_u32 v3, s0, v3, s33
	s_delay_alu instid0(VALU_DEP_1) | instskip(SKIP_1) | instid1(VALU_DEP_2)
	v_lshl_add_u32 v6, v3, 7, v78
	v_pk_mul_f32 v[4:5], v[2:3], v[4:5] op_sel_hi:[0,1]
	v_lshl_add_u64 v[10:11], v[6:7], 2, s[16:17]
	v_pk_mul_f32 v[6:7], v[2:3], v[8:9] op_sel_hi:[0,1]
	global_store_b128 v[10:11], v[4:7], off
	s_wait_xcnt 0x0
	s_and_saveexec_b32 s3, s2
	s_cbranch_execz .LBB83_35
; %bb.34:
	v_dual_mov_b32 v4, v74 :: v_dual_mov_b32 v5, v0
	global_store_b64 v3, v[4:5], s[18:19] scale_offset
.LBB83_35:
	s_wait_xcnt 0x0
	s_or_b32 exec_lo, exec_lo, s3
	v_mov_b32_e32 v0, 1.0
	s_and_not1_b32 vcc_lo, exec_lo, s1
	s_cbranch_vccnz .LBB83_37
; %bb.36:
	v_div_scale_f32 v0, null, v1, v1, 1.0
	s_delay_alu instid0(VALU_DEP_1) | instskip(SKIP_1) | instid1(TRANS32_DEP_1)
	v_rcp_f32_e32 v2, v0
	v_nop
	v_fma_f32 v4, -v0, v2, 1.0
	s_delay_alu instid0(VALU_DEP_1) | instskip(SKIP_1) | instid1(VALU_DEP_1)
	v_fmac_f32_e32 v2, v4, v2
	v_div_scale_f32 v4, vcc_lo, 1.0, v1, 1.0
	v_mul_f32_e32 v5, v4, v2
	s_delay_alu instid0(VALU_DEP_1) | instskip(NEXT) | instid1(VALU_DEP_1)
	v_fma_f32 v6, -v0, v5, v4
	v_fmac_f32_e32 v5, v6, v2
	s_delay_alu instid0(VALU_DEP_1) | instskip(NEXT) | instid1(VALU_DEP_1)
	v_fma_f32 v0, -v0, v5, v4
	v_div_fmas_f32 v0, v0, v2, v5
	s_delay_alu instid0(VALU_DEP_1)
	v_div_fixup_f32 v0, v0, v1, 1.0
.LBB83_37:
	v_dual_add_nc_u32 v2, s0, v3 :: v_dual_lshrrev_b32 v3, 16, v22
	v_dual_mov_b32 v5, 0 :: v_dual_lshrrev_b32 v9, 16, v23
	v_cvt_f32_f16_e32 v6, v22
	s_delay_alu instid0(VALU_DEP_3) | instskip(NEXT) | instid1(VALU_DEP_4)
	v_lshl_add_u32 v4, v2, 7, v78
	v_cvt_f32_f16_e32 v7, v3
	v_cvt_f32_f16_e32 v8, v23
	;; [unrolled: 1-line block ×3, first 2 shown]
	s_delay_alu instid0(VALU_DEP_4) | instskip(NEXT) | instid1(VALU_DEP_4)
	v_lshl_add_u64 v[10:11], v[4:5], 2, s[16:17]
	v_pk_mul_f32 v[4:5], v[0:1], v[6:7] op_sel_hi:[0,1]
	s_delay_alu instid0(VALU_DEP_3)
	v_pk_mul_f32 v[6:7], v[0:1], v[8:9] op_sel_hi:[0,1]
	global_store_b128 v[10:11], v[4:7], off
	s_wait_xcnt 0x0
	s_and_b32 exec_lo, exec_lo, s2
	s_cbranch_execz .LBB83_39
; %bb.38:
	v_mov_b32_e32 v0, v75
	global_store_b64 v2, v[0:1], s[18:19] scale_offset
.LBB83_39:
	s_sendmsg sendmsg(MSG_DEALLOC_VGPRS)
	s_endpgm
	.section	.rodata,"a",@progbits
	.p2align	6, 0x0
	.amdhsa_kernel _ZL15flash_attn_tileILi128ELi128ELi4ELi2ELb1EEvPKcS1_S1_S1_S1_PKiPfP15HIP_vector_typeIfLj2EEffffjfiS5_IjLj3EEiiiiiiiiiiiliiliiiiil
		.amdhsa_group_segment_fixed_size 12288
		.amdhsa_private_segment_fixed_size 0
		.amdhsa_kernarg_size 464
		.amdhsa_user_sgpr_count 2
		.amdhsa_user_sgpr_dispatch_ptr 0
		.amdhsa_user_sgpr_queue_ptr 0
		.amdhsa_user_sgpr_kernarg_segment_ptr 1
		.amdhsa_user_sgpr_dispatch_id 0
		.amdhsa_user_sgpr_kernarg_preload_length 0
		.amdhsa_user_sgpr_kernarg_preload_offset 0
		.amdhsa_user_sgpr_private_segment_size 0
		.amdhsa_wavefront_size32 1
		.amdhsa_uses_dynamic_stack 0
		.amdhsa_enable_private_segment 0
		.amdhsa_system_sgpr_workgroup_id_x 1
		.amdhsa_system_sgpr_workgroup_id_y 1
		.amdhsa_system_sgpr_workgroup_id_z 1
		.amdhsa_system_sgpr_workgroup_info 0
		.amdhsa_system_vgpr_workitem_id 1
		.amdhsa_next_free_vgpr 117
		.amdhsa_next_free_sgpr 43
		.amdhsa_named_barrier_count 0
		.amdhsa_reserve_vcc 1
		.amdhsa_float_round_mode_32 0
		.amdhsa_float_round_mode_16_64 0
		.amdhsa_float_denorm_mode_32 3
		.amdhsa_float_denorm_mode_16_64 3
		.amdhsa_fp16_overflow 0
		.amdhsa_memory_ordered 1
		.amdhsa_forward_progress 1
		.amdhsa_inst_pref_size 89
		.amdhsa_round_robin_scheduling 0
		.amdhsa_exception_fp_ieee_invalid_op 0
		.amdhsa_exception_fp_denorm_src 0
		.amdhsa_exception_fp_ieee_div_zero 0
		.amdhsa_exception_fp_ieee_overflow 0
		.amdhsa_exception_fp_ieee_underflow 0
		.amdhsa_exception_fp_ieee_inexact 0
		.amdhsa_exception_int_div_zero 0
	.end_amdhsa_kernel
	.section	.text._ZL15flash_attn_tileILi128ELi128ELi4ELi2ELb1EEvPKcS1_S1_S1_S1_PKiPfP15HIP_vector_typeIfLj2EEffffjfiS5_IjLj3EEiiiiiiiiiiiliiliiiiil,"axG",@progbits,_ZL15flash_attn_tileILi128ELi128ELi4ELi2ELb1EEvPKcS1_S1_S1_S1_PKiPfP15HIP_vector_typeIfLj2EEffffjfiS5_IjLj3EEiiiiiiiiiiiliiliiiiil,comdat
.Lfunc_end83:
	.size	_ZL15flash_attn_tileILi128ELi128ELi4ELi2ELb1EEvPKcS1_S1_S1_S1_PKiPfP15HIP_vector_typeIfLj2EEffffjfiS5_IjLj3EEiiiiiiiiiiiliiliiiiil, .Lfunc_end83-_ZL15flash_attn_tileILi128ELi128ELi4ELi2ELb1EEvPKcS1_S1_S1_S1_PKiPfP15HIP_vector_typeIfLj2EEffffjfiS5_IjLj3EEiiiiiiiiiiiliiliiiiil
                                        ; -- End function
	.set _ZL15flash_attn_tileILi128ELi128ELi4ELi2ELb1EEvPKcS1_S1_S1_S1_PKiPfP15HIP_vector_typeIfLj2EEffffjfiS5_IjLj3EEiiiiiiiiiiiliiliiiiil.num_vgpr, 117
	.set _ZL15flash_attn_tileILi128ELi128ELi4ELi2ELb1EEvPKcS1_S1_S1_S1_PKiPfP15HIP_vector_typeIfLj2EEffffjfiS5_IjLj3EEiiiiiiiiiiiliiliiiiil.num_agpr, 0
	.set _ZL15flash_attn_tileILi128ELi128ELi4ELi2ELb1EEvPKcS1_S1_S1_S1_PKiPfP15HIP_vector_typeIfLj2EEffffjfiS5_IjLj3EEiiiiiiiiiiiliiliiiiil.numbered_sgpr, 43
	.set _ZL15flash_attn_tileILi128ELi128ELi4ELi2ELb1EEvPKcS1_S1_S1_S1_PKiPfP15HIP_vector_typeIfLj2EEffffjfiS5_IjLj3EEiiiiiiiiiiiliiliiiiil.num_named_barrier, 0
	.set _ZL15flash_attn_tileILi128ELi128ELi4ELi2ELb1EEvPKcS1_S1_S1_S1_PKiPfP15HIP_vector_typeIfLj2EEffffjfiS5_IjLj3EEiiiiiiiiiiiliiliiiiil.private_seg_size, 0
	.set _ZL15flash_attn_tileILi128ELi128ELi4ELi2ELb1EEvPKcS1_S1_S1_S1_PKiPfP15HIP_vector_typeIfLj2EEffffjfiS5_IjLj3EEiiiiiiiiiiiliiliiiiil.uses_vcc, 1
	.set _ZL15flash_attn_tileILi128ELi128ELi4ELi2ELb1EEvPKcS1_S1_S1_S1_PKiPfP15HIP_vector_typeIfLj2EEffffjfiS5_IjLj3EEiiiiiiiiiiiliiliiiiil.uses_flat_scratch, 0
	.set _ZL15flash_attn_tileILi128ELi128ELi4ELi2ELb1EEvPKcS1_S1_S1_S1_PKiPfP15HIP_vector_typeIfLj2EEffffjfiS5_IjLj3EEiiiiiiiiiiiliiliiiiil.has_dyn_sized_stack, 0
	.set _ZL15flash_attn_tileILi128ELi128ELi4ELi2ELb1EEvPKcS1_S1_S1_S1_PKiPfP15HIP_vector_typeIfLj2EEffffjfiS5_IjLj3EEiiiiiiiiiiiliiliiiiil.has_recursion, 0
	.set _ZL15flash_attn_tileILi128ELi128ELi4ELi2ELb1EEvPKcS1_S1_S1_S1_PKiPfP15HIP_vector_typeIfLj2EEffffjfiS5_IjLj3EEiiiiiiiiiiiliiliiiiil.has_indirect_call, 0
	.section	.AMDGPU.csdata,"",@progbits
; Kernel info:
; codeLenInByte = 11324
; TotalNumSgprs: 45
; NumVgprs: 117
; ScratchSize: 0
; MemoryBound: 0
; FloatMode: 240
; IeeeMode: 1
; LDSByteSize: 12288 bytes/workgroup (compile time only)
; SGPRBlocks: 0
; VGPRBlocks: 7
; NumSGPRsForWavesPerEU: 45
; NumVGPRsForWavesPerEU: 117
; NamedBarCnt: 0
; Occupancy: 8
; WaveLimiterHint : 1
; COMPUTE_PGM_RSRC2:SCRATCH_EN: 0
; COMPUTE_PGM_RSRC2:USER_SGPR: 2
; COMPUTE_PGM_RSRC2:TRAP_HANDLER: 0
; COMPUTE_PGM_RSRC2:TGID_X_EN: 1
; COMPUTE_PGM_RSRC2:TGID_Y_EN: 1
; COMPUTE_PGM_RSRC2:TGID_Z_EN: 1
; COMPUTE_PGM_RSRC2:TIDIG_COMP_CNT: 1
	.section	.text._ZL15flash_attn_tileILi128ELi128ELi2ELi2ELb1EEvPKcS1_S1_S1_S1_PKiPfP15HIP_vector_typeIfLj2EEffffjfiS5_IjLj3EEiiiiiiiiiiiliiliiiiil,"axG",@progbits,_ZL15flash_attn_tileILi128ELi128ELi2ELi2ELb1EEvPKcS1_S1_S1_S1_PKiPfP15HIP_vector_typeIfLj2EEffffjfiS5_IjLj3EEiiiiiiiiiiiliiliiiiil,comdat
	.globl	_ZL15flash_attn_tileILi128ELi128ELi2ELi2ELb1EEvPKcS1_S1_S1_S1_PKiPfP15HIP_vector_typeIfLj2EEffffjfiS5_IjLj3EEiiiiiiiiiiiliiliiiiil ; -- Begin function _ZL15flash_attn_tileILi128ELi128ELi2ELi2ELb1EEvPKcS1_S1_S1_S1_PKiPfP15HIP_vector_typeIfLj2EEffffjfiS5_IjLj3EEiiiiiiiiiiiliiliiiiil
	.p2align	8
	.type	_ZL15flash_attn_tileILi128ELi128ELi2ELi2ELb1EEvPKcS1_S1_S1_S1_PKiPfP15HIP_vector_typeIfLj2EEffffjfiS5_IjLj3EEiiiiiiiiiiiliiliiiiil,@function
_ZL15flash_attn_tileILi128ELi128ELi2ELi2ELb1EEvPKcS1_S1_S1_S1_PKiPfP15HIP_vector_typeIfLj2EEffffjfiS5_IjLj3EEiiiiiiiiiiiliiliiiiil: ; @_ZL15flash_attn_tileILi128ELi128ELi2ELi2ELb1EEvPKcS1_S1_S1_S1_PKiPfP15HIP_vector_typeIfLj2EEffffjfiS5_IjLj3EEiiiiiiiiiiiliiliiiiil
; %bb.0:
	s_clause 0x1
	s_load_b128 s[20:23], s[0:1], 0x5c
	s_load_b64 s[28:29], s[0:1], 0x80
	s_bfe_u32 s5, ttmp6, 0x40014
	s_lshr_b32 s4, ttmp7, 16
	s_add_co_i32 s5, s5, 1
	s_bfe_u32 s6, ttmp6, 0x40008
	s_mul_i32 s5, s4, s5
	s_getreg_b32 s24, hwreg(HW_REG_IB_STS2, 6, 4)
	s_add_co_i32 s6, s6, s5
	s_load_b64 s[36:37], s[0:1], 0xb8
	s_mov_b32 s35, 0
	s_mov_b64 s[30:31], 0
	s_wait_kmcnt 0x0
	s_lshr_b32 s2, s23, 31
	s_delay_alu instid0(SALU_CYCLE_1) | instskip(NEXT) | instid1(SALU_CYCLE_1)
	s_add_co_i32 s2, s23, s2
	s_ashr_i32 s2, s2, 1
	s_delay_alu instid0(SALU_CYCLE_1) | instskip(SKIP_1) | instid1(SALU_CYCLE_2)
	s_cvt_f32_u32 s3, s2
	s_sub_co_i32 s7, 0, s2
	v_rcp_iflag_f32_e32 v1, s3
	v_nop
	s_delay_alu instid0(TRANS32_DEP_1) | instskip(SKIP_1) | instid1(SALU_CYCLE_3)
	v_readfirstlane_b32 s3, v1
	s_mul_f32 s3, s3, 0x4f7ffffe
	s_cvt_u32_f32 s3, s3
	s_delay_alu instid0(SALU_CYCLE_3) | instskip(NEXT) | instid1(SALU_CYCLE_1)
	s_mul_i32 s7, s7, s3
	s_mul_hi_u32 s7, s3, s7
	s_delay_alu instid0(SALU_CYCLE_1) | instskip(SKIP_2) | instid1(SALU_CYCLE_1)
	s_add_co_i32 s3, s3, s7
	s_cmp_eq_u32 s24, 0
	s_cselect_b32 s4, s4, s6
	s_mul_hi_u32 s3, s4, s3
	s_delay_alu instid0(SALU_CYCLE_1) | instskip(SKIP_2) | instid1(SALU_CYCLE_1)
	s_mul_i32 s5, s3, s2
	s_add_co_i32 s6, s3, 1
	s_sub_co_i32 s5, s4, s5
	s_sub_co_i32 s7, s5, s2
	s_cmp_ge_u32 s5, s2
	s_cselect_b32 s3, s6, s3
	s_cselect_b32 s5, s7, s5
	s_add_co_i32 s6, s3, 1
	s_cmp_ge_u32 s5, s2
	s_cselect_b32 s2, s6, s3
	s_abs_i32 s3, s29
	s_lshl_b32 s4, s4, 1
	s_cvt_f32_u32 s5, s3
	s_sub_co_i32 s6, 0, s3
	s_mul_i32 s7, s2, s23
	s_abs_i32 s8, s23
	v_rcp_iflag_f32_e32 v1, s5
	s_sub_co_i32 s33, s4, s7
	v_nop
	s_delay_alu instid0(TRANS32_DEP_1) | instskip(SKIP_1) | instid1(SALU_CYCLE_3)
	v_readfirstlane_b32 s5, v1
	s_mul_f32 s5, s5, 0x4f7ffffe
	s_cvt_u32_f32 s5, s5
	s_delay_alu instid0(SALU_CYCLE_3) | instskip(NEXT) | instid1(SALU_CYCLE_1)
	s_mul_i32 s6, s6, s5
	s_mul_hi_u32 s6, s5, s6
	s_delay_alu instid0(SALU_CYCLE_1) | instskip(NEXT) | instid1(SALU_CYCLE_1)
	s_add_co_i32 s5, s5, s6
	s_mul_hi_u32 s4, s8, s5
	s_xor_b32 s5, s23, s29
	s_mul_i32 s6, s4, s3
	s_ashr_i32 s25, s5, 31
	s_sub_co_i32 s5, s8, s6
	s_add_co_i32 s6, s4, 1
	s_sub_co_i32 s7, s5, s3
	s_cmp_ge_u32 s5, s3
	s_cselect_b32 s4, s6, s4
	s_cselect_b32 s5, s7, s5
	s_add_co_i32 s6, s4, 1
	s_cmp_ge_u32 s5, s3
	s_cselect_b32 s3, s6, s4
	s_load_b512 s[4:19], s[0:1], 0x0
	s_xor_b32 s3, s3, s25
	s_delay_alu instid0(SALU_CYCLE_1) | instskip(NEXT) | instid1(SALU_CYCLE_1)
	s_sub_co_i32 s3, s3, s25
	s_abs_i32 s38, s3
	s_delay_alu instid0(SALU_CYCLE_1) | instskip(NEXT) | instid1(SALU_CYCLE_3)
	s_cvt_f32_u32 s25, s38
	v_rcp_iflag_f32_e32 v1, s25
	v_nop
	s_delay_alu instid0(TRANS32_DEP_1)
	v_readfirstlane_b32 s25, v1
	s_wait_kmcnt 0x0
	s_cmp_eq_u64 s[10:11], 0
	s_cbranch_scc1 .LBB84_2
; %bb.1:
	s_abs_i32 s29, s36
	s_abs_i32 s30, s2
	s_cvt_f32_u32 s26, s29
	s_sub_co_i32 s27, 0, s29
	s_delay_alu instid0(SALU_CYCLE_2) | instskip(SKIP_1) | instid1(TRANS32_DEP_1)
	v_rcp_iflag_f32_e32 v1, s26
	v_nop
	v_readfirstlane_b32 s26, v1
	s_mul_f32 s26, s26, 0x4f7ffffe
	s_delay_alu instid0(SALU_CYCLE_3) | instskip(NEXT) | instid1(SALU_CYCLE_3)
	s_cvt_u32_f32 s26, s26
	s_mul_i32 s27, s27, s26
	s_delay_alu instid0(SALU_CYCLE_1) | instskip(NEXT) | instid1(SALU_CYCLE_1)
	s_mul_hi_u32 s27, s26, s27
	s_add_co_i32 s26, s26, s27
	s_delay_alu instid0(SALU_CYCLE_1) | instskip(SKIP_2) | instid1(SALU_CYCLE_1)
	s_mul_hi_u32 s31, s30, s26
	s_load_b64 s[26:27], s[0:1], 0xc8
	s_mul_i32 s31, s31, s29
	s_sub_co_i32 s30, s30, s31
	s_ashr_i32 s31, s2, 31
	s_sub_co_i32 s34, s30, s29
	s_cmp_ge_u32 s30, s29
	s_cselect_b32 s30, s34, s30
	s_delay_alu instid0(SALU_CYCLE_1) | instskip(SKIP_2) | instid1(SALU_CYCLE_1)
	s_sub_co_i32 s34, s30, s29
	s_cmp_ge_u32 s30, s29
	s_cselect_b32 s29, s34, s30
	s_xor_b32 s29, s29, s31
	s_delay_alu instid0(SALU_CYCLE_1) | instskip(NEXT) | instid1(SALU_CYCLE_1)
	s_sub_co_i32 s30, s29, s31
	s_ashr_i32 s31, s30, 31
	s_wait_kmcnt 0x0
	s_mul_u64 s[26:27], s[26:27], s[30:31]
	s_delay_alu instid0(SALU_CYCLE_1)
	s_add_nc_u64 s[30:31], s[10:11], s[26:27]
.LBB84_2:
	s_bfe_u32 s10, ttmp6, 0x4000c
	v_dual_lshrrev_b32 v1, 10, v0 :: v_dual_mov_b32 v61, 0
	s_add_co_i32 s10, s10, 1
	s_and_b32 s11, ttmp6, 15
	s_mul_i32 s10, ttmp9, s10
	s_delay_alu instid0(VALU_DEP_1)
	v_bfe_u32 v1, v1, 1, 9
	s_add_co_i32 s11, s11, s10
	s_cmp_eq_u32 s24, 0
	s_load_b96 s[40:42], s[0:1], 0x70
	s_cselect_b32 s10, ttmp9, s11
	v_and_b32_e32 v92, 0x3ff, v0
	v_lshl_add_u32 v93, s10, 1, v1
	v_bfe_u32 v60, v0, 10, 1
	v_mov_b32_e32 v9, v61
	v_bfe_u32 v0, v0, 10, 10
	v_lshlrev_b32_e32 v83, 3, v92
	v_mul_hi_u32 v1, s20, v93
	v_dual_mov_b32 v3, v61 :: v_dual_lshlrev_b32 v8, 4, v92
	s_delay_alu instid0(VALU_DEP_4) | instskip(NEXT) | instid1(VALU_DEP_3)
	v_lshl_add_u32 v94, v0, 8, 0x2400
	v_add_nc_u32_e32 v1, v93, v1
	s_wait_kmcnt 0x0
	s_mov_b32 s20, s41
	s_mul_i32 s26, s33, s41
	s_delay_alu instid0(SALU_CYCLE_1) | instskip(SKIP_4) | instid1(VALU_DEP_1)
	s_ashr_i32 s27, s26, 31
	v_lshrrev_b32_e32 v1, s21, v1
	s_ashr_i32 s21, s41, 31
	s_ashr_i32 s41, s40, 31
	s_lshr_b64 s[20:21], s[20:21], 2
	v_mul_lo_u32 v1, v1, s22
	v_mul_u64_e32 v[4:5], s[20:21], v[60:61]
	s_lshr_b64 s[20:21], s[40:41], 2
	s_delay_alu instid0(VALU_DEP_2) | instskip(NEXT) | instid1(VALU_DEP_1)
	v_sub_nc_u32_e32 v2, v93, v1
	v_mul_u64_e32 v[6:7], s[20:21], v[2:3]
	s_mul_i32 s20, s2, s42
	s_delay_alu instid0(SALU_CYCLE_1) | instskip(SKIP_2) | instid1(SALU_CYCLE_1)
	s_ashr_i32 s21, s20, 31
	s_cmp_eq_u64 s[14:15], 0
	s_add_nc_u64 s[4:5], s[4:5], s[20:21]
	s_add_nc_u64 s[4:5], s[4:5], s[26:27]
	s_delay_alu instid0(VALU_DEP_3) | instid1(SALU_CYCLE_1)
	v_lshl_add_u64 v[4:5], v[4:5], 2, s[4:5]
	s_load_b32 s4, s[0:1], 0x40
	s_delay_alu instid0(VALU_DEP_1) | instskip(NEXT) | instid1(VALU_DEP_1)
	v_lshl_add_u64 v[4:5], v[6:7], 2, v[4:5]
	v_add_nc_u64_e32 v[4:5], v[4:5], v[8:9]
	global_load_b128 v[4:7], v[4:5], off
	s_wait_loadcnt 0x0
	s_wait_kmcnt 0x0
	v_fma_mixlo_f16 v1, s4, v4, 0
	v_mov_b32_e32 v4, v7
	s_delay_alu instid0(VALU_DEP_2) | instskip(NEXT) | instid1(VALU_DEP_2)
	v_and_b32_e32 v1, 0xffff, v1
	v_pk_mul_f32 v[4:5], s[4:5], v[4:5] op_sel_hi:[0,1]
	s_delay_alu instid0(VALU_DEP_1) | instskip(SKIP_2) | instid1(VALU_DEP_3)
	v_cvt_pk_f16_f32 v3, v4, v5
	v_fma_mixlo_f16 v4, s4, v6, 0
	v_add_nc_u32_e32 v6, v94, v83
	v_and_b32_e32 v5, 0xffff0000, v3
	s_delay_alu instid0(VALU_DEP_3) | instskip(NEXT) | instid1(VALU_DEP_2)
	v_and_b32_e32 v4, 0xffff, v4
	v_dual_lshlrev_b32 v3, 16, v3 :: v_dual_bitop2_b32 v1, v5, v1 bitop3:0x54
	s_delay_alu instid0(VALU_DEP_1) | instskip(NEXT) | instid1(VALU_DEP_2)
	v_or3_b32 v5, v3, v4, 0
	v_or3_b32 v4, 0, 0, v1
	ds_store_b64 v6, v[4:5]
	s_wait_dscnt 0x0
	s_barrier_signal -1
	s_barrier_wait -1
	s_cbranch_scc1 .LBB84_4
; %bb.3:
	s_load_b32 s4, s[0:1], 0xd0
	s_wait_kmcnt 0x0
	s_mul_i32 s4, s4, s2
	s_delay_alu instid0(SALU_CYCLE_1)
	s_add_co_i32 s4, s4, s10
	s_load_b32 s28, s[14:15], s4 offset:0x0 scale_offset
.LBB84_4:
	s_wait_xcnt 0x0
	s_bfe_u32 s4, ttmp6, 0x40010
	s_and_b32 s5, ttmp7, 0xffff
	s_add_co_i32 s4, s4, 1
	s_bfe_u32 s10, ttmp6, 0x40004
	s_mul_i32 s4, s5, s4
	v_mbcnt_lo_u32_b32 v95, -1, 0
	s_add_co_i32 s10, s10, s4
	s_cmp_eq_u32 s24, 0
	s_cselect_b32 s29, s5, s10
	s_mov_b32 s5, 0
	s_lshl_b32 s4, s29, 6
	s_wait_kmcnt 0x0
	s_cmp_lt_i32 s4, s28
	s_cbranch_scc1 .LBB84_7
; %bb.5:
	v_mbcnt_lo_u32_b32 v3, -1, 0
	s_delay_alu instid0(VALU_DEP_1)
	v_dual_mov_b32 v1, 32 :: v_dual_bitop2_b32 v110, 16, v3 bitop3:0x14
	v_xor_b32_e32 v109, 8, v3
	v_xor_b32_e32 v111, 4, v3
	;; [unrolled: 1-line block ×3, first 2 shown]
	v_dual_lshlrev_b32 v61, 2, v92 :: v_dual_bitop2_b32 v113, 1, v3 bitop3:0x14
	s_and_not1_b32 vcc_lo, exec_lo, s5
	s_cbranch_vccz .LBB84_8
; %bb.6:
	v_dual_mov_b32 v16, 0 :: v_dual_mov_b32 v0, 0
	v_dual_mov_b32 v82, 0xfeffffff :: v_dual_mov_b32 v17, 0
	s_branch .LBB84_20
.LBB84_7:
                                        ; implicit-def: $vgpr3
                                        ; implicit-def: $vgpr1
                                        ; implicit-def: $vgpr110
                                        ; implicit-def: $vgpr109
                                        ; implicit-def: $vgpr111
                                        ; implicit-def: $vgpr112
                                        ; implicit-def: $vgpr113
	v_lshlrev_b32_e32 v61, 2, v92
.LBB84_8:
	s_mul_f32 s5, s25, 0x4f7ffffe
	s_clause 0x1
	s_load_b128 s[24:27], s[0:1], 0x98
	s_load_b64 s[14:15], s[0:1], 0x8c
	s_sub_co_i32 s10, 0, s38
	s_load_b64 s[20:21], s[0:1], 0xa8
	s_cvt_u32_f32 s5, s5
	s_ashr_i32 s39, s3, 31
	s_abs_i32 s34, s33
	s_mov_b32 s11, s35
	s_mul_i32 s10, s10, s5
	v_dual_lshrrev_b32 v1, 3, v92 :: v_dual_bitop2_b32 v4, 28, v61 bitop3:0x40
	s_mul_hi_u32 s3, s5, s10
	s_ashr_i32 s36, s33, 31
	s_add_co_i32 s10, s5, s3
	s_delay_alu instid0(VALU_DEP_1)
	v_lshl_add_u32 v1, v0, 2, v1
	s_mul_u64 s[10:11], s[34:35], s[10:11]
	s_ashr_i32 s37, s37, 1
	s_mul_i32 s5, s11, s38
	s_ashr_i32 s3, s2, 31
	s_sub_co_i32 s5, s34, s5
	s_xor_b32 s35, s36, s39
	s_wait_kmcnt 0x0
	s_ashr_i32 s10, s26, 2
	s_ashr_i32 s14, s14, 2
	s_add_co_i32 s26, s11, 1
	s_sub_co_i32 s34, s5, s38
	s_cmp_ge_u32 s5, s38
	v_mul_lo_u32 v62, s14, v1
	s_cselect_b32 s11, s26, s11
	s_cselect_b32 s5, s34, s5
	s_add_co_i32 s26, s11, 1
	s_cmp_ge_u32 s5, s38
	s_mul_u64 s[24:25], s[24:25], s[2:3]
	s_cselect_b32 s5, s26, s11
	s_add_nc_u64 s[6:7], s[6:7], s[24:25]
	s_load_b32 s24, s[0:1], 0x54
	s_mul_u64 s[20:21], s[20:21], s[2:3]
	s_lshl_b32 s3, s14, 4
	s_delay_alu instid0(SALU_CYCLE_1) | instskip(SKIP_2) | instid1(VALU_DEP_3)
	v_dual_lshrrev_b32 v3, 4, v92 :: v_dual_add_nc_u32 v64, s3, v62
	v_dual_ashrrev_i32 v63, 31, v62 :: v_dual_lshlrev_b32 v5, 2, v4
	v_mov_b32_e32 v67, 0
	v_lshl_add_u32 v3, v0, 1, v3
	s_delay_alu instid0(VALU_DEP_4) | instskip(SKIP_2) | instid1(VALU_DEP_4)
	v_dual_add_nc_u32 v68, s3, v64 :: v_dual_ashrrev_i32 v65, 31, v64
	v_and_b32_e32 v8, 60, v61
	v_mad_u32_u24 v96, 0x90, v1, v5
	v_mul_lo_u32 v6, s10, v3
	s_delay_alu instid0(VALU_DEP_4)
	v_dual_ashrrev_i32 v69, 31, v68 :: v_dual_add_nc_u32 v70, s3, v68
	s_lshl_b32 s3, s10, 3
	v_lshlrev_b32_e32 v1, 2, v8
	v_lshl_add_u32 v100, v0, 7, 0x2800
	v_mad_u32 v103, v2, s37, v92
	s_xor_b32 s5, s5, s35
	v_dual_mov_b32 v16, v67 :: v_dual_add_nc_u32 v97, 0x900, v96
	s_sub_co_i32 s5, s5, s35
	v_add_nc_u32_e32 v10, s3, v6
	v_lshl_or_b32 v102, v3, 8, v1
	s_mul_i32 s34, s5, s15
	s_mul_i32 s26, s5, s27
	v_dual_mov_b32 v73, v67 :: v_dual_add_nc_u32 v98, 0x1200, v96
	v_dual_add_nc_u32 v0, s3, v10 :: v_dual_ashrrev_i32 v11, 31, v10
	v_ashrrev_i32_e32 v71, 31, v70
	v_dual_mov_b32 v18, 0xfeffffff :: v_dual_ashrrev_i32 v7, 31, v6
	s_delay_alu instid0(VALU_DEP_3) | instskip(NEXT) | instid1(VALU_DEP_4)
	v_dual_add_nc_u32 v2, s3, v0 :: v_dual_ashrrev_i32 v1, 31, v0
	v_lshlrev_b64_e32 v[76:77], 2, v[10:11]
	s_delay_alu instid0(VALU_DEP_3) | instskip(SKIP_1) | instid1(VALU_DEP_4)
	v_lshlrev_b64_e32 v[74:75], 2, v[6:7]
	v_dual_mov_b32 v108, v67 :: v_dual_add_nc_u32 v99, 0x1b00, v96
	v_ashrrev_i32_e32 v3, 31, v2
	v_lshlrev_b64_e32 v[78:79], 2, v[0:1]
	v_mul_u32_u24_e32 v101, 0x90, v92
	v_lshl_add_u32 v104, v92, 1, v100
	v_add_nc_u32_e32 v105, 0x800, v102
	v_lshlrev_b64_e32 v[80:81], 2, v[2:3]
	v_dual_mov_b32 v17, v67 :: v_dual_add_nc_u32 v106, 0x1000, v102
	v_add_nc_u32_e32 v107, 0x1800, v102
	v_lshlrev_b32_e32 v72, 2, v4
	v_lshlrev_b32_e32 v66, 2, v8
	s_ashr_i32 s35, s34, 31
	s_add_nc_u64 s[8:9], s[8:9], s[20:21]
	s_ashr_i32 s27, s26, 31
	s_add_nc_u64 s[6:7], s[6:7], s[34:35]
	s_add_nc_u64 s[8:9], s[8:9], s[26:27]
	s_ashr_i32 s15, s14, 31
	s_ashr_i32 s11, s10, 31
	s_add_nc_u64 s[20:21], s[0:1], 0xd0
	s_mov_b32 s3, 0xbbbac73d
.LBB84_9:                               ; =>This Inner Loop Header: Depth=1
	s_ashr_i32 s5, s4, 31
                                        ; implicit-def: $vgpr19
	s_delay_alu instid0(SALU_CYCLE_1) | instskip(NEXT) | instid1(SALU_CYCLE_1)
	s_mul_u64 s[26:27], s[4:5], s[14:15]
	s_lshl_b64 s[26:27], s[26:27], 2
	s_delay_alu instid0(SALU_CYCLE_1) | instskip(NEXT) | instid1(SALU_CYCLE_1)
	s_add_nc_u64 s[26:27], s[6:7], s[26:27]
	v_lshl_add_u64 v[0:1], v[62:63], 2, s[26:27]
	v_lshl_add_u64 v[2:3], v[64:65], 2, s[26:27]
	;; [unrolled: 1-line block ×4, first 2 shown]
	s_delay_alu instid0(VALU_DEP_4) | instskip(NEXT) | instid1(VALU_DEP_4)
	v_add_nc_u64_e32 v[6:7], v[0:1], v[72:73]
	v_add_nc_u64_e32 v[2:3], v[2:3], v[72:73]
	s_delay_alu instid0(VALU_DEP_4) | instskip(NEXT) | instid1(VALU_DEP_4)
	v_add_nc_u64_e32 v[4:5], v[4:5], v[72:73]
	v_add_nc_u64_e32 v[0:1], v[8:9], v[72:73]
	s_clause 0x3
	global_load_b128 v[8:11], v[6:7], off
	global_load_b128 v[12:15], v[2:3], off
	;; [unrolled: 1-line block ×4, first 2 shown]
	s_wait_loadcnt 0x3
	ds_store_b128 v96, v[8:11]
	s_wait_loadcnt 0x2
	ds_store_b128 v97, v[12:15]
	;; [unrolled: 2-line block ×4, first 2 shown]
	s_wait_dscnt 0x0
	s_barrier_signal -1
	s_barrier_wait -1
	ds_load_b128 v[8:11], v101
	ds_load_b128 v[12:15], v94
	ds_load_b128 v[24:27], v101 offset:4608
	v_dual_mov_b32 v22, 0 :: v_dual_mov_b32 v23, 0
	s_wait_dscnt 0x1
	;;#ASMSTART
	v_dot2_f32_f16 v22, v8, v12, v22
	;;#ASMEND
	;;#ASMSTART
	v_dot2_f32_f16 v22, v9, v13, v22
	;;#ASMEND
	;;#ASMSTART
	v_dot2_f32_f16 v22, v10, v14, v22
	;;#ASMEND
	;;#ASMSTART
	v_dot2_f32_f16 v22, v11, v15, v22
	;;#ASMEND
	s_wait_dscnt 0x0
	;;#ASMSTART
	v_dot2_f32_f16 v23, v24, v12, v23
	;;#ASMEND
	;;#ASMSTART
	v_dot2_f32_f16 v23, v25, v13, v23
	;;#ASMEND
	;;#ASMSTART
	v_dot2_f32_f16 v23, v26, v14, v23
	;;#ASMEND
	;;#ASMSTART
	v_dot2_f32_f16 v23, v27, v15, v23
	;;#ASMEND
	ds_load_b128 v[8:11], v101 offset:16
	ds_load_b128 v[12:15], v94 offset:16
	ds_load_b128 v[24:27], v101 offset:4624
	s_wait_dscnt 0x1
	;;#ASMSTART
	v_dot2_f32_f16 v22, v8, v12, v22
	;;#ASMEND
	;;#ASMSTART
	v_dot2_f32_f16 v22, v9, v13, v22
	;;#ASMEND
	;;#ASMSTART
	v_dot2_f32_f16 v22, v10, v14, v22
	;;#ASMEND
	;;#ASMSTART
	v_dot2_f32_f16 v22, v11, v15, v22
	;;#ASMEND
	s_wait_dscnt 0x0
	;;#ASMSTART
	v_dot2_f32_f16 v23, v24, v12, v23
	;;#ASMEND
	;;#ASMSTART
	v_dot2_f32_f16 v23, v25, v13, v23
	;;#ASMEND
	;;#ASMSTART
	v_dot2_f32_f16 v23, v26, v14, v23
	;;#ASMEND
	;;#ASMSTART
	v_dot2_f32_f16 v23, v27, v15, v23
	;;#ASMEND
	ds_load_b128 v[8:11], v101 offset:32
	ds_load_b128 v[12:15], v94 offset:32
	ds_load_b128 v[24:27], v101 offset:4640
	;; [unrolled: 29-line block ×7, first 2 shown]
	s_wait_dscnt 0x1
	;;#ASMSTART
	v_dot2_f32_f16 v22, v8, v12, v22
	;;#ASMEND
	;;#ASMSTART
	v_dot2_f32_f16 v22, v9, v13, v22
	;;#ASMEND
	;; [unrolled: 3-line block ×4, first 2 shown]
	s_wait_dscnt 0x0
	;;#ASMSTART
	v_dot2_f32_f16 v23, v24, v12, v23
	;;#ASMEND
	;;#ASMSTART
	v_dot2_f32_f16 v23, v25, v13, v23
	;;#ASMEND
	;; [unrolled: 3-line block ×4, first 2 shown]
	s_barrier_signal -1
	s_barrier_wait -1
	s_clause 0x3
	global_load_b128 v[6:9], v[6:7], off offset:128
	global_load_b128 v[10:13], v[2:3], off offset:128
	;; [unrolled: 1-line block ×3, first 2 shown]
	; meta instruction
	; meta instruction
	global_load_b128 v[0:3], v[0:1], off offset:128
	s_wait_loadcnt 0x3
	ds_store_b128 v96, v[6:9]
	s_wait_loadcnt 0x2
	ds_store_b128 v97, v[10:13]
	;; [unrolled: 2-line block ×4, first 2 shown]
	s_wait_dscnt 0x0
	s_barrier_signal -1
	s_barrier_wait -1
	ds_load_b128 v[0:3], v101
	ds_load_b128 v[4:7], v94 offset:128
	ds_load_b128 v[8:11], v101 offset:4608
	s_wait_dscnt 0x1
	;;#ASMSTART
	v_dot2_f32_f16 v22, v0, v4, v22
	;;#ASMEND
	;;#ASMSTART
	v_dot2_f32_f16 v22, v1, v5, v22
	;;#ASMEND
	;;#ASMSTART
	v_dot2_f32_f16 v22, v2, v6, v22
	;;#ASMEND
	;;#ASMSTART
	v_dot2_f32_f16 v22, v3, v7, v22
	;;#ASMEND
	s_wait_dscnt 0x0
	;;#ASMSTART
	v_dot2_f32_f16 v23, v8, v4, v23
	;;#ASMEND
	;;#ASMSTART
	v_dot2_f32_f16 v23, v9, v5, v23
	;;#ASMEND
	;;#ASMSTART
	v_dot2_f32_f16 v23, v10, v6, v23
	;;#ASMEND
	;;#ASMSTART
	v_dot2_f32_f16 v23, v11, v7, v23
	;;#ASMEND
	ds_load_b128 v[0:3], v101 offset:16
	ds_load_b128 v[4:7], v94 offset:144
	ds_load_b128 v[8:11], v101 offset:4624
	s_wait_dscnt 0x1
	;;#ASMSTART
	v_dot2_f32_f16 v22, v0, v4, v22
	;;#ASMEND
	;;#ASMSTART
	v_dot2_f32_f16 v22, v1, v5, v22
	;;#ASMEND
	;;#ASMSTART
	v_dot2_f32_f16 v22, v2, v6, v22
	;;#ASMEND
	;;#ASMSTART
	v_dot2_f32_f16 v22, v3, v7, v22
	;;#ASMEND
	s_wait_dscnt 0x0
	;;#ASMSTART
	v_dot2_f32_f16 v23, v8, v4, v23
	;;#ASMEND
	;;#ASMSTART
	v_dot2_f32_f16 v23, v9, v5, v23
	;;#ASMEND
	;;#ASMSTART
	v_dot2_f32_f16 v23, v10, v6, v23
	;;#ASMEND
	;;#ASMSTART
	v_dot2_f32_f16 v23, v11, v7, v23
	;;#ASMEND
	ds_load_b128 v[0:3], v101 offset:32
	;; [unrolled: 29-line block ×7, first 2 shown]
	ds_load_b128 v[4:7], v94 offset:240
	ds_load_b128 v[8:11], v101 offset:4720
	s_wait_dscnt 0x1
	;;#ASMSTART
	v_dot2_f32_f16 v22, v0, v4, v22
	;;#ASMEND
	;;#ASMSTART
	v_dot2_f32_f16 v22, v1, v5, v22
	;;#ASMEND
	;;#ASMSTART
	v_dot2_f32_f16 v22, v2, v6, v22
	;;#ASMEND
	;;#ASMSTART
	v_dot2_f32_f16 v22, v3, v7, v22
	;;#ASMEND
	v_cmp_ngt_f32_e64 s25, 0x3f200000, |v22|
	s_wait_dscnt 0x0
	;;#ASMSTART
	v_dot2_f32_f16 v23, v8, v4, v23
	;;#ASMEND
	;;#ASMSTART
	v_dot2_f32_f16 v23, v9, v5, v23
	;;#ASMEND
	;; [unrolled: 3-line block ×4, first 2 shown]
	s_and_saveexec_b32 s26, s25
	s_delay_alu instid0(SALU_CYCLE_1)
	s_xor_b32 s25, exec_lo, s26
	s_cbranch_execz .LBB84_11
; %bb.10:                               ;   in Loop: Header=BB84_9 Depth=1
	v_add_f32_e64 v0, |v22|, |v22|
	s_delay_alu instid0(VALU_DEP_1) | instskip(SKIP_1) | instid1(VALU_DEP_2)
	v_mul_f32_e32 v1, 0x3fb8aa3b, v0
	v_cmp_ngt_f32_e32 vcc_lo, 0xc2ce8ed0, v0
	v_rndne_f32_e32 v2, v1
	v_fma_f32 v3, 0x3fb8aa3b, v0, -v1
	s_delay_alu instid0(VALU_DEP_2) | instskip(NEXT) | instid1(VALU_DEP_2)
	v_sub_f32_e32 v1, v1, v2
	v_fmac_f32_e32 v3, 0x32a5705f, v0
	v_cvt_i32_f32_e32 v2, v2
	s_delay_alu instid0(VALU_DEP_2) | instskip(NEXT) | instid1(VALU_DEP_1)
	v_add_f32_e32 v1, v1, v3
	v_exp_f32_e32 v1, v1
	v_nop
	s_delay_alu instid0(TRANS32_DEP_1) | instskip(NEXT) | instid1(VALU_DEP_1)
	v_ldexp_f32 v1, v1, v2
	v_cndmask_b32_e32 v1, 0, v1, vcc_lo
	v_cmp_nlt_f32_e32 vcc_lo, 0x42b17218, v0
	s_delay_alu instid0(VALU_DEP_2) | instskip(NEXT) | instid1(VALU_DEP_1)
	v_cndmask_b32_e32 v0, 0x7f800000, v1, vcc_lo
	v_add_f32_e32 v0, 1.0, v0
	s_delay_alu instid0(VALU_DEP_1) | instskip(SKIP_1) | instid1(TRANS32_DEP_1)
	v_rcp_f32_e32 v0, v0
	v_nop
	v_fma_f32 v19, v0, -2.0, 1.0
.LBB84_11:                              ;   in Loop: Header=BB84_9 Depth=1
	s_and_not1_saveexec_b32 s25, s25
	s_cbranch_execz .LBB84_13
; %bb.12:                               ;   in Loop: Header=BB84_9 Depth=1
	v_mul_f32_e32 v0, v22, v22
	s_delay_alu instid0(VALU_DEP_1) | instskip(NEXT) | instid1(VALU_DEP_1)
	v_fmaak_f32 v1, s3, v0, 0x3ca908c9
	v_fmaak_f32 v1, v0, v1, 0xbd5c1c4e
	s_delay_alu instid0(VALU_DEP_1) | instskip(NEXT) | instid1(VALU_DEP_1)
	v_fmaak_f32 v1, v0, v1, 0x3e088382
	v_fmaak_f32 v1, v0, v1, 0xbeaaaa99
	s_delay_alu instid0(VALU_DEP_1) | instskip(NEXT) | instid1(VALU_DEP_1)
	v_mul_f32_e64 v1, |v22|, v1
	v_fma_f32 v19, v0, v1, |v22|
.LBB84_13:                              ;   in Loop: Header=BB84_9 Depth=1
	s_or_b32 exec_lo, exec_lo, s25
	v_add_nc_u32_e32 v0, s4, v103
	v_cmp_ngt_f32_e64 s25, 0x3f200000, |v23|
                                        ; implicit-def: $vgpr21
	global_load_u16 v20, v0, s[30:31] scale_offset
	s_wait_xcnt 0x0
	s_and_saveexec_b32 s26, s25
	s_delay_alu instid0(SALU_CYCLE_1)
	s_xor_b32 s25, exec_lo, s26
	s_cbranch_execz .LBB84_15
; %bb.14:                               ;   in Loop: Header=BB84_9 Depth=1
	v_add_f32_e64 v1, |v23|, |v23|
	s_delay_alu instid0(VALU_DEP_1) | instskip(SKIP_1) | instid1(VALU_DEP_2)
	v_mul_f32_e32 v2, 0x3fb8aa3b, v1
	v_cmp_ngt_f32_e32 vcc_lo, 0xc2ce8ed0, v1
	v_rndne_f32_e32 v3, v2
	v_fma_f32 v4, 0x3fb8aa3b, v1, -v2
	s_delay_alu instid0(VALU_DEP_2) | instskip(NEXT) | instid1(VALU_DEP_2)
	v_sub_f32_e32 v2, v2, v3
	v_fmac_f32_e32 v4, 0x32a5705f, v1
	v_cvt_i32_f32_e32 v3, v3
	s_delay_alu instid0(VALU_DEP_2) | instskip(NEXT) | instid1(VALU_DEP_1)
	v_add_f32_e32 v2, v2, v4
	v_exp_f32_e32 v2, v2
	v_nop
	s_delay_alu instid0(TRANS32_DEP_1) | instskip(NEXT) | instid1(VALU_DEP_1)
	v_ldexp_f32 v2, v2, v3
	v_cndmask_b32_e32 v2, 0, v2, vcc_lo
	v_cmp_nlt_f32_e32 vcc_lo, 0x42b17218, v1
	s_delay_alu instid0(VALU_DEP_2) | instskip(NEXT) | instid1(VALU_DEP_1)
	v_cndmask_b32_e32 v1, 0x7f800000, v2, vcc_lo
	v_add_f32_e32 v1, 1.0, v1
	s_delay_alu instid0(VALU_DEP_1) | instskip(SKIP_1) | instid1(TRANS32_DEP_1)
	v_rcp_f32_e32 v1, v1
	v_nop
	v_fma_f32 v21, v1, -2.0, 1.0
.LBB84_15:                              ;   in Loop: Header=BB84_9 Depth=1
	s_and_not1_saveexec_b32 s25, s25
	s_cbranch_execz .LBB84_17
; %bb.16:                               ;   in Loop: Header=BB84_9 Depth=1
	v_mul_f32_e32 v1, v23, v23
	s_delay_alu instid0(VALU_DEP_1) | instskip(NEXT) | instid1(VALU_DEP_1)
	v_fmaak_f32 v2, s3, v1, 0x3ca908c9
	v_fmaak_f32 v2, v1, v2, 0xbd5c1c4e
	s_delay_alu instid0(VALU_DEP_1) | instskip(NEXT) | instid1(VALU_DEP_1)
	v_fmaak_f32 v2, v1, v2, 0x3e088382
	v_fmaak_f32 v2, v1, v2, 0xbeaaaa99
	s_delay_alu instid0(VALU_DEP_1) | instskip(NEXT) | instid1(VALU_DEP_1)
	v_mul_f32_e64 v2, |v23|, v2
	v_fma_f32 v21, v1, v2, |v23|
.LBB84_17:                              ;   in Loop: Header=BB84_9 Depth=1
	s_or_b32 exec_lo, exec_lo, s25
	v_dual_ashrrev_i32 v1, 31, v0 :: v_dual_bitop2_b32 v110, 16, v95 bitop3:0x14
	s_mul_u64 s[26:27], s[4:5], s[10:11]
	v_bfi_b32 v19, 0x7fffffff, v19, v22
	s_lshl_b64 s[26:27], s[26:27], 2
	s_delay_alu instid0(VALU_DEP_2)
	v_lshl_add_u64 v[0:1], v[0:1], 1, s[30:31]
	s_add_nc_u64 s[26:27], s[8:9], s[26:27]
	v_bfi_b32 v21, 0x7fffffff, v21, v23
	v_add_nc_u64_e32 v[2:3], s[26:27], v[76:77]
	v_add_nc_u64_e32 v[4:5], s[26:27], v[78:79]
	global_load_u16 v24, v[0:1], off offset:64
	s_wait_xcnt 0x0
	v_add_nc_u64_e32 v[0:1], s[26:27], v[74:75]
	v_add_nc_u64_e32 v[6:7], s[26:27], v[80:81]
	s_wait_loadcnt 0x0
	s_barrier_signal -1
	v_add_nc_u64_e32 v[8:9], v[2:3], v[66:67]
	v_add_nc_u64_e32 v[10:11], v[4:5], v[66:67]
	s_barrier_wait -1
	v_add_nc_u64_e32 v[0:1], v[0:1], v[66:67]
	v_add_nc_u64_e32 v[12:13], v[6:7], v[66:67]
	v_cmp_gt_i32_e32 vcc_lo, 32, v110
	s_wait_kmcnt 0x0
	v_fma_mix_f32 v19, s24, v19, v20 op_sel_hi:[0,0,1]
	s_or_b32 s26, s4, 32
	s_clause 0x3
	global_load_b128 v[0:3], v[0:1], off
	global_load_b128 v[4:7], v[8:9], off
	;; [unrolled: 1-line block ×4, first 2 shown]
	s_ashr_i32 s27, s26, 31
	v_add_nc_u32_e32 v117, 0x1800, v83
	s_mul_u64 s[26:27], s[26:27], s[10:11]
	v_xor_b32_e32 v109, 8, v95
	s_lshl_b64 s[26:27], s[26:27], 2
	v_xor_b32_e32 v111, 4, v95
	s_add_nc_u64 s[26:27], s[8:9], s[26:27]
	v_add_nc_u32_e32 v118, 0x1000, v83
	v_fma_mix_f32 v21, s24, v21, v24 op_sel_hi:[0,0,1]
	v_cndmask_b32_e32 v20, v95, v110, vcc_lo
	v_cmp_gt_i32_e32 vcc_lo, 32, v109
	s_delay_alu instid0(VALU_DEP_3) | instskip(NEXT) | instid1(VALU_DEP_3)
	v_dual_add_f32 v22, 0x40051340, v19 :: v_dual_add_f32 v23, 0x40051340, v21
	v_lshlrev_b32_e32 v20, 2, v20
	s_delay_alu instid0(VALU_DEP_2)
	v_max3_num_f32 v22, v18, v22, v23
	v_cndmask_b32_e32 v23, v95, v109, vcc_lo
	v_cmp_gt_i32_e32 vcc_lo, 32, v111
	ds_bpermute_b32 v20, v20, v22
	s_wait_dscnt 0x0
	v_dual_max_num_f32 v20, v20, v20 :: v_dual_lshlrev_b32 v23, 2, v23
	s_delay_alu instid0(VALU_DEP_1) | instskip(SKIP_3) | instid1(VALU_DEP_1)
	v_max_num_f32_e32 v20, v22, v20
	ds_bpermute_b32 v22, v23, v20
	s_wait_dscnt 0x0
	v_dual_cndmask_b32 v23, v95, v111 :: v_dual_max_num_f32 v22, v22, v22
	v_dual_max_num_f32 v20, v20, v22 :: v_dual_lshlrev_b32 v23, 2, v23
	ds_bpermute_b32 v22, v23, v20
	s_wait_dscnt 0x0
	v_dual_max_num_f32 v22, v22, v22 :: v_dual_bitop2_b32 v112, 2, v95 bitop3:0x14
	s_delay_alu instid0(VALU_DEP_1) | instskip(NEXT) | instid1(VALU_DEP_2)
	v_cmp_gt_i32_e32 vcc_lo, 32, v112
	v_dual_max_num_f32 v20, v20, v22 :: v_dual_cndmask_b32 v23, v95, v112
	s_delay_alu instid0(VALU_DEP_1) | instskip(SKIP_3) | instid1(VALU_DEP_1)
	v_lshlrev_b32_e32 v23, 2, v23
	ds_bpermute_b32 v22, v23, v20
	s_wait_dscnt 0x0
	v_dual_max_num_f32 v22, v22, v22 :: v_dual_bitop2_b32 v113, 1, v95 bitop3:0x14
	v_max_num_f32_e32 v20, v20, v22
	s_delay_alu instid0(VALU_DEP_2) | instskip(SKIP_1) | instid1(VALU_DEP_1)
	v_cmp_gt_i32_e32 vcc_lo, 32, v113
	v_cndmask_b32_e32 v23, v95, v113, vcc_lo
	v_lshlrev_b32_e32 v23, 2, v23
	ds_bpermute_b32 v22, v23, v20
	s_wait_dscnt 0x0
	v_max_num_f32_e32 v22, v22, v22
	s_delay_alu instid0(VALU_DEP_1) | instskip(NEXT) | instid1(VALU_DEP_1)
	v_max_num_f32_e32 v82, v20, v22
	v_dual_sub_f32 v20, v19, v82 :: v_dual_sub_f32 v19, v21, v82
	s_delay_alu instid0(VALU_DEP_1) | instskip(NEXT) | instid1(VALU_DEP_2)
	v_dual_sub_f32 v18, v18, v82 :: v_dual_mul_f32 v21, 0x3fb8aa3b, v20
	v_mul_f32_e32 v22, 0x3fb8aa3b, v19
	v_cmp_ngt_f32_e32 vcc_lo, 0xc2ce8ed0, v20
	s_delay_alu instid0(VALU_DEP_3) | instskip(SKIP_1) | instid1(VALU_DEP_4)
	v_fma_f32 v23, 0x3fb8aa3b, v20, -v21
	v_rndne_f32_e32 v24, v21
	v_rndne_f32_e32 v26, v22
	v_fma_f32 v25, 0x3fb8aa3b, v19, -v22
	s_delay_alu instid0(VALU_DEP_4) | instskip(NEXT) | instid1(VALU_DEP_3)
	v_fmac_f32_e32 v23, 0x32a5705f, v20
	v_dual_sub_f32 v21, v21, v24 :: v_dual_sub_f32 v22, v22, v26
	v_cvt_i32_f32_e32 v24, v24
	v_cvt_i32_f32_e32 v26, v26
	s_delay_alu instid0(VALU_DEP_3) | instskip(NEXT) | instid1(VALU_DEP_1)
	v_add_f32_e32 v21, v21, v23
	v_exp_f32_e32 v21, v21
	v_nop
	s_delay_alu instid0(TRANS32_DEP_1) | instskip(NEXT) | instid1(VALU_DEP_1)
	v_ldexp_f32 v21, v21, v24
	v_cndmask_b32_e32 v21, 0, v21, vcc_lo
	v_cmp_ngt_f32_e32 vcc_lo, 0xc2ce8ed0, v19
	v_fmac_f32_e32 v25, 0x32a5705f, v19
	s_delay_alu instid0(VALU_DEP_1) | instskip(NEXT) | instid1(VALU_DEP_1)
	v_add_f32_e32 v22, v22, v25
	v_exp_f32_e32 v22, v22
	v_nop
	s_delay_alu instid0(TRANS32_DEP_1) | instskip(NEXT) | instid1(VALU_DEP_1)
	v_ldexp_f32 v22, v22, v26
	v_cndmask_b32_e32 v22, 0, v22, vcc_lo
	v_cmp_nlt_f32_e32 vcc_lo, 0x42b17218, v20
	v_cndmask_b32_e32 v114, 0x7f800000, v21, vcc_lo
	v_cmp_nlt_f32_e32 vcc_lo, 0x42b17218, v19
	s_delay_alu instid0(VALU_DEP_2) | instskip(SKIP_3) | instid1(VALU_DEP_3)
	v_cvt_f16_f32_e32 v21, v114
	v_cndmask_b32_e32 v115, 0x7f800000, v22, vcc_lo
	v_cmp_ngt_f32_e32 vcc_lo, 0xc2ce8ed0, v18
	v_mul_f32_e32 v23, 0x3fb8aa3b, v18
	v_cvt_f16_f32_e32 v22, v115
	ds_store_b16 v104, v21
	ds_store_b16 v104, v22 offset:64
	s_wait_loadcnt 0x3
	ds_store_b128 v102, v[0:3]
	s_wait_loadcnt 0x2
	ds_store_b128 v105, v[4:7]
	;; [unrolled: 2-line block ×4, first 2 shown]
	v_fma_f32 v25, 0x3fb8aa3b, v18, -v23
	v_rndne_f32_e32 v27, v23
	s_wait_dscnt 0x0
	s_barrier_signal -1
	s_barrier_wait -1
	s_delay_alu instid0(VALU_DEP_1)
	v_sub_f32_e32 v23, v23, v27
	ds_load_b128 v[2:5], v100
	v_fmac_f32_e32 v25, 0x32a5705f, v18
	v_cvt_i32_f32_e32 v20, v27
	ds_load_2addr_b64 v[12:15], v83 offset1:32
	v_add_nc_u64_e32 v[0:1], s[26:27], v[74:75]
	v_add_nc_u64_e32 v[8:9], s[26:27], v[78:79]
	v_add_f32_e32 v23, v23, v25
	v_add_nc_u64_e32 v[6:7], s[26:27], v[76:77]
	s_delay_alu instid0(VALU_DEP_2) | instskip(NEXT) | instid1(VALU_DEP_4)
	v_exp_f32_e32 v19, v23
	v_add_nc_u64_e32 v[84:85], v[0:1], v[66:67]
	s_delay_alu instid0(VALU_DEP_4) | instskip(NEXT) | instid1(VALU_DEP_3)
	v_add_nc_u64_e32 v[88:89], v[8:9], v[66:67]
	v_add_nc_u64_e32 v[86:87], v[6:7], v[66:67]
	s_delay_alu instid0(TRANS32_DEP_1) | instskip(NEXT) | instid1(VALU_DEP_1)
	v_ldexp_f32 v19, v19, v20
	v_cndmask_b32_e32 v10, 0, v19, vcc_lo
	v_cmp_nlt_f32_e32 vcc_lo, 0x42b17218, v18
	s_delay_alu instid0(VALU_DEP_2) | instskip(SKIP_2) | instid1(VALU_DEP_3)
	v_cndmask_b32_e32 v116, 0x7f800000, v10, vcc_lo
	v_add_nc_u64_e32 v[10:11], s[26:27], v[80:81]
	v_add_nc_u32_e32 v119, 0x800, v83
	v_cvt_f16_f32_e32 v18, v116
	s_delay_alu instid0(VALU_DEP_3)
	v_add_nc_u64_e32 v[90:91], v[10:11], v[66:67]
	ds_load_b128 v[8:11], v100 offset:16
	s_wait_dscnt 0x2
	v_and_b32_e32 v1, 0xffff, v2
	v_and_b32_e32 v0, 0xffff, v18
	ds_load_2addr_b64 v[32:35], v83 offset0:64 offset1:96
	ds_load_2addr_b64 v[120:123], v83 offset0:128 offset1:160
	;; [unrolled: 1-line block ×3, first 2 shown]
	ds_load_2addr_b64 v[44:47], v119 offset1:32
	v_lshrrev_b32_e32 v2, 16, v2
	v_and_b32_e32 v7, 0xffff, v3
	v_mul_u32_u24_e32 v1, 0x10001, v1
	v_mul_u32_u24_e32 v0, 0x10001, v0
	ds_load_2addr_b64 v[36:39], v119 offset0:64 offset1:96
	ds_load_2addr_b64 v[20:23], v119 offset0:128 offset1:160
	v_mul_u32_u24_e32 v2, 0x10001, v2
	v_mul_u32_u24_e32 v7, 0x10001, v7
	s_wait_dscnt 0x7
	v_pk_mul_f16 v6, v12, v1
	v_pk_mul_f16 v1, v13, v1
	v_lshrrev_b32_e32 v12, 16, v3
	ds_load_2addr_b64 v[28:31], v119 offset0:192 offset1:224
	ds_load_2addr_b64 v[40:43], v118 offset1:32
	v_pk_fma_f16 v6, v17, v0, v6
	v_pk_fma_f16 v0, v16, v0, v1
	v_mul_u32_u24_e32 v12, 0x10001, v12
	s_delay_alu instid0(VALU_DEP_3) | instskip(NEXT) | instid1(VALU_DEP_3)
	v_pk_fma_f16 v6, v14, v2, v6
	v_pk_fma_f16 v13, v15, v2, v0
	v_and_b32_e32 v14, 0xffff, v4
	v_lshrrev_b32_e32 v4, 16, v4
	ds_load_b128 v[24:27], v100 offset:32
	ds_load_b128 v[0:3], v100 offset:48
	s_wait_dscnt 0x9
	v_pk_fma_f16 v6, v32, v7, v6
	v_pk_fma_f16 v7, v33, v7, v13
	v_mul_u32_u24_e32 v13, 0x10001, v14
	v_mul_u32_u24_e32 v4, 0x10001, v4
	ds_load_2addr_b64 v[48:51], v118 offset0:64 offset1:96
	v_pk_fma_f16 v6, v34, v12, v6
	v_pk_fma_f16 v7, v35, v12, v7
	v_and_b32_e32 v12, 0xffff, v5
	v_lshrrev_b32_e32 v5, 16, v5
	ds_load_2addr_b64 v[52:55], v118 offset0:128 offset1:160
	s_wait_dscnt 0xa
	v_pk_fma_f16 v6, v120, v13, v6
	v_pk_fma_f16 v7, v121, v13, v7
	v_mul_u32_u24_e32 v12, 0x10001, v12
	ds_load_2addr_b64 v[56:59], v118 offset0:192 offset1:224
	ds_load_2addr_b64 v[32:35], v117 offset1:32
	ds_load_2addr_b64 v[16:19], v117 offset0:64 offset1:96
	v_pk_fma_f16 v6, v122, v4, v6
	v_pk_fma_f16 v4, v123, v4, v7
	v_and_b32_e32 v123, 0xffff, v8
	v_lshrrev_b32_e32 v8, 16, v8
	v_mul_u32_u24_e32 v120, 0x10001, v5
	s_wait_dscnt 0xc
	v_pk_fma_f16 v121, v124, v12, v6
	v_pk_fma_f16 v122, v125, v12, v4
	ds_load_2addr_b64 v[12:15], v117 offset0:128 offset1:160
	v_mul_u32_u24_e32 v8, 0x10001, v8
	ds_load_2addr_b64 v[4:7], v117 offset0:192 offset1:224
	v_pk_fma_f16 v121, v126, v120, v121
	v_pk_fma_f16 v120, v127, v120, v122
	v_mul_u32_u24_e32 v122, 0x10001, v123
	s_wait_dscnt 0x0
	s_barrier_signal -1
	s_barrier_wait -1
	s_delay_alu instid0(VALU_DEP_1)
	v_pk_fma_f16 v44, v44, v122, v121
	v_pk_fma_f16 v45, v45, v122, v120
	s_clause 0x1
	global_load_b128 v[120:123], v[84:85], off
	global_load_b128 v[84:87], v[86:87], off
	v_and_b32_e32 v125, 0xffff, v9
	v_lshrrev_b32_e32 v9, 16, v9
	v_pk_fma_f16 v124, v46, v8, v44
	v_pk_fma_f16 v8, v47, v8, v45
	s_clause 0x1
	global_load_b128 v[44:47], v[88:89], off
	global_load_b128 v[88:91], v[90:91], off
	v_mul_u32_u24_e32 v125, 0x10001, v125
	v_mul_u32_u24_e32 v9, 0x10001, v9
	s_wait_loadcnt 0x3
	ds_store_b128 v102, v[120:123]
	s_wait_loadcnt 0x2
	ds_store_b128 v105, v[84:87]
	;; [unrolled: 2-line block ×4, first 2 shown]
	v_pk_fma_f16 v36, v36, v125, v124
	v_pk_fma_f16 v8, v37, v125, v8
	v_and_b32_e32 v37, 0xffff, v10
	s_wait_dscnt 0x0
	s_barrier_signal -1
	v_pk_fma_f16 v36, v38, v9, v36
	v_pk_fma_f16 v8, v39, v9, v8
	v_lshrrev_b32_e32 v9, 16, v10
	v_mul_u32_u24_e32 v10, 0x10001, v37
	v_and_b32_e32 v37, 0xffff, v11
	v_lshrrev_b32_e32 v11, 16, v11
	s_barrier_wait -1
	v_mul_u32_u24_e32 v9, 0x10001, v9
	v_pk_fma_f16 v20, v20, v10, v36
	v_pk_fma_f16 v8, v21, v10, v8
	v_mul_u32_u24_e32 v36, 0x10001, v37
	v_mul_u32_u24_e32 v11, 0x10001, v11
	v_and_b32_e32 v21, 0xffff, v25
	v_pk_fma_f16 v10, v22, v9, v20
	v_pk_fma_f16 v8, v23, v9, v8
	v_and_b32_e32 v20, 0xffff, v24
	s_delay_alu instid0(VALU_DEP_4) | instskip(NEXT) | instid1(VALU_DEP_4)
	v_mul_u32_u24_e32 v21, 0x10001, v21
	v_pk_fma_f16 v9, v28, v36, v10
	s_delay_alu instid0(VALU_DEP_4) | instskip(SKIP_2) | instid1(VALU_DEP_4)
	v_pk_fma_f16 v8, v29, v36, v8
	v_lshrrev_b32_e32 v10, 16, v24
	v_mul_u32_u24_e32 v20, 0x10001, v20
	v_pk_fma_f16 v9, v30, v11, v9
	s_delay_alu instid0(VALU_DEP_4) | instskip(SKIP_2) | instid1(VALU_DEP_4)
	v_pk_fma_f16 v8, v31, v11, v8
	v_lshrrev_b32_e32 v11, 16, v25
	v_mul_u32_u24_e32 v10, 0x10001, v10
	v_pk_fma_f16 v9, v40, v20, v9
	s_delay_alu instid0(VALU_DEP_4) | instskip(SKIP_2) | instid1(VALU_DEP_4)
	v_pk_fma_f16 v8, v41, v20, v8
	v_and_b32_e32 v20, 0xffff, v26
	v_mul_u32_u24_e32 v11, 0x10001, v11
	v_pk_fma_f16 v9, v42, v10, v9
	s_delay_alu instid0(VALU_DEP_4) | instskip(SKIP_2) | instid1(VALU_DEP_4)
	v_pk_fma_f16 v8, v43, v10, v8
	v_lshrrev_b32_e32 v10, 16, v26
	v_mul_u32_u24_e32 v20, 0x10001, v20
	v_pk_fma_f16 v9, v48, v21, v9
	s_delay_alu instid0(VALU_DEP_4) | instskip(SKIP_1) | instid1(VALU_DEP_3)
	v_pk_fma_f16 v8, v49, v21, v8
	v_and_b32_e32 v21, 0xffff, v27
	v_pk_fma_f16 v9, v50, v11, v9
	s_delay_alu instid0(VALU_DEP_3)
	v_pk_fma_f16 v8, v51, v11, v8
	v_lshrrev_b32_e32 v11, 16, v27
	v_mul_u32_u24_e32 v10, 0x10001, v10
	v_mul_u32_u24_e32 v21, 0x10001, v21
	v_pk_fma_f16 v9, v52, v20, v9
	v_pk_fma_f16 v8, v53, v20, v8
	v_and_b32_e32 v20, 0xffff, v0
	v_mul_u32_u24_e32 v11, 0x10001, v11
	v_lshrrev_b32_e32 v0, 16, v0
	v_pk_fma_f16 v9, v54, v10, v9
	v_pk_fma_f16 v8, v55, v10, v8
	v_mul_u32_u24_e32 v10, 0x10001, v20
	v_and_b32_e32 v20, 0xffff, v1
	v_lshrrev_b32_e32 v1, 16, v1
	v_pk_fma_f16 v9, v56, v21, v9
	v_pk_fma_f16 v8, v57, v21, v8
	v_mul_u32_u24_e32 v0, 0x10001, v0
	v_mul_u32_u24_e32 v24, 0x10001, v20
	;; [unrolled: 1-line block ×3, first 2 shown]
	v_pk_fma_f16 v9, v58, v11, v9
	v_pk_fma_f16 v8, v59, v11, v8
	v_and_b32_e32 v11, 0xffff, v2
	ds_load_b128 v[20:23], v100 offset:64
	v_lshrrev_b32_e32 v2, 16, v2
	v_pk_fma_f16 v9, v32, v10, v9
	v_pk_fma_f16 v8, v33, v10, v8
	v_mul_u32_u24_e32 v10, 0x10001, v11
	s_delay_alu instid0(VALU_DEP_3) | instskip(NEXT) | instid1(VALU_DEP_3)
	v_pk_fma_f16 v9, v34, v0, v9
	v_pk_fma_f16 v0, v35, v0, v8
	s_delay_alu instid0(VALU_DEP_2) | instskip(NEXT) | instid1(VALU_DEP_2)
	v_pk_fma_f16 v8, v16, v24, v9
	v_pk_fma_f16 v0, v17, v24, v0
	v_and_b32_e32 v9, 0xffff, v3
	s_delay_alu instid0(VALU_DEP_3) | instskip(NEXT) | instid1(VALU_DEP_3)
	v_pk_fma_f16 v8, v18, v1, v8
	v_pk_fma_f16 v16, v19, v1, v0
	s_delay_alu instid0(VALU_DEP_3)
	v_mul_u32_u24_e32 v17, 0x10001, v9
	s_wait_dscnt 0x0
	v_and_b32_e32 v19, 0xffff, v20
	v_pk_fma_f16 v8, v12, v10, v8
	v_lshrrev_b32_e32 v12, 16, v3
	v_mul_u32_u24_e32 v11, 0x10001, v2
	ds_load_2addr_b64 v[0:3], v83 offset1:32
	v_pk_fma_f16 v9, v13, v10, v16
	v_mul_u32_u24_e32 v19, 0x10001, v19
	v_mul_u32_u24_e32 v16, 0x10001, v12
	v_pk_fma_f16 v8, v14, v11, v8
	s_delay_alu instid0(VALU_DEP_4) | instskip(NEXT) | instid1(VALU_DEP_2)
	v_pk_fma_f16 v18, v15, v11, v9
	v_pk_fma_f16 v4, v4, v17, v8
	ds_load_2addr_b64 v[12:15], v83 offset0:64 offset1:96
	ds_load_b128 v[8:11], v100 offset:80
	v_pk_fma_f16 v5, v5, v17, v18
	v_lshrrev_b32_e32 v18, 16, v20
	v_and_b32_e32 v20, 0xffff, v21
	v_pk_fma_f16 v17, v6, v16, v4
	ds_load_2addr_b64 v[24:27], v118 offset0:64 offset1:96
	v_pk_fma_f16 v16, v7, v16, v5
	ds_load_2addr_b64 v[4:7], v83 offset0:128 offset1:160
	s_wait_dscnt 0x4
	v_pk_fma_f16 v0, v0, v19, v17
	v_pk_fma_f16 v1, v1, v19, v16
	v_lshrrev_b32_e32 v16, 16, v21
	v_mul_u32_u24_e32 v18, 0x10001, v18
	v_mul_u32_u24_e32 v17, 0x10001, v20
	v_and_b32_e32 v20, 0xffff, v22
	s_delay_alu instid0(VALU_DEP_4) | instskip(NEXT) | instid1(VALU_DEP_4)
	v_mul_u32_u24_e32 v16, 0x10001, v16
	v_pk_fma_f16 v19, v2, v18, v0
	v_pk_fma_f16 v18, v3, v18, v1
	ds_load_2addr_b64 v[0:3], v83 offset0:192 offset1:224
	s_wait_dscnt 0x3
	v_and_b32_e32 v21, 0xffff, v9
	v_lshrrev_b32_e32 v9, 16, v9
	v_pk_fma_f16 v12, v12, v17, v19
	v_pk_fma_f16 v13, v13, v17, v18
	v_lshrrev_b32_e32 v17, 16, v22
	v_mul_u32_u24_e32 v18, 0x10001, v20
	v_and_b32_e32 v20, 0xffff, v23
	v_pk_fma_f16 v19, v14, v16, v12
	v_pk_fma_f16 v16, v15, v16, v13
	ds_load_2addr_b64 v[12:15], v119 offset1:32
	v_and_b32_e32 v22, 0xffff, v10
	v_mul_u32_u24_e32 v9, 0x10001, v9
	s_wait_dscnt 0x2
	v_pk_fma_f16 v4, v4, v18, v19
	v_pk_fma_f16 v5, v5, v18, v16
	v_lshrrev_b32_e32 v16, 16, v23
	v_mul_u32_u24_e32 v17, 0x10001, v17
	v_mul_u32_u24_e32 v18, 0x10001, v20
	v_and_b32_e32 v20, 0xffff, v8
	v_lshrrev_b32_e32 v8, 16, v8
	v_mul_u32_u24_e32 v16, 0x10001, v16
	v_pk_fma_f16 v19, v6, v17, v4
	v_pk_fma_f16 v17, v7, v17, v5
	ds_load_2addr_b64 v[4:7], v119 offset0:64 offset1:96
	v_mul_u32_u24_e32 v20, 0x10001, v20
	v_mul_u32_u24_e32 v8, 0x10001, v8
	s_wait_dscnt 0x2
	v_pk_fma_f16 v0, v0, v18, v19
	v_pk_fma_f16 v1, v1, v18, v17
	s_delay_alu instid0(VALU_DEP_2) | instskip(NEXT) | instid1(VALU_DEP_2)
	v_pk_fma_f16 v0, v2, v16, v0
	v_pk_fma_f16 v1, v3, v16, v1
	ds_load_2addr_b64 v[16:19], v119 offset0:128 offset1:160
	s_wait_dscnt 0x2
	v_pk_fma_f16 v12, v12, v20, v0
	v_pk_fma_f16 v13, v13, v20, v1
	v_mul_u32_u24_e32 v20, 0x10001, v21
	ds_load_b128 v[0:3], v100 offset:96
	v_pk_fma_f16 v21, v14, v8, v12
	v_pk_fma_f16 v8, v15, v8, v13
	ds_load_2addr_b64 v[12:15], v119 offset0:192 offset1:224
	s_wait_dscnt 0x3
	v_pk_fma_f16 v4, v4, v20, v21
	v_pk_fma_f16 v5, v5, v20, v8
	v_lshrrev_b32_e32 v8, 16, v10
	v_mul_u32_u24_e32 v10, 0x10001, v22
	ds_load_2addr_b64 v[20:23], v118 offset1:32
	v_pk_fma_f16 v4, v6, v9, v4
	v_pk_fma_f16 v5, v7, v9, v5
	v_and_b32_e32 v6, 0xffff, v11
	v_mul_u32_u24_e32 v7, 0x10001, v8
	v_lshrrev_b32_e32 v8, 16, v11
	s_wait_dscnt 0x3
	v_pk_fma_f16 v4, v16, v10, v4
	v_pk_fma_f16 v5, v17, v10, v5
	v_mul_u32_u24_e32 v9, 0x10001, v6
	v_mul_u32_u24_e32 v8, 0x10001, v8
	s_delay_alu instid0(VALU_DEP_4) | instskip(NEXT) | instid1(VALU_DEP_4)
	v_pk_fma_f16 v10, v18, v7, v4
	v_pk_fma_f16 v11, v19, v7, v5
	ds_load_b128 v[4:7], v100 offset:112
	s_wait_dscnt 0x3
	v_and_b32_e32 v16, 0xffff, v0
	v_lshrrev_b32_e32 v0, 16, v0
	s_wait_dscnt 0x2
	v_pk_fma_f16 v10, v12, v9, v10
	v_pk_fma_f16 v9, v13, v9, v11
	v_mul_u32_u24_e32 v12, 0x10001, v16
	v_mul_u32_u24_e32 v0, 0x10001, v0
	s_delay_alu instid0(VALU_DEP_4) | instskip(NEXT) | instid1(VALU_DEP_4)
	v_pk_fma_f16 v13, v14, v8, v10
	v_pk_fma_f16 v14, v15, v8, v9
	ds_load_2addr_b64 v[8:11], v118 offset0:128 offset1:160
	v_and_b32_e32 v15, 0xffff, v1
	v_lshrrev_b32_e32 v1, 16, v1
	s_wait_dscnt 0x2
	v_pk_fma_f16 v13, v20, v12, v13
	v_pk_fma_f16 v12, v21, v12, v14
	v_and_b32_e32 v20, 0xffff, v2
	v_mul_u32_u24_e32 v16, 0x10001, v15
	v_mul_u32_u24_e32 v1, 0x10001, v1
	v_pk_fma_f16 v17, v22, v0, v13
	v_pk_fma_f16 v0, v23, v0, v12
	ds_load_2addr_b64 v[12:15], v118 offset0:192 offset1:224
	v_lshrrev_b32_e32 v2, 16, v2
	v_pk_fma_f16 v21, v24, v16, v17
	v_pk_fma_f16 v0, v25, v16, v0
	v_mul_u32_u24_e32 v24, 0x10001, v20
	ds_load_2addr_b64 v[16:19], v117 offset1:32
	v_pk_fma_f16 v25, v26, v1, v21
	v_pk_fma_f16 v0, v27, v1, v0
	v_and_b32_e32 v1, 0xffff, v3
	v_lshrrev_b32_e32 v3, 16, v3
	v_mul_u32_u24_e32 v2, 0x10001, v2
	s_wait_dscnt 0x2
	v_pk_fma_f16 v8, v8, v24, v25
	v_pk_fma_f16 v0, v9, v24, v0
	v_mul_u32_u24_e32 v1, 0x10001, v1
	ds_load_2addr_b64 v[20:23], v117 offset0:64 offset1:96
	v_mul_u32_u24_e32 v3, 0x10001, v3
	v_pk_fma_f16 v28, v10, v2, v8
	v_pk_fma_f16 v0, v11, v2, v0
	v_and_b32_e32 v2, 0xffff, v4
	ds_load_2addr_b64 v[24:27], v117 offset0:128 offset1:160
	ds_load_2addr_b64 v[8:11], v117 offset0:192 offset1:224
	s_wait_dscnt 0x4
	v_pk_fma_f16 v12, v12, v1, v28
	v_pk_fma_f16 v0, v13, v1, v0
	v_lshrrev_b32_e32 v1, 16, v4
	v_mul_u32_u24_e32 v2, 0x10001, v2
	s_wait_dscnt 0x0
	v_pk_fma_f16 v4, v14, v3, v12
	v_pk_fma_f16 v0, v15, v3, v0
	v_and_b32_e32 v3, 0xffff, v5
	s_barrier_signal -1
	s_barrier_wait -1
	v_pk_fma_f16 v4, v16, v2, v4
	v_pk_fma_f16 v0, v17, v2, v0
	v_lshrrev_b32_e32 v2, 16, v5
	v_mul_u32_u24_e32 v1, 0x10001, v1
	v_mul_u32_u24_e32 v3, 0x10001, v3
	s_load_b32 s5, s[20:21], 0x4
	s_delay_alu instid0(VALU_DEP_3) | instskip(NEXT) | instid1(VALU_DEP_3)
	v_mul_u32_u24_e32 v2, 0x10001, v2
	v_pk_fma_f16 v4, v18, v1, v4
	v_pk_fma_f16 v0, v19, v1, v0
	v_and_b32_e32 v1, 0xffff, v6
	s_delay_alu instid0(VALU_DEP_3) | instskip(NEXT) | instid1(VALU_DEP_3)
	v_pk_fma_f16 v4, v20, v3, v4
	v_pk_fma_f16 v0, v21, v3, v0
	v_lshrrev_b32_e32 v3, 16, v6
	s_delay_alu instid0(VALU_DEP_4) | instskip(NEXT) | instid1(VALU_DEP_4)
	v_mul_u32_u24_e32 v1, 0x10001, v1
	v_pk_fma_f16 v4, v22, v2, v4
	s_delay_alu instid0(VALU_DEP_4) | instskip(SKIP_1) | instid1(VALU_DEP_3)
	v_pk_fma_f16 v0, v23, v2, v0
	v_and_b32_e32 v2, 0xffff, v7
	v_pk_fma_f16 v4, v24, v1, v4
	s_delay_alu instid0(VALU_DEP_3)
	v_pk_fma_f16 v0, v25, v1, v0
	v_lshrrev_b32_e32 v1, 16, v7
	v_mul_u32_u24_e32 v3, 0x10001, v3
	v_mul_u32_u24_e32 v2, 0x10001, v2
	s_wait_kmcnt 0x0
	s_lshl_b32 s5, s5, 6
	v_mul_u32_u24_e32 v1, 0x10001, v1
	v_pk_fma_f16 v4, v26, v3, v4
	v_pk_fma_f16 v3, v27, v3, v0
	v_add_f32_e32 v0, v114, v115
	s_add_co_i32 s4, s5, s4
	s_delay_alu instid0(VALU_DEP_3) | instskip(NEXT) | instid1(VALU_DEP_3)
	v_pk_fma_f16 v4, v8, v2, v4
	v_pk_fma_f16 v2, v9, v2, v3
	s_delay_alu instid0(VALU_DEP_3) | instskip(SKIP_1) | instid1(VALU_DEP_3)
	v_fmac_f32_e32 v0, v108, v116
	s_cmp_ge_i32 s4, s28
	v_pk_fma_f16 v17, v10, v1, v4
	s_delay_alu instid0(VALU_DEP_3)
	v_pk_fma_f16 v16, v11, v1, v2
	s_cbranch_scc1 .LBB84_19
; %bb.18:                               ;   in Loop: Header=BB84_9 Depth=1
	v_dual_mov_b32 v18, v82 :: v_dual_mov_b32 v108, v0
	s_branch .LBB84_9
.LBB84_19:
	v_dual_mov_b32 v1, 32 :: v_dual_mov_b32 v3, v95
.LBB84_20:
	s_delay_alu instid0(VALU_DEP_1)
	v_cmp_lt_i32_e32 vcc_lo, v110, v1
	s_cmp_lg_u64 s[12:13], 0
	s_cselect_b32 s3, -1, 0
	s_cmp_eq_u32 s29, 0
	v_cndmask_b32_e32 v2, v3, v110, vcc_lo
	v_cmp_lt_i32_e32 vcc_lo, v109, v1
	s_cselect_b32 s4, -1, 0
	s_delay_alu instid0(SALU_CYCLE_1) | instskip(NEXT) | instid1(VALU_DEP_2)
	s_and_b32 s3, s4, s3
	v_dual_cndmask_b32 v4, v3, v109, vcc_lo :: v_dual_lshlrev_b32 v2, 2, v2
	v_cmp_lt_i32_e32 vcc_lo, v111, v1
	s_delay_alu instid0(VALU_DEP_2)
	v_lshlrev_b32_e32 v4, 2, v4
	ds_bpermute_b32 v2, v2, v0
	s_wait_dscnt 0x0
	v_add_f32_e32 v0, v0, v2
	ds_bpermute_b32 v2, v4, v0
	v_cndmask_b32_e32 v4, v3, v111, vcc_lo
	v_cmp_lt_i32_e32 vcc_lo, v112, v1
	s_wait_dscnt 0x0
	s_delay_alu instid0(VALU_DEP_2)
	v_dual_lshlrev_b32 v4, 2, v4 :: v_dual_add_f32 v0, v0, v2
	ds_bpermute_b32 v2, v4, v0
	v_cndmask_b32_e32 v4, v3, v112, vcc_lo
	v_cmp_lt_i32_e32 vcc_lo, v113, v1
	v_cndmask_b32_e32 v1, v3, v113, vcc_lo
	s_and_b32 vcc_lo, exec_lo, s3
	s_wait_dscnt 0x0
	v_dual_add_f32 v0, v0, v2 :: v_dual_lshlrev_b32 v4, 2, v4
	ds_bpermute_b32 v2, v4, v0
	s_wait_dscnt 0x0
	v_dual_add_f32 v0, v0, v2 :: v_dual_lshlrev_b32 v1, 2, v1
	v_add_nc_u32_e32 v2, s33, v60
	ds_bpermute_b32 v1, v1, v0
	s_wait_dscnt 0x0
	v_add_f32_e32 v83, v0, v1
	s_cbranch_vccz .LBB84_23
; %bb.21:
	global_load_b32 v1, v2, s[12:13] scale_offset
	s_wait_loadcnt 0x0
	v_dual_max_num_f32 v0, v82, v82 :: v_dual_max_num_f32 v3, v1, v1
	s_delay_alu instid0(VALU_DEP_1) | instskip(NEXT) | instid1(VALU_DEP_1)
	v_max_num_f32_e32 v0, v0, v3
	v_sub_f32_e32 v1, v1, v0
	s_delay_alu instid0(VALU_DEP_1) | instskip(SKIP_1) | instid1(VALU_DEP_2)
	v_mul_f32_e32 v7, 0x3fb8aa3b, v1
	v_sub_f32_e32 v3, v82, v0
	v_rndne_f32_e32 v9, v7
	s_delay_alu instid0(VALU_DEP_2) | instskip(NEXT) | instid1(VALU_DEP_1)
	v_mul_f32_e32 v4, 0x3fb8aa3b, v3
	v_fma_f32 v5, 0x3fb8aa3b, v3, -v4
	v_rndne_f32_e32 v6, v4
	s_delay_alu instid0(VALU_DEP_1) | instskip(SKIP_2) | instid1(VALU_DEP_3)
	v_dual_sub_f32 v4, v4, v6 :: v_dual_fmac_f32 v5, 0x32a5705f, v3
	v_cvt_i32_f32_e32 v6, v6
	v_cmp_ngt_f32_e32 vcc_lo, 0xc2ce8ed0, v3
	v_add_f32_e32 v4, v4, v5
	v_fma_f32 v8, 0x3fb8aa3b, v1, -v7
	v_sub_f32_e32 v5, v7, v9
	s_delay_alu instid0(VALU_DEP_3) | instskip(NEXT) | instid1(VALU_DEP_2)
	v_exp_f32_e32 v4, v4
	v_fmac_f32_e32 v8, 0x32a5705f, v1
	s_delay_alu instid0(TRANS32_DEP_1) | instskip(SKIP_1) | instid1(VALU_DEP_2)
	v_ldexp_f32 v4, v4, v6
	v_cvt_i32_f32_e32 v6, v9
	v_cndmask_b32_e32 v4, 0, v4, vcc_lo
	v_cmp_nlt_f32_e32 vcc_lo, 0x42b17218, v3
	s_delay_alu instid0(VALU_DEP_2) | instskip(SKIP_2) | instid1(VALU_DEP_2)
	v_cndmask_b32_e32 v3, 0x7f800000, v4, vcc_lo
	v_add_f32_e32 v5, v5, v8
	v_cmp_ngt_f32_e32 vcc_lo, 0xc2ce8ed0, v1
	v_exp_f32_e32 v5, v5
	v_nop
	s_delay_alu instid0(TRANS32_DEP_1) | instskip(SKIP_1) | instid1(VALU_DEP_2)
	v_ldexp_f32 v4, v5, v6
	v_cvt_f16_f32_e32 v5, v3
	v_cndmask_b32_e32 v4, 0, v4, vcc_lo
	v_cmp_nlt_f32_e32 vcc_lo, 0x42b17218, v1
	s_delay_alu instid0(VALU_DEP_3) | instskip(NEXT) | instid1(VALU_DEP_3)
	v_and_b32_e32 v5, 0xffff, v5
	v_cndmask_b32_e32 v1, 0x7f800000, v4, vcc_lo
	s_delay_alu instid0(VALU_DEP_2) | instskip(NEXT) | instid1(VALU_DEP_2)
	v_mul_u32_u24_e32 v4, 0x10001, v5
	v_fmac_f32_e32 v1, v83, v3
	s_delay_alu instid0(VALU_DEP_2) | instskip(SKIP_1) | instid1(VALU_DEP_3)
	v_pk_mul_f16 v17, v17, v4
	v_pk_mul_f16 v16, v16, v4
	v_mov_b64_e32 v[82:83], v[0:1]
	s_mov_b32 s3, exec_lo
	v_cmpx_gt_i32_e64 s22, v93
	s_cbranch_execnz .LBB84_24
.LBB84_22:
	s_sendmsg sendmsg(MSG_DEALLOC_VGPRS)
	s_endpgm
.LBB84_23:
	s_delay_alu instid0(VALU_DEP_1)
	v_mov_b32_e32 v1, v83
	s_mov_b32 s3, exec_lo
	v_cmpx_gt_i32_e64 s22, v93
	s_cbranch_execz .LBB84_22
.LBB84_24:
	s_delay_alu instid0(VALU_DEP_2) | instskip(SKIP_2) | instid1(VALU_DEP_3)
	v_div_scale_f32 v0, null, v1, v1, 1.0
	v_div_scale_f32 v5, vcc_lo, 1.0, v1, 1.0
	v_mad_u32 v6, s2, s22, v93
	v_rcp_f32_e32 v4, v0
	s_load_b32 s0, s[0:1], 0xd4
	v_nop
	s_delay_alu instid0(TRANS32_DEP_1) | instskip(NEXT) | instid1(VALU_DEP_3)
	v_fma_f32 v3, -v0, v4, 1.0
	v_mad_u32 v2, v6, s23, v2
	v_cvt_f32_f16_e32 v6, v16
	s_delay_alu instid0(VALU_DEP_3) | instskip(NEXT) | instid1(VALU_DEP_1)
	v_fmac_f32_e32 v4, v3, v4
	v_mul_f32_e32 v7, v5, v4
	s_wait_kmcnt 0x0
	s_cmp_lg_u32 s0, 1
	s_delay_alu instid0(VALU_DEP_1) | instskip(NEXT) | instid1(VALU_DEP_1)
	v_fma_f32 v3, -v0, v7, v5
	v_dual_fmac_f32 v7, v3, v4 :: v_dual_mov_b32 v3, 0
	s_delay_alu instid0(VALU_DEP_1) | instskip(SKIP_2) | instid1(VALU_DEP_2)
	v_fma_f32 v5, -v0, v7, v5
	v_mad_u32 v0, s0, v2, s29
	s_cselect_b32 s0, -1, 0
	v_div_fmas_f32 v2, v5, v4, v7
	v_dual_lshrrev_b32 v5, 16, v17 :: v_dual_lshrrev_b32 v7, 16, v16
	v_cvt_f32_f16_e32 v4, v17
	v_cmp_eq_u32_e32 vcc_lo, 0, v92
	s_delay_alu instid0(VALU_DEP_4) | instskip(NEXT) | instid1(VALU_DEP_4)
	v_div_fixup_f32 v1, v2, v1, 1.0
	v_cvt_f32_f16_e32 v5, v5
	v_lshl_add_u32 v2, v0, 7, v61
	v_cvt_f32_f16_e32 v7, v7
	s_delay_alu instid0(VALU_DEP_4) | instskip(SKIP_1) | instid1(VALU_DEP_3)
	v_cndmask_b32_e64 v8, v1, 1.0, s0
	s_and_b32 s0, vcc_lo, s0
	v_lshl_add_u64 v[10:11], v[2:3], 2, s[16:17]
	s_delay_alu instid0(VALU_DEP_2)
	v_pk_mul_f32 v[2:3], v[8:9], v[4:5] op_sel_hi:[0,1]
	v_pk_mul_f32 v[4:5], v[8:9], v[6:7] op_sel_hi:[0,1]
	global_store_b128 v[10:11], v[2:5], off
	s_wait_xcnt 0x0
	s_and_b32 exec_lo, exec_lo, s0
	s_cbranch_execz .LBB84_22
; %bb.25:
	global_store_b64 v0, v[82:83], s[18:19] scale_offset
	s_sendmsg sendmsg(MSG_DEALLOC_VGPRS)
	s_endpgm
	.section	.rodata,"a",@progbits
	.p2align	6, 0x0
	.amdhsa_kernel _ZL15flash_attn_tileILi128ELi128ELi2ELi2ELb1EEvPKcS1_S1_S1_S1_PKiPfP15HIP_vector_typeIfLj2EEffffjfiS5_IjLj3EEiiiiiiiiiiiliiliiiiil
		.amdhsa_group_segment_fixed_size 10752
		.amdhsa_private_segment_fixed_size 0
		.amdhsa_kernarg_size 464
		.amdhsa_user_sgpr_count 2
		.amdhsa_user_sgpr_dispatch_ptr 0
		.amdhsa_user_sgpr_queue_ptr 0
		.amdhsa_user_sgpr_kernarg_segment_ptr 1
		.amdhsa_user_sgpr_dispatch_id 0
		.amdhsa_user_sgpr_kernarg_preload_length 0
		.amdhsa_user_sgpr_kernarg_preload_offset 0
		.amdhsa_user_sgpr_private_segment_size 0
		.amdhsa_wavefront_size32 1
		.amdhsa_uses_dynamic_stack 0
		.amdhsa_enable_private_segment 0
		.amdhsa_system_sgpr_workgroup_id_x 1
		.amdhsa_system_sgpr_workgroup_id_y 1
		.amdhsa_system_sgpr_workgroup_id_z 1
		.amdhsa_system_sgpr_workgroup_info 0
		.amdhsa_system_vgpr_workitem_id 1
		.amdhsa_next_free_vgpr 128
		.amdhsa_next_free_sgpr 43
		.amdhsa_named_barrier_count 0
		.amdhsa_reserve_vcc 1
		.amdhsa_float_round_mode_32 0
		.amdhsa_float_round_mode_16_64 0
		.amdhsa_float_denorm_mode_32 3
		.amdhsa_float_denorm_mode_16_64 3
		.amdhsa_fp16_overflow 0
		.amdhsa_memory_ordered 1
		.amdhsa_forward_progress 1
		.amdhsa_inst_pref_size 59
		.amdhsa_round_robin_scheduling 0
		.amdhsa_exception_fp_ieee_invalid_op 0
		.amdhsa_exception_fp_denorm_src 0
		.amdhsa_exception_fp_ieee_div_zero 0
		.amdhsa_exception_fp_ieee_overflow 0
		.amdhsa_exception_fp_ieee_underflow 0
		.amdhsa_exception_fp_ieee_inexact 0
		.amdhsa_exception_int_div_zero 0
	.end_amdhsa_kernel
	.section	.text._ZL15flash_attn_tileILi128ELi128ELi2ELi2ELb1EEvPKcS1_S1_S1_S1_PKiPfP15HIP_vector_typeIfLj2EEffffjfiS5_IjLj3EEiiiiiiiiiiiliiliiiiil,"axG",@progbits,_ZL15flash_attn_tileILi128ELi128ELi2ELi2ELb1EEvPKcS1_S1_S1_S1_PKiPfP15HIP_vector_typeIfLj2EEffffjfiS5_IjLj3EEiiiiiiiiiiiliiliiiiil,comdat
.Lfunc_end84:
	.size	_ZL15flash_attn_tileILi128ELi128ELi2ELi2ELb1EEvPKcS1_S1_S1_S1_PKiPfP15HIP_vector_typeIfLj2EEffffjfiS5_IjLj3EEiiiiiiiiiiiliiliiiiil, .Lfunc_end84-_ZL15flash_attn_tileILi128ELi128ELi2ELi2ELb1EEvPKcS1_S1_S1_S1_PKiPfP15HIP_vector_typeIfLj2EEffffjfiS5_IjLj3EEiiiiiiiiiiiliiliiiiil
                                        ; -- End function
	.set _ZL15flash_attn_tileILi128ELi128ELi2ELi2ELb1EEvPKcS1_S1_S1_S1_PKiPfP15HIP_vector_typeIfLj2EEffffjfiS5_IjLj3EEiiiiiiiiiiiliiliiiiil.num_vgpr, 128
	.set _ZL15flash_attn_tileILi128ELi128ELi2ELi2ELb1EEvPKcS1_S1_S1_S1_PKiPfP15HIP_vector_typeIfLj2EEffffjfiS5_IjLj3EEiiiiiiiiiiiliiliiiiil.num_agpr, 0
	.set _ZL15flash_attn_tileILi128ELi128ELi2ELi2ELb1EEvPKcS1_S1_S1_S1_PKiPfP15HIP_vector_typeIfLj2EEffffjfiS5_IjLj3EEiiiiiiiiiiiliiliiiiil.numbered_sgpr, 43
	.set _ZL15flash_attn_tileILi128ELi128ELi2ELi2ELb1EEvPKcS1_S1_S1_S1_PKiPfP15HIP_vector_typeIfLj2EEffffjfiS5_IjLj3EEiiiiiiiiiiiliiliiiiil.num_named_barrier, 0
	.set _ZL15flash_attn_tileILi128ELi128ELi2ELi2ELb1EEvPKcS1_S1_S1_S1_PKiPfP15HIP_vector_typeIfLj2EEffffjfiS5_IjLj3EEiiiiiiiiiiiliiliiiiil.private_seg_size, 0
	.set _ZL15flash_attn_tileILi128ELi128ELi2ELi2ELb1EEvPKcS1_S1_S1_S1_PKiPfP15HIP_vector_typeIfLj2EEffffjfiS5_IjLj3EEiiiiiiiiiiiliiliiiiil.uses_vcc, 1
	.set _ZL15flash_attn_tileILi128ELi128ELi2ELi2ELb1EEvPKcS1_S1_S1_S1_PKiPfP15HIP_vector_typeIfLj2EEffffjfiS5_IjLj3EEiiiiiiiiiiiliiliiiiil.uses_flat_scratch, 0
	.set _ZL15flash_attn_tileILi128ELi128ELi2ELi2ELb1EEvPKcS1_S1_S1_S1_PKiPfP15HIP_vector_typeIfLj2EEffffjfiS5_IjLj3EEiiiiiiiiiiiliiliiiiil.has_dyn_sized_stack, 0
	.set _ZL15flash_attn_tileILi128ELi128ELi2ELi2ELb1EEvPKcS1_S1_S1_S1_PKiPfP15HIP_vector_typeIfLj2EEffffjfiS5_IjLj3EEiiiiiiiiiiiliiliiiiil.has_recursion, 0
	.set _ZL15flash_attn_tileILi128ELi128ELi2ELi2ELb1EEvPKcS1_S1_S1_S1_PKiPfP15HIP_vector_typeIfLj2EEffffjfiS5_IjLj3EEiiiiiiiiiiiliiliiiiil.has_indirect_call, 0
	.section	.AMDGPU.csdata,"",@progbits
; Kernel info:
; codeLenInByte = 7440
; TotalNumSgprs: 45
; NumVgprs: 128
; ScratchSize: 0
; MemoryBound: 0
; FloatMode: 240
; IeeeMode: 1
; LDSByteSize: 10752 bytes/workgroup (compile time only)
; SGPRBlocks: 0
; VGPRBlocks: 7
; NumSGPRsForWavesPerEU: 45
; NumVGPRsForWavesPerEU: 128
; NamedBarCnt: 0
; Occupancy: 8
; WaveLimiterHint : 1
; COMPUTE_PGM_RSRC2:SCRATCH_EN: 0
; COMPUTE_PGM_RSRC2:USER_SGPR: 2
; COMPUTE_PGM_RSRC2:TRAP_HANDLER: 0
; COMPUTE_PGM_RSRC2:TGID_X_EN: 1
; COMPUTE_PGM_RSRC2:TGID_Y_EN: 1
; COMPUTE_PGM_RSRC2:TGID_Z_EN: 1
; COMPUTE_PGM_RSRC2:TIDIG_COMP_CNT: 1
	.section	.text._ZL15flash_attn_tileILi128ELi128ELi1ELi2ELb1EEvPKcS1_S1_S1_S1_PKiPfP15HIP_vector_typeIfLj2EEffffjfiS5_IjLj3EEiiiiiiiiiiiliiliiiiil,"axG",@progbits,_ZL15flash_attn_tileILi128ELi128ELi1ELi2ELb1EEvPKcS1_S1_S1_S1_PKiPfP15HIP_vector_typeIfLj2EEffffjfiS5_IjLj3EEiiiiiiiiiiiliiliiiiil,comdat
	.globl	_ZL15flash_attn_tileILi128ELi128ELi1ELi2ELb1EEvPKcS1_S1_S1_S1_PKiPfP15HIP_vector_typeIfLj2EEffffjfiS5_IjLj3EEiiiiiiiiiiiliiliiiiil ; -- Begin function _ZL15flash_attn_tileILi128ELi128ELi1ELi2ELb1EEvPKcS1_S1_S1_S1_PKiPfP15HIP_vector_typeIfLj2EEffffjfiS5_IjLj3EEiiiiiiiiiiiliiliiiiil
	.p2align	8
	.type	_ZL15flash_attn_tileILi128ELi128ELi1ELi2ELb1EEvPKcS1_S1_S1_S1_PKiPfP15HIP_vector_typeIfLj2EEffffjfiS5_IjLj3EEiiiiiiiiiiiliiliiiiil,@function
_ZL15flash_attn_tileILi128ELi128ELi1ELi2ELb1EEvPKcS1_S1_S1_S1_PKiPfP15HIP_vector_typeIfLj2EEffffjfiS5_IjLj3EEiiiiiiiiiiiliiliiiiil: ; @_ZL15flash_attn_tileILi128ELi128ELi1ELi2ELb1EEvPKcS1_S1_S1_S1_PKiPfP15HIP_vector_typeIfLj2EEffffjfiS5_IjLj3EEiiiiiiiiiiiliiliiiiil
; %bb.0:
	s_clause 0x1
	s_load_b128 s[20:23], s[0:1], 0x5c
	s_load_b64 s[28:29], s[0:1], 0x80
	s_bfe_u32 s5, ttmp6, 0x40014
	s_lshr_b32 s4, ttmp7, 16
	s_add_co_i32 s5, s5, 1
	s_bfe_u32 s6, ttmp6, 0x40008
	s_mul_i32 s5, s4, s5
	s_getreg_b32 s24, hwreg(HW_REG_IB_STS2, 6, 4)
	s_add_co_i32 s6, s6, s5
	s_load_b64 s[36:37], s[0:1], 0xb8
	s_mov_b32 s35, 0
	s_mov_b64 s[30:31], 0
	s_wait_kmcnt 0x0
	s_lshr_b32 s2, s23, 31
	s_delay_alu instid0(SALU_CYCLE_1) | instskip(NEXT) | instid1(SALU_CYCLE_1)
	s_add_co_i32 s2, s23, s2
	s_ashr_i32 s2, s2, 1
	s_delay_alu instid0(SALU_CYCLE_1) | instskip(SKIP_1) | instid1(SALU_CYCLE_2)
	s_cvt_f32_u32 s3, s2
	s_sub_co_i32 s7, 0, s2
	v_rcp_iflag_f32_e32 v1, s3
	v_nop
	s_delay_alu instid0(TRANS32_DEP_1) | instskip(SKIP_1) | instid1(SALU_CYCLE_3)
	v_readfirstlane_b32 s3, v1
	s_mul_f32 s3, s3, 0x4f7ffffe
	s_cvt_u32_f32 s3, s3
	s_delay_alu instid0(SALU_CYCLE_3) | instskip(NEXT) | instid1(SALU_CYCLE_1)
	s_mul_i32 s7, s7, s3
	s_mul_hi_u32 s7, s3, s7
	s_delay_alu instid0(SALU_CYCLE_1) | instskip(SKIP_2) | instid1(SALU_CYCLE_1)
	s_add_co_i32 s3, s3, s7
	s_cmp_eq_u32 s24, 0
	s_cselect_b32 s4, s4, s6
	s_mul_hi_u32 s3, s4, s3
	s_delay_alu instid0(SALU_CYCLE_1) | instskip(SKIP_2) | instid1(SALU_CYCLE_1)
	s_mul_i32 s5, s3, s2
	s_add_co_i32 s6, s3, 1
	s_sub_co_i32 s5, s4, s5
	s_sub_co_i32 s7, s5, s2
	s_cmp_ge_u32 s5, s2
	s_cselect_b32 s3, s6, s3
	s_cselect_b32 s5, s7, s5
	s_add_co_i32 s6, s3, 1
	s_cmp_ge_u32 s5, s2
	s_cselect_b32 s2, s6, s3
	s_abs_i32 s3, s29
	s_lshl_b32 s4, s4, 1
	s_cvt_f32_u32 s5, s3
	s_sub_co_i32 s6, 0, s3
	s_mul_i32 s7, s2, s23
	s_abs_i32 s8, s23
	v_rcp_iflag_f32_e32 v1, s5
	s_sub_co_i32 s33, s4, s7
	v_nop
	s_delay_alu instid0(TRANS32_DEP_1) | instskip(SKIP_1) | instid1(SALU_CYCLE_3)
	v_readfirstlane_b32 s5, v1
	s_mul_f32 s5, s5, 0x4f7ffffe
	s_cvt_u32_f32 s5, s5
	s_delay_alu instid0(SALU_CYCLE_3) | instskip(NEXT) | instid1(SALU_CYCLE_1)
	s_mul_i32 s6, s6, s5
	s_mul_hi_u32 s6, s5, s6
	s_delay_alu instid0(SALU_CYCLE_1) | instskip(NEXT) | instid1(SALU_CYCLE_1)
	s_add_co_i32 s5, s5, s6
	s_mul_hi_u32 s4, s8, s5
	s_xor_b32 s5, s23, s29
	s_mul_i32 s6, s4, s3
	s_ashr_i32 s25, s5, 31
	s_sub_co_i32 s5, s8, s6
	s_add_co_i32 s6, s4, 1
	s_sub_co_i32 s7, s5, s3
	s_cmp_ge_u32 s5, s3
	s_cselect_b32 s4, s6, s4
	s_cselect_b32 s5, s7, s5
	s_add_co_i32 s6, s4, 1
	s_cmp_ge_u32 s5, s3
	s_cselect_b32 s3, s6, s4
	s_load_b512 s[4:19], s[0:1], 0x0
	s_xor_b32 s3, s3, s25
	s_delay_alu instid0(SALU_CYCLE_1) | instskip(NEXT) | instid1(SALU_CYCLE_1)
	s_sub_co_i32 s3, s3, s25
	s_abs_i32 s38, s3
	s_delay_alu instid0(SALU_CYCLE_1) | instskip(NEXT) | instid1(SALU_CYCLE_3)
	s_cvt_f32_u32 s25, s38
	v_rcp_iflag_f32_e32 v1, s25
	v_nop
	s_delay_alu instid0(TRANS32_DEP_1)
	v_readfirstlane_b32 s25, v1
	s_wait_kmcnt 0x0
	s_cmp_eq_u64 s[10:11], 0
	s_cbranch_scc1 .LBB85_2
; %bb.1:
	s_abs_i32 s29, s36
	s_abs_i32 s30, s2
	s_cvt_f32_u32 s26, s29
	s_sub_co_i32 s27, 0, s29
	s_delay_alu instid0(SALU_CYCLE_2) | instskip(SKIP_1) | instid1(TRANS32_DEP_1)
	v_rcp_iflag_f32_e32 v1, s26
	v_nop
	v_readfirstlane_b32 s26, v1
	s_mul_f32 s26, s26, 0x4f7ffffe
	s_delay_alu instid0(SALU_CYCLE_3) | instskip(NEXT) | instid1(SALU_CYCLE_3)
	s_cvt_u32_f32 s26, s26
	s_mul_i32 s27, s27, s26
	s_delay_alu instid0(SALU_CYCLE_1) | instskip(NEXT) | instid1(SALU_CYCLE_1)
	s_mul_hi_u32 s27, s26, s27
	s_add_co_i32 s26, s26, s27
	s_delay_alu instid0(SALU_CYCLE_1) | instskip(SKIP_2) | instid1(SALU_CYCLE_1)
	s_mul_hi_u32 s31, s30, s26
	s_load_b64 s[26:27], s[0:1], 0xc8
	s_mul_i32 s31, s31, s29
	s_sub_co_i32 s30, s30, s31
	s_ashr_i32 s31, s2, 31
	s_sub_co_i32 s34, s30, s29
	s_cmp_ge_u32 s30, s29
	s_cselect_b32 s30, s34, s30
	s_delay_alu instid0(SALU_CYCLE_1) | instskip(SKIP_2) | instid1(SALU_CYCLE_1)
	s_sub_co_i32 s34, s30, s29
	s_cmp_ge_u32 s30, s29
	s_cselect_b32 s29, s34, s30
	s_xor_b32 s29, s29, s31
	s_delay_alu instid0(SALU_CYCLE_1) | instskip(NEXT) | instid1(SALU_CYCLE_1)
	s_sub_co_i32 s30, s29, s31
	s_ashr_i32 s31, s30, 31
	s_wait_kmcnt 0x0
	s_mul_u64 s[26:27], s[26:27], s[30:31]
	s_delay_alu instid0(SALU_CYCLE_1)
	s_add_nc_u64 s[30:31], s[10:11], s[26:27]
.LBB85_2:
	s_bfe_u32 s10, ttmp6, 0x4000c
	v_dual_lshrrev_b32 v1, 10, v0 :: v_dual_mov_b32 v21, 0
	s_add_co_i32 s10, s10, 1
	s_and_b32 s11, ttmp6, 15
	s_mul_i32 s10, ttmp9, s10
	s_delay_alu instid0(VALU_DEP_1)
	v_bfe_u32 v1, v1, 1, 9
	s_add_co_i32 s11, s11, s10
	s_cmp_eq_u32 s24, 0
	s_load_b96 s[40:42], s[0:1], 0x70
	s_cselect_b32 s10, ttmp9, s11
	v_and_b32_e32 v44, 0x3ff, v0
	v_add_nc_u32_e32 v45, s10, v1
	v_bfe_u32 v20, v0, 10, 1
	v_dual_mov_b32 v3, v21 :: v_dual_mov_b32 v9, v21
	v_bfe_u32 v0, v0, 10, 10
	s_delay_alu instid0(VALU_DEP_4) | instskip(SKIP_1) | instid1(VALU_DEP_3)
	v_mul_hi_u32 v1, s20, v45
	v_lshlrev_b32_e32 v8, 4, v44
	v_lshl_add_u32 v46, v0, 8, 0x1200
	s_delay_alu instid0(VALU_DEP_3) | instskip(SKIP_3) | instid1(SALU_CYCLE_1)
	v_add_nc_u32_e32 v1, v45, v1
	s_wait_kmcnt 0x0
	s_mov_b32 s20, s41
	s_mul_i32 s26, s33, s41
	s_ashr_i32 s27, s26, 31
	v_lshrrev_b32_e32 v1, s21, v1
	s_ashr_i32 s21, s41, 31
	s_ashr_i32 s41, s40, 31
	s_lshr_b64 s[20:21], s[20:21], 2
	s_delay_alu instid0(VALU_DEP_1) | instskip(SKIP_2) | instid1(VALU_DEP_2)
	v_mul_lo_u32 v1, v1, s22
	v_mul_u64_e32 v[4:5], s[20:21], v[20:21]
	s_lshr_b64 s[20:21], s[40:41], 2
	v_sub_nc_u32_e32 v2, v45, v1
	s_delay_alu instid0(VALU_DEP_1) | instskip(SKIP_1) | instid1(SALU_CYCLE_1)
	v_mul_u64_e32 v[6:7], s[20:21], v[2:3]
	s_mul_i32 s20, s2, s42
	s_ashr_i32 s21, s20, 31
	s_cmp_eq_u64 s[14:15], 0
	s_add_nc_u64 s[4:5], s[4:5], s[20:21]
	s_delay_alu instid0(SALU_CYCLE_1)
	s_add_nc_u64 s[4:5], s[4:5], s[26:27]
	s_delay_alu instid0(VALU_DEP_3) | instid1(SALU_CYCLE_1)
	v_lshl_add_u64 v[4:5], v[4:5], 2, s[4:5]
	s_load_b32 s4, s[0:1], 0x40
	s_delay_alu instid0(VALU_DEP_1) | instskip(NEXT) | instid1(VALU_DEP_1)
	v_lshl_add_u64 v[4:5], v[6:7], 2, v[4:5]
	v_add_nc_u64_e32 v[4:5], v[4:5], v[8:9]
	global_load_b128 v[4:7], v[4:5], off
	s_wait_loadcnt 0x0
	s_wait_kmcnt 0x0
	v_fma_mixlo_f16 v1, s4, v4, 0
	v_mov_b32_e32 v4, v7
	s_delay_alu instid0(VALU_DEP_2) | instskip(NEXT) | instid1(VALU_DEP_2)
	v_and_b32_e32 v1, 0xffff, v1
	v_pk_mul_f32 v[4:5], s[4:5], v[4:5] op_sel_hi:[0,1]
	s_delay_alu instid0(VALU_DEP_1) | instskip(SKIP_2) | instid1(VALU_DEP_3)
	v_cvt_pk_f16_f32 v3, v4, v5
	v_fma_mixlo_f16 v4, s4, v6, 0
	v_lshlrev_b32_e32 v43, 3, v44
	v_and_b32_e32 v5, 0xffff0000, v3
	s_delay_alu instid0(VALU_DEP_3) | instskip(SKIP_1) | instid1(VALU_DEP_3)
	v_and_b32_e32 v4, 0xffff, v4
	v_lshlrev_b32_e32 v3, 16, v3
	v_dual_add_nc_u32 v6, v46, v43 :: v_dual_bitop2_b32 v1, v5, v1 bitop3:0x54
	s_delay_alu instid0(VALU_DEP_2) | instskip(NEXT) | instid1(VALU_DEP_2)
	v_or3_b32 v5, v3, v4, 0
	v_or3_b32 v4, 0, 0, v1
	ds_store_b64 v6, v[4:5]
	s_wait_dscnt 0x0
	s_barrier_signal -1
	s_barrier_wait -1
	s_cbranch_scc1 .LBB85_4
; %bb.3:
	s_load_b32 s4, s[0:1], 0xd0
	s_wait_kmcnt 0x0
	s_mul_i32 s4, s4, s2
	s_delay_alu instid0(SALU_CYCLE_1)
	s_add_co_i32 s4, s4, s10
	s_load_b32 s28, s[14:15], s4 offset:0x0 scale_offset
.LBB85_4:
	s_wait_xcnt 0x0
	s_bfe_u32 s4, ttmp6, 0x40010
	s_and_b32 s5, ttmp7, 0xffff
	s_add_co_i32 s4, s4, 1
	s_bfe_u32 s10, ttmp6, 0x40004
	s_mul_i32 s4, s5, s4
	v_mbcnt_lo_u32_b32 v47, -1, 0
	s_add_co_i32 s10, s10, s4
	s_cmp_eq_u32 s24, 0
	s_cselect_b32 s29, s5, s10
	s_mov_b32 s5, 0
	s_lshl_b32 s4, s29, 5
	s_wait_kmcnt 0x0
	s_cmp_lt_i32 s4, s28
	s_cbranch_scc1 .LBB85_7
; %bb.5:
	v_mbcnt_lo_u32_b32 v1, -1, 0
	s_delay_alu instid0(VALU_DEP_1)
	v_dual_mov_b32 v48, 32 :: v_dual_bitop2_b32 v66, 16, v1 bitop3:0x14
	v_xor_b32_e32 v65, 8, v1
	v_xor_b32_e32 v67, 4, v1
	;; [unrolled: 1-line block ×3, first 2 shown]
	v_dual_lshlrev_b32 v21, 2, v44 :: v_dual_bitop2_b32 v69, 1, v1 bitop3:0x14
	s_and_not1_b32 vcc_lo, exec_lo, s5
	s_cbranch_vccz .LBB85_8
; %bb.6:
	v_dual_mov_b32 v62, 0 :: v_dual_mov_b32 v70, 0
	v_dual_mov_b32 v42, 0xfeffffff :: v_dual_mov_b32 v63, 0
	s_branch .LBB85_16
.LBB85_7:
                                        ; implicit-def: $vgpr1
                                        ; implicit-def: $vgpr48
                                        ; implicit-def: $vgpr66
                                        ; implicit-def: $vgpr65
                                        ; implicit-def: $vgpr67
                                        ; implicit-def: $vgpr68
                                        ; implicit-def: $vgpr69
	v_lshlrev_b32_e32 v21, 2, v44
.LBB85_8:
	s_mul_f32 s5, s25, 0x4f7ffffe
	s_clause 0x1
	s_load_b128 s[24:27], s[0:1], 0x98
	s_load_b64 s[14:15], s[0:1], 0x8c
	s_sub_co_i32 s10, 0, s38
	s_load_b64 s[20:21], s[0:1], 0xa8
	s_cvt_u32_f32 s5, s5
	s_ashr_i32 s39, s3, 31
	s_abs_i32 s34, s33
	s_mov_b32 s11, s35
	s_mul_i32 s10, s10, s5
	v_dual_lshrrev_b32 v1, 3, v44 :: v_dual_bitop2_b32 v4, 28, v21 bitop3:0x40
	s_mul_hi_u32 s3, s5, s10
	s_ashr_i32 s36, s33, 31
	s_add_co_i32 s10, s5, s3
	s_delay_alu instid0(VALU_DEP_1)
	v_lshl_add_u32 v1, v0, 2, v1
	s_mul_u64 s[10:11], s[34:35], s[10:11]
	s_ashr_i32 s37, s37, 1
	s_mul_i32 s5, s11, s38
	s_ashr_i32 s3, s2, 31
	s_sub_co_i32 s5, s34, s5
	s_xor_b32 s35, s36, s39
	s_wait_kmcnt 0x0
	s_ashr_i32 s10, s26, 2
	s_ashr_i32 s14, s14, 2
	s_add_co_i32 s34, s11, 1
	s_sub_co_i32 s36, s5, s38
	s_cmp_ge_u32 s5, s38
	v_mul_lo_u32 v22, s14, v1
	s_cselect_b32 s11, s34, s11
	s_cselect_b32 s5, s36, s5
	s_add_co_i32 s34, s11, 1
	s_cmp_ge_u32 s5, s38
	s_mul_u64 s[24:25], s[24:25], s[2:3]
	s_cselect_b32 s5, s34, s11
	s_add_nc_u64 s[6:7], s[6:7], s[24:25]
	s_load_b32 s24, s[0:1], 0x54
	s_mul_u64 s[20:21], s[20:21], s[2:3]
	s_lshl_b32 s3, s14, 3
	s_delay_alu instid0(SALU_CYCLE_1) | instskip(SKIP_2) | instid1(VALU_DEP_3)
	v_dual_lshrrev_b32 v3, 4, v44 :: v_dual_add_nc_u32 v24, s3, v22
	v_dual_ashrrev_i32 v23, 31, v22 :: v_dual_lshlrev_b32 v5, 2, v4
	v_mov_b32_e32 v27, 0
	v_lshl_add_u32 v3, v0, 1, v3
	s_delay_alu instid0(VALU_DEP_4) | instskip(SKIP_2) | instid1(VALU_DEP_4)
	v_dual_add_nc_u32 v28, s3, v24 :: v_dual_ashrrev_i32 v25, 31, v24
	v_and_b32_e32 v8, 60, v21
	v_mad_u32_u24 v49, 0x90, v1, v5
	v_mul_lo_u32 v6, s10, v3
	s_delay_alu instid0(VALU_DEP_4)
	v_dual_ashrrev_i32 v29, 31, v28 :: v_dual_add_nc_u32 v30, s3, v28
	s_and_b32 s3, s26, -4
	v_lshlrev_b32_e32 v1, 2, v8
	v_lshl_add_u32 v53, v0, 6, 0x1400
	v_mad_u32 v56, v2, s37, v44
	s_xor_b32 s5, s5, s35
	v_dual_mov_b32 v33, v27 :: v_dual_add_nc_u32 v50, 0x480, v49
	s_sub_co_i32 s5, s5, s35
	v_add_nc_u32_e32 v10, s3, v6
	v_lshl_or_b32 v55, v3, 8, v1
	s_mul_i32 s34, s5, s15
	v_dual_mov_b32 v48, 32 :: v_dual_add_nc_u32 v51, 0x900, v49
	s_delay_alu instid0(VALU_DEP_3) | instskip(SKIP_3) | instid1(VALU_DEP_3)
	v_dual_add_nc_u32 v0, s3, v10 :: v_dual_ashrrev_i32 v11, 31, v10
	v_ashrrev_i32_e32 v31, 31, v30
	v_ashrrev_i32_e32 v7, 31, v6
	s_ashr_i32 s35, s34, 31
	v_dual_add_nc_u32 v2, s3, v0 :: v_dual_ashrrev_i32 v1, 31, v0
	v_mov_b32_e32 v64, 0xfeffffff
	s_delay_alu instid0(VALU_DEP_3) | instskip(SKIP_1) | instid1(VALU_DEP_4)
	v_lshlrev_b64_e32 v[34:35], 2, v[6:7]
	v_lshlrev_b64_e32 v[36:37], 2, v[10:11]
	v_ashrrev_i32_e32 v3, 31, v2
	v_lshlrev_b64_e32 v[38:39], 2, v[0:1]
	s_add_nc_u64 s[6:7], s[6:7], s[34:35]
	s_mul_i32 s34, s5, s27
	v_dual_mov_b32 v63, v27 :: v_dual_add_nc_u32 v52, 0xd80, v49
	v_lshlrev_b64_e32 v[40:41], 2, v[2:3]
	v_mul_u32_u24_e32 v54, 0x90, v44
	v_lshl_add_u32 v57, v44, 1, v53
	v_dual_mov_b32 v61, v27 :: v_dual_add_nc_u32 v58, 0x400, v55
	v_dual_mov_b32 v62, v27 :: v_dual_add_nc_u32 v59, 0x800, v55
	v_add_nc_u32_e32 v60, 0xc00, v55
	v_lshlrev_b32_e32 v32, 2, v4
	v_lshlrev_b32_e32 v26, 2, v8
	s_add_nc_u64 s[8:9], s[8:9], s[20:21]
	s_ashr_i32 s35, s34, 31
	s_ashr_i32 s15, s14, 31
	s_add_nc_u64 s[8:9], s[8:9], s[34:35]
	s_ashr_i32 s11, s10, 31
	s_add_nc_u64 s[20:21], s[0:1], 0xd0
	s_mov_b32 s3, 0xbbbac73d
.LBB85_9:                               ; =>This Inner Loop Header: Depth=1
	s_ashr_i32 s5, s4, 31
	s_delay_alu instid0(SALU_CYCLE_1) | instskip(NEXT) | instid1(SALU_CYCLE_1)
	s_mul_u64 s[26:27], s[4:5], s[14:15]
	s_lshl_b64 s[26:27], s[26:27], 2
	s_delay_alu instid0(SALU_CYCLE_1) | instskip(NEXT) | instid1(SALU_CYCLE_1)
	s_add_nc_u64 s[26:27], s[6:7], s[26:27]
	v_lshl_add_u64 v[0:1], v[22:23], 2, s[26:27]
	v_lshl_add_u64 v[2:3], v[24:25], 2, s[26:27]
	;; [unrolled: 1-line block ×4, first 2 shown]
	s_delay_alu instid0(VALU_DEP_4) | instskip(NEXT) | instid1(VALU_DEP_4)
	v_add_nc_u64_e32 v[6:7], v[0:1], v[32:33]
	v_add_nc_u64_e32 v[0:1], v[2:3], v[32:33]
	s_delay_alu instid0(VALU_DEP_4) | instskip(NEXT) | instid1(VALU_DEP_4)
	v_add_nc_u64_e32 v[4:5], v[4:5], v[32:33]
	v_add_nc_u64_e32 v[2:3], v[8:9], v[32:33]
	s_clause 0x3
	global_load_b128 v[8:11], v[6:7], off
	global_load_b128 v[12:15], v[0:1], off
	;; [unrolled: 1-line block ×4, first 2 shown]
	s_wait_loadcnt 0x3
	ds_store_b128 v49, v[8:11]
	s_wait_loadcnt 0x2
	ds_store_b128 v50, v[12:15]
	;; [unrolled: 2-line block ×4, first 2 shown]
	s_wait_dscnt 0x0
	s_barrier_signal -1
	s_barrier_wait -1
	ds_load_b128 v[8:11], v54
	ds_load_b128 v[12:15], v46
	v_mov_b32_e32 v18, 0
	s_wait_dscnt 0x0
	;;#ASMSTART
	v_dot2_f32_f16 v18, v8, v12, v18
	;;#ASMEND
	;;#ASMSTART
	v_dot2_f32_f16 v18, v9, v13, v18
	;;#ASMEND
	;;#ASMSTART
	v_dot2_f32_f16 v18, v10, v14, v18
	;;#ASMEND
	;;#ASMSTART
	v_dot2_f32_f16 v18, v11, v15, v18
	;;#ASMEND
	ds_load_b128 v[8:11], v54 offset:16
	ds_load_b128 v[12:15], v46 offset:16
	s_wait_dscnt 0x0
	;;#ASMSTART
	v_dot2_f32_f16 v18, v8, v12, v18
	;;#ASMEND
	;;#ASMSTART
	v_dot2_f32_f16 v18, v9, v13, v18
	;;#ASMEND
	;;#ASMSTART
	v_dot2_f32_f16 v18, v10, v14, v18
	;;#ASMEND
	;;#ASMSTART
	v_dot2_f32_f16 v18, v11, v15, v18
	;;#ASMEND
	ds_load_b128 v[8:11], v54 offset:32
	ds_load_b128 v[12:15], v46 offset:32
	;; [unrolled: 15-line block ×7, first 2 shown]
	s_wait_dscnt 0x0
	;;#ASMSTART
	v_dot2_f32_f16 v18, v8, v12, v18
	;;#ASMEND
	;;#ASMSTART
	v_dot2_f32_f16 v18, v9, v13, v18
	;;#ASMEND
	;; [unrolled: 3-line block ×4, first 2 shown]
	s_barrier_signal -1
	s_barrier_wait -1
	s_clause 0x3
	global_load_b128 v[6:9], v[6:7], off offset:128
	global_load_b128 v[10:13], v[0:1], off offset:128
	;; [unrolled: 1-line block ×3, first 2 shown]
	; meta instruction
	; meta instruction
	global_load_b128 v[0:3], v[2:3], off offset:128
	s_wait_loadcnt 0x3
	ds_store_b128 v49, v[6:9]
	s_wait_loadcnt 0x2
	ds_store_b128 v50, v[10:13]
	;; [unrolled: 2-line block ×4, first 2 shown]
	s_wait_dscnt 0x0
	s_barrier_signal -1
	s_barrier_wait -1
	ds_load_b128 v[0:3], v54
	ds_load_b128 v[4:7], v46 offset:128
	s_wait_dscnt 0x0
	;;#ASMSTART
	v_dot2_f32_f16 v18, v0, v4, v18
	;;#ASMEND
	;;#ASMSTART
	v_dot2_f32_f16 v18, v1, v5, v18
	;;#ASMEND
	;;#ASMSTART
	v_dot2_f32_f16 v18, v2, v6, v18
	;;#ASMEND
	;;#ASMSTART
	v_dot2_f32_f16 v18, v3, v7, v18
	;;#ASMEND
	ds_load_b128 v[0:3], v54 offset:16
	ds_load_b128 v[4:7], v46 offset:144
	s_wait_dscnt 0x0
	;;#ASMSTART
	v_dot2_f32_f16 v18, v0, v4, v18
	;;#ASMEND
	;;#ASMSTART
	v_dot2_f32_f16 v18, v1, v5, v18
	;;#ASMEND
	;;#ASMSTART
	v_dot2_f32_f16 v18, v2, v6, v18
	;;#ASMEND
	;;#ASMSTART
	v_dot2_f32_f16 v18, v3, v7, v18
	;;#ASMEND
	ds_load_b128 v[0:3], v54 offset:32
	;; [unrolled: 15-line block ×7, first 2 shown]
	ds_load_b128 v[4:7], v46 offset:240
	v_add_nc_u32_e32 v8, s4, v56
	s_wait_dscnt 0x0
	;;#ASMSTART
	v_dot2_f32_f16 v18, v0, v4, v18
	;;#ASMEND
	;;#ASMSTART
	v_dot2_f32_f16 v18, v1, v5, v18
	;;#ASMEND
	;; [unrolled: 3-line block ×4, first 2 shown]
	global_load_u16 v16, v8, s[30:31] scale_offset
	v_cmp_ngt_f32_e64 s25, 0x3f200000, |v18|
                                        ; implicit-def: $vgpr17
	s_wait_xcnt 0x0
	s_and_saveexec_b32 s26, s25
	s_delay_alu instid0(SALU_CYCLE_1)
	s_xor_b32 s25, exec_lo, s26
	s_cbranch_execz .LBB85_11
; %bb.10:                               ;   in Loop: Header=BB85_9 Depth=1
	v_add_f32_e64 v0, |v18|, |v18|
	s_delay_alu instid0(VALU_DEP_1) | instskip(SKIP_1) | instid1(VALU_DEP_2)
	v_mul_f32_e32 v1, 0x3fb8aa3b, v0
	v_cmp_ngt_f32_e32 vcc_lo, 0xc2ce8ed0, v0
	v_rndne_f32_e32 v2, v1
	v_fma_f32 v3, 0x3fb8aa3b, v0, -v1
	s_delay_alu instid0(VALU_DEP_2) | instskip(NEXT) | instid1(VALU_DEP_2)
	v_sub_f32_e32 v1, v1, v2
	v_fmac_f32_e32 v3, 0x32a5705f, v0
	v_cvt_i32_f32_e32 v2, v2
	s_delay_alu instid0(VALU_DEP_2) | instskip(NEXT) | instid1(VALU_DEP_1)
	v_add_f32_e32 v1, v1, v3
	v_exp_f32_e32 v1, v1
	v_nop
	s_delay_alu instid0(TRANS32_DEP_1) | instskip(NEXT) | instid1(VALU_DEP_1)
	v_ldexp_f32 v1, v1, v2
	v_cndmask_b32_e32 v1, 0, v1, vcc_lo
	v_cmp_nlt_f32_e32 vcc_lo, 0x42b17218, v0
	s_delay_alu instid0(VALU_DEP_2) | instskip(NEXT) | instid1(VALU_DEP_1)
	v_cndmask_b32_e32 v0, 0x7f800000, v1, vcc_lo
	v_add_f32_e32 v0, 1.0, v0
	s_delay_alu instid0(VALU_DEP_1) | instskip(SKIP_1) | instid1(TRANS32_DEP_1)
	v_rcp_f32_e32 v0, v0
	v_nop
	v_fma_f32 v17, v0, -2.0, 1.0
.LBB85_11:                              ;   in Loop: Header=BB85_9 Depth=1
	s_and_not1_saveexec_b32 s25, s25
	s_cbranch_execz .LBB85_13
; %bb.12:                               ;   in Loop: Header=BB85_9 Depth=1
	v_mul_f32_e32 v0, v18, v18
	s_delay_alu instid0(VALU_DEP_1) | instskip(NEXT) | instid1(VALU_DEP_1)
	v_fmaak_f32 v1, s3, v0, 0x3ca908c9
	v_fmaak_f32 v1, v0, v1, 0xbd5c1c4e
	s_delay_alu instid0(VALU_DEP_1) | instskip(NEXT) | instid1(VALU_DEP_1)
	v_fmaak_f32 v1, v0, v1, 0x3e088382
	v_fmaak_f32 v1, v0, v1, 0xbeaaaa99
	s_delay_alu instid0(VALU_DEP_1) | instskip(NEXT) | instid1(VALU_DEP_1)
	v_mul_f32_e64 v1, |v18|, v1
	v_fma_f32 v17, v0, v1, |v18|
.LBB85_13:                              ;   in Loop: Header=BB85_9 Depth=1
	s_or_b32 exec_lo, exec_lo, s25
	s_mul_u64 s[26:27], s[4:5], s[10:11]
	s_wait_loadcnt 0x0
	s_lshl_b64 s[26:27], s[26:27], 2
	s_barrier_signal -1
	s_add_nc_u64 s[26:27], s[8:9], s[26:27]
	s_barrier_wait -1
	v_add_nc_u64_e32 v[0:1], s[26:27], v[34:35]
	v_add_nc_u64_e32 v[2:3], s[26:27], v[36:37]
	;; [unrolled: 1-line block ×4, first 2 shown]
	v_bfi_b32 v17, 0x7fffffff, v17, v18
	v_xor_b32_e32 v66, 16, v47
	v_add_nc_u64_e32 v[8:9], v[0:1], v[26:27]
	v_add_nc_u64_e32 v[10:11], v[2:3], v[26:27]
	;; [unrolled: 1-line block ×4, first 2 shown]
	s_wait_kmcnt 0x0
	v_fma_mix_f32 v16, s24, v17, v16 op_sel_hi:[0,0,1]
	v_max_num_f32_e32 v17, v64, v64
	v_cmp_gt_i32_e32 vcc_lo, 32, v66
	s_clause 0x3
	global_load_b128 v[0:3], v[8:9], off
	global_load_b128 v[4:7], v[10:11], off
	; meta instruction
	; meta instruction
	global_load_b128 v[8:11], v[12:13], off
	global_load_b128 v[12:15], v[14:15], off
	v_xor_b32_e32 v69, 1, v47
	v_add_f32_e32 v19, 0x40051340, v16
	v_dual_cndmask_b32 v18, v47, v66, vcc_lo :: v_dual_bitop2_b32 v68, 2, v47 bitop3:0x14
	s_or_b32 s26, s4, 16
	s_delay_alu instid0(VALU_DEP_2) | instskip(SKIP_1) | instid1(VALU_DEP_2)
	v_max_num_f32_e32 v17, v17, v19
	s_ashr_i32 s27, s26, 31
	v_lshlrev_b32_e32 v18, 2, v18
	s_mul_u64 s[26:27], s[26:27], s[10:11]
	s_delay_alu instid0(SALU_CYCLE_1) | instskip(SKIP_3) | instid1(SALU_CYCLE_1)
	s_lshl_b64 s[26:27], s[26:27], 2
	ds_bpermute_b32 v18, v18, v17
	v_xor_b32_e32 v65, 8, v47
	s_add_nc_u64 s[26:27], s[8:9], s[26:27]
	v_add_nc_u64_e32 v[72:73], s[26:27], v[38:39]
	v_add_nc_u64_e32 v[74:75], s[26:27], v[40:41]
	s_delay_alu instid0(VALU_DEP_2) | instskip(NEXT) | instid1(VALU_DEP_2)
	v_add_nc_u64_e32 v[100:101], v[72:73], v[26:27]
	v_add_nc_u64_e32 v[104:105], v[74:75], v[26:27]
	s_wait_dscnt 0x0
	v_max_num_f32_e32 v18, v18, v18
	v_cmp_gt_i32_e32 vcc_lo, 32, v65
	s_delay_alu instid0(VALU_DEP_2) | instskip(NEXT) | instid1(VALU_DEP_1)
	v_dual_max_num_f32 v17, v17, v18 :: v_dual_cndmask_b32 v19, v47, v65, vcc_lo
	v_lshlrev_b32_e32 v19, 2, v19
	ds_bpermute_b32 v18, v19, v17
	s_wait_dscnt 0x0
	v_dual_max_num_f32 v18, v18, v18 :: v_dual_bitop2_b32 v67, 4, v47 bitop3:0x14
	s_delay_alu instid0(VALU_DEP_1) | instskip(NEXT) | instid1(VALU_DEP_2)
	v_max_num_f32_e32 v17, v17, v18
	v_cmp_gt_i32_e32 vcc_lo, 32, v67
	v_cndmask_b32_e32 v19, v47, v67, vcc_lo
	v_cmp_gt_i32_e32 vcc_lo, 32, v68
	s_delay_alu instid0(VALU_DEP_2)
	v_lshlrev_b32_e32 v19, 2, v19
	ds_bpermute_b32 v18, v19, v17
	v_cndmask_b32_e32 v19, v47, v68, vcc_lo
	v_cmp_gt_i32_e32 vcc_lo, 32, v69
	s_wait_dscnt 0x0
	v_max_num_f32_e32 v18, v18, v18
	s_delay_alu instid0(VALU_DEP_1) | instskip(SKIP_3) | instid1(VALU_DEP_1)
	v_dual_max_num_f32 v17, v17, v18 :: v_dual_lshlrev_b32 v19, 2, v19
	ds_bpermute_b32 v18, v19, v17
	s_wait_dscnt 0x0
	v_dual_cndmask_b32 v19, v47, v69 :: v_dual_max_num_f32 v18, v18, v18
	v_dual_max_num_f32 v17, v17, v18 :: v_dual_lshlrev_b32 v19, 2, v19
	ds_bpermute_b32 v18, v19, v17
	s_wait_dscnt 0x0
	v_max_num_f32_e32 v18, v18, v18
	s_delay_alu instid0(VALU_DEP_1) | instskip(NEXT) | instid1(VALU_DEP_1)
	v_max_num_f32_e32 v42, v17, v18
	v_sub_f32_e32 v70, v16, v42
	v_sub_f32_e32 v64, v64, v42
	s_delay_alu instid0(VALU_DEP_2) | instskip(NEXT) | instid1(VALU_DEP_2)
	v_mul_f32_e32 v16, 0x3fb8aa3b, v70
	v_mul_f32_e32 v108, 0x3fb8aa3b, v64
	s_delay_alu instid0(VALU_DEP_2) | instskip(SKIP_1) | instid1(VALU_DEP_3)
	v_fma_f32 v17, 0x3fb8aa3b, v70, -v16
	v_rndne_f32_e32 v18, v16
	v_fma_f32 v109, 0x3fb8aa3b, v64, -v108
	v_rndne_f32_e32 v110, v108
	s_delay_alu instid0(VALU_DEP_2) | instskip(NEXT) | instid1(VALU_DEP_2)
	v_dual_sub_f32 v16, v16, v18 :: v_dual_fmac_f32 v109, 0x32a5705f, v64
	v_sub_f32_e32 v108, v108, v110
	s_delay_alu instid0(VALU_DEP_1) | instskip(NEXT) | instid1(VALU_DEP_1)
	v_dual_fmac_f32 v17, 0x32a5705f, v70 :: v_dual_add_f32 v108, v108, v109
	v_add_f32_e32 v16, v16, v17
	v_cvt_i32_f32_e32 v17, v18
	v_cmp_ngt_f32_e32 vcc_lo, 0xc2ce8ed0, v70
	v_add_nc_u64_e32 v[18:19], s[26:27], v[36:37]
	v_exp_f32_e32 v108, v108
	v_exp_f32_e32 v16, v16
	v_cvt_i32_f32_e32 v109, v110
	s_delay_alu instid0(VALU_DEP_2)
	v_add_nc_u64_e32 v[96:97], v[18:19], v[26:27]
	s_delay_alu instid0(TRANS32_DEP_2) | instid1(VALU_DEP_2)
	v_ldexp_f32 v108, v108, v109
	s_delay_alu instid0(TRANS32_DEP_1) | instskip(NEXT) | instid1(VALU_DEP_1)
	v_ldexp_f32 v16, v16, v17
	v_cndmask_b32_e32 v71, 0, v16, vcc_lo
	v_cmp_nlt_f32_e32 vcc_lo, 0x42b17218, v70
	v_add_nc_u64_e32 v[16:17], s[26:27], v[34:35]
	s_delay_alu instid0(VALU_DEP_3) | instskip(SKIP_2) | instid1(VALU_DEP_4)
	v_cndmask_b32_e32 v70, 0x7f800000, v71, vcc_lo
	v_add_nc_u32_e32 v71, 0x800, v43
	v_cmp_ngt_f32_e32 vcc_lo, 0xc2ce8ed0, v64
	v_add_nc_u64_e32 v[92:93], v[16:17], v[26:27]
	s_delay_alu instid0(VALU_DEP_4)
	v_cvt_f16_f32_e32 v76, v70
	ds_store_b16 v57, v76
	s_wait_loadcnt 0x3
	ds_store_b128 v55, v[0:3]
	s_wait_loadcnt 0x2
	ds_store_b128 v58, v[4:7]
	;; [unrolled: 2-line block ×4, first 2 shown]
	s_wait_dscnt 0x0
	s_barrier_signal -1
	s_barrier_wait -1
	ds_load_2addr_b64 v[72:75], v43 offset1:32
	ds_load_2addr_b64 v[76:79], v43 offset0:64 offset1:96
	ds_load_2addr_b64 v[80:83], v43 offset0:128 offset1:160
	;; [unrolled: 1-line block ×3, first 2 shown]
	ds_load_b128 v[88:91], v53
	ds_load_b128 v[8:11], v53 offset:16
	ds_load_2addr_b64 v[16:19], v71 offset1:32
	ds_load_2addr_b64 v[12:15], v71 offset0:64 offset1:96
	ds_load_2addr_b64 v[4:7], v71 offset0:128 offset1:160
	;; [unrolled: 1-line block ×3, first 2 shown]
	s_wait_dscnt 0x0
	s_barrier_signal -1
	s_barrier_wait -1
	s_clause 0x3
	global_load_b128 v[92:95], v[92:93], off
	global_load_b128 v[96:99], v[96:97], off
	;; [unrolled: 1-line block ×4, first 2 shown]
	v_cndmask_b32_e32 v108, 0, v108, vcc_lo
	v_cmp_nlt_f32_e32 vcc_lo, 0x42b17218, v64
	s_wait_loadcnt 0x3
	ds_store_b128 v55, v[92:95]
	s_wait_loadcnt 0x2
	ds_store_b128 v58, v[96:99]
	;; [unrolled: 2-line block ×4, first 2 shown]
	v_cndmask_b32_e32 v64, 0x7f800000, v108, vcc_lo
	v_and_b32_e32 v109, 0xffff, v88
	v_lshrrev_b32_e32 v88, 16, v88
	v_and_b32_e32 v110, 0xffff, v89
	s_wait_dscnt 0x0
	v_cvt_f16_f32_e32 v108, v64
	v_mul_u32_u24_e32 v109, 0x10001, v109
	v_mul_u32_u24_e32 v88, 0x10001, v88
	s_barrier_signal -1
	s_barrier_wait -1
	v_and_b32_e32 v108, 0xffff, v108
	v_pk_mul_f16 v72, v72, v109
	v_pk_mul_f16 v73, v73, v109
	s_delay_alu instid0(VALU_DEP_3) | instskip(NEXT) | instid1(VALU_DEP_1)
	v_mul_u32_u24_e32 v108, 0x10001, v108
	v_pk_fma_f16 v63, v63, v108, v72
	s_delay_alu instid0(VALU_DEP_3)
	v_pk_fma_f16 v62, v62, v108, v73
	v_lshrrev_b32_e32 v72, 16, v89
	v_mul_u32_u24_e32 v89, 0x10001, v110
	v_and_b32_e32 v73, 0xffff, v90
	v_pk_fma_f16 v63, v74, v88, v63
	v_pk_fma_f16 v62, v75, v88, v62
	v_mul_u32_u24_e32 v72, 0x10001, v72
	v_lshrrev_b32_e32 v74, 16, v90
	v_mul_u32_u24_e32 v73, 0x10001, v73
	v_pk_fma_f16 v63, v76, v89, v63
	v_pk_fma_f16 v62, v77, v89, v62
	v_and_b32_e32 v75, 0xffff, v91
	v_mul_u32_u24_e32 v74, 0x10001, v74
	s_delay_alu instid0(VALU_DEP_4) | instskip(NEXT) | instid1(VALU_DEP_4)
	v_pk_fma_f16 v63, v78, v72, v63
	v_pk_fma_f16 v62, v79, v72, v62
	v_lshrrev_b32_e32 v72, 16, v91
	v_mul_u32_u24_e32 v75, 0x10001, v75
	s_delay_alu instid0(VALU_DEP_4) | instskip(NEXT) | instid1(VALU_DEP_4)
	v_pk_fma_f16 v63, v80, v73, v63
	v_pk_fma_f16 v62, v81, v73, v62
	v_and_b32_e32 v73, 0xffff, v8
	v_lshrrev_b32_e32 v8, 16, v8
	v_mul_u32_u24_e32 v72, 0x10001, v72
	v_pk_fma_f16 v63, v82, v74, v63
	v_pk_fma_f16 v62, v83, v74, v62
	v_mul_u32_u24_e32 v73, 0x10001, v73
	v_and_b32_e32 v74, 0xffff, v9
	v_mul_u32_u24_e32 v8, 0x10001, v8
	v_pk_fma_f16 v63, v84, v75, v63
	v_pk_fma_f16 v62, v85, v75, v62
	v_lshrrev_b32_e32 v9, 16, v9
	s_delay_alu instid0(VALU_DEP_3) | instskip(NEXT) | instid1(VALU_DEP_3)
	v_pk_fma_f16 v63, v86, v72, v63
	v_pk_fma_f16 v62, v87, v72, v62
	v_mul_u32_u24_e32 v72, 0x10001, v74
	s_delay_alu instid0(VALU_DEP_4) | instskip(NEXT) | instid1(VALU_DEP_4)
	v_mul_u32_u24_e32 v9, 0x10001, v9
	v_pk_fma_f16 v16, v16, v73, v63
	s_delay_alu instid0(VALU_DEP_4) | instskip(SKIP_2) | instid1(VALU_DEP_4)
	v_pk_fma_f16 v17, v17, v73, v62
	v_and_b32_e32 v63, 0xffff, v10
	v_lshrrev_b32_e32 v10, 16, v10
	v_pk_fma_f16 v16, v18, v8, v16
	s_delay_alu instid0(VALU_DEP_4) | instskip(NEXT) | instid1(VALU_DEP_4)
	v_pk_fma_f16 v8, v19, v8, v17
	v_mul_u32_u24_e32 v62, 0x10001, v63
	s_delay_alu instid0(VALU_DEP_3) | instskip(SKIP_4) | instid1(VALU_DEP_3)
	v_pk_fma_f16 v12, v12, v72, v16
	ds_load_b128 v[16:19], v53 offset:32
	v_pk_fma_f16 v8, v13, v72, v8
	v_and_b32_e32 v13, 0xffff, v11
	v_pk_fma_f16 v12, v14, v9, v12
	v_pk_fma_f16 v15, v15, v9, v8
	s_delay_alu instid0(VALU_DEP_3) | instskip(NEXT) | instid1(VALU_DEP_3)
	v_mul_u32_u24_e32 v63, 0x10001, v13
	v_pk_fma_f16 v4, v4, v62, v12
	v_lshrrev_b32_e32 v12, 16, v11
	v_mul_u32_u24_e32 v14, 0x10001, v10
	ds_load_2addr_b64 v[8:11], v43 offset1:32
	v_pk_fma_f16 v5, v5, v62, v15
	v_mul_u32_u24_e32 v62, 0x10001, v12
	v_pk_fma_f16 v4, v6, v14, v4
	s_delay_alu instid0(VALU_DEP_3) | instskip(SKIP_2) | instid1(VALU_DEP_3)
	v_pk_fma_f16 v72, v7, v14, v5
	s_wait_dscnt 0x1
	v_and_b32_e32 v73, 0xffff, v16
	v_pk_fma_f16 v0, v0, v63, v4
	ds_load_2addr_b64 v[12:15], v43 offset0:64 offset1:96
	ds_load_b128 v[4:7], v53 offset:48
	v_pk_fma_f16 v1, v1, v63, v72
	v_lshrrev_b32_e32 v16, 16, v16
	v_mul_u32_u24_e32 v72, 0x10001, v73
	v_pk_fma_f16 v63, v2, v62, v0
	v_and_b32_e32 v73, 0xffff, v17
	v_pk_fma_f16 v62, v3, v62, v1
	ds_load_2addr_b64 v[0:3], v43 offset0:128 offset1:160
	v_mul_u32_u24_e32 v16, 0x10001, v16
	v_lshrrev_b32_e32 v17, 16, v17
	s_wait_dscnt 0x3
	v_pk_fma_f16 v8, v8, v72, v63
	v_pk_fma_f16 v9, v9, v72, v62
	v_mul_u32_u24_e32 v62, 0x10001, v73
	v_and_b32_e32 v76, 0xffff, v18
	v_mul_u32_u24_e32 v17, 0x10001, v17
	v_pk_fma_f16 v63, v10, v16, v8
	v_pk_fma_f16 v16, v11, v16, v9
	ds_load_2addr_b64 v[8:11], v43 offset0:192 offset1:224
	ds_load_2addr_b64 v[72:75], v71 offset1:32
	s_wait_dscnt 0x4
	v_pk_fma_f16 v12, v12, v62, v63
	v_pk_fma_f16 v13, v13, v62, v16
	v_lshrrev_b32_e32 v16, 16, v18
	v_mul_u32_u24_e32 v18, 0x10001, v76
	v_and_b32_e32 v63, 0xffff, v19
	v_pk_fma_f16 v62, v14, v17, v12
	v_pk_fma_f16 v17, v15, v17, v13
	ds_load_2addr_b64 v[12:15], v71 offset0:64 offset1:96
	ds_load_2addr_b64 v[76:79], v71 offset0:128 offset1:160
	s_wait_dscnt 0x4
	v_pk_fma_f16 v0, v0, v18, v62
	v_pk_fma_f16 v1, v1, v18, v17
	v_and_b32_e32 v62, 0xffff, v4
	v_lshrrev_b32_e32 v4, 16, v4
	v_mul_u32_u24_e32 v16, 0x10001, v16
	v_lshrrev_b32_e32 v17, 16, v19
	v_mul_u32_u24_e32 v18, 0x10001, v63
	s_delay_alu instid0(VALU_DEP_4) | instskip(NEXT) | instid1(VALU_DEP_4)
	v_mul_u32_u24_e32 v4, 0x10001, v4
	v_pk_fma_f16 v19, v2, v16, v0
	v_pk_fma_f16 v16, v3, v16, v1
	v_mul_u32_u24_e32 v17, 0x10001, v17
	ds_load_2addr_b64 v[0:3], v71 offset0:192 offset1:224
	s_wait_dscnt 0x0
	v_pk_fma_f16 v8, v8, v18, v19
	v_pk_fma_f16 v9, v9, v18, v16
	v_mul_u32_u24_e32 v16, 0x10001, v62
	s_barrier_signal -1
	s_barrier_wait -1
	v_pk_fma_f16 v8, v10, v17, v8
	v_pk_fma_f16 v9, v11, v17, v9
	v_and_b32_e32 v10, 0xffff, v5
	v_lshrrev_b32_e32 v5, 16, v5
	s_delay_alu instid0(VALU_DEP_4) | instskip(NEXT) | instid1(VALU_DEP_4)
	v_pk_fma_f16 v8, v72, v16, v8
	v_pk_fma_f16 v9, v73, v16, v9
	s_delay_alu instid0(VALU_DEP_4) | instskip(NEXT) | instid1(VALU_DEP_4)
	v_mul_u32_u24_e32 v10, 0x10001, v10
	v_mul_u32_u24_e32 v5, 0x10001, v5
	s_load_b32 s5, s[20:21], 0x4
	v_pk_fma_f16 v8, v74, v4, v8
	v_pk_fma_f16 v4, v75, v4, v9
	v_and_b32_e32 v9, 0xffff, v6
	v_dual_lshrrev_b32 v6, 16, v6 :: v_dual_fmac_f32 v70, v61, v64
	s_delay_alu instid0(VALU_DEP_4) | instskip(NEXT) | instid1(VALU_DEP_4)
	v_pk_fma_f16 v8, v12, v10, v8
	v_pk_fma_f16 v4, v13, v10, v4
	s_delay_alu instid0(VALU_DEP_4) | instskip(NEXT) | instid1(VALU_DEP_4)
	v_mul_u32_u24_e32 v9, 0x10001, v9
	v_mul_u32_u24_e32 v6, 0x10001, v6
	s_delay_alu instid0(VALU_DEP_4) | instskip(NEXT) | instid1(VALU_DEP_4)
	v_pk_fma_f16 v8, v14, v5, v8
	v_pk_fma_f16 v4, v15, v5, v4
	v_and_b32_e32 v5, 0xffff, v7
	v_lshrrev_b32_e32 v7, 16, v7
	s_delay_alu instid0(VALU_DEP_4) | instskip(NEXT) | instid1(VALU_DEP_4)
	v_pk_fma_f16 v8, v76, v9, v8
	v_pk_fma_f16 v4, v77, v9, v4
	s_delay_alu instid0(VALU_DEP_4)
	v_mul_u32_u24_e32 v5, 0x10001, v5
	s_wait_kmcnt 0x0
	s_lshl_b32 s5, s5, 5
	v_pk_fma_f16 v8, v78, v6, v8
	v_pk_fma_f16 v4, v79, v6, v4
	v_mul_u32_u24_e32 v6, 0x10001, v7
	s_add_co_i32 s4, s5, s4
	s_delay_alu instid0(VALU_DEP_3) | instskip(NEXT) | instid1(VALU_DEP_3)
	v_pk_fma_f16 v0, v0, v5, v8
	v_pk_fma_f16 v1, v1, v5, v4
	s_cmp_ge_i32 s4, s28
	s_delay_alu instid0(VALU_DEP_2) | instskip(NEXT) | instid1(VALU_DEP_2)
	v_pk_fma_f16 v63, v2, v6, v0
	v_pk_fma_f16 v62, v3, v6, v1
	s_cbranch_scc1 .LBB85_15
; %bb.14:                               ;   in Loop: Header=BB85_9 Depth=1
	v_dual_mov_b32 v64, v42 :: v_dual_mov_b32 v61, v70
	s_branch .LBB85_9
.LBB85_15:
	v_mov_b32_e32 v1, v47
.LBB85_16:
	v_cmp_lt_i32_e32 vcc_lo, v66, v48
	s_cmp_lg_u64 s[12:13], 0
	s_cselect_b32 s3, -1, 0
	s_cmp_eq_u32 s29, 0
	v_cndmask_b32_e32 v0, v1, v66, vcc_lo
	v_cmp_lt_i32_e32 vcc_lo, v65, v48
	s_cselect_b32 s4, -1, 0
	s_delay_alu instid0(SALU_CYCLE_1) | instskip(NEXT) | instid1(VALU_DEP_2)
	s_and_b32 s3, s4, s3
	v_dual_cndmask_b32 v2, v1, v65, vcc_lo :: v_dual_lshlrev_b32 v0, 2, v0
	v_cmp_lt_i32_e32 vcc_lo, v67, v48
	s_delay_alu instid0(VALU_DEP_2)
	v_lshlrev_b32_e32 v2, 2, v2
	ds_bpermute_b32 v0, v0, v70
	v_cndmask_b32_e32 v3, v1, v67, vcc_lo
	v_cmp_lt_i32_e32 vcc_lo, v68, v48
	s_wait_dscnt 0x0
	v_add_f32_e32 v0, v70, v0
	ds_bpermute_b32 v2, v2, v0
	s_wait_dscnt 0x0
	v_dual_add_f32 v0, v0, v2 :: v_dual_lshlrev_b32 v3, 2, v3
	ds_bpermute_b32 v2, v3, v0
	v_cndmask_b32_e32 v3, v1, v68, vcc_lo
	v_cmp_lt_i32_e32 vcc_lo, v69, v48
	v_cndmask_b32_e32 v1, v1, v69, vcc_lo
	s_and_b32 vcc_lo, exec_lo, s3
	s_wait_dscnt 0x0
	v_dual_add_f32 v0, v0, v2 :: v_dual_lshlrev_b32 v3, 2, v3
	ds_bpermute_b32 v2, v3, v0
	s_wait_dscnt 0x0
	v_dual_add_f32 v0, v0, v2 :: v_dual_lshlrev_b32 v1, 2, v1
	ds_bpermute_b32 v1, v1, v0
	s_wait_dscnt 0x0
	v_dual_add_f32 v43, v0, v1 :: v_dual_add_nc_u32 v2, s33, v20
	s_cbranch_vccz .LBB85_18
; %bb.17:
	global_load_b32 v1, v2, s[12:13] scale_offset
	s_wait_loadcnt 0x0
	v_dual_max_num_f32 v0, v42, v42 :: v_dual_max_num_f32 v3, v1, v1
	s_delay_alu instid0(VALU_DEP_1) | instskip(NEXT) | instid1(VALU_DEP_1)
	v_max_num_f32_e32 v0, v0, v3
	v_sub_f32_e32 v1, v1, v0
	s_delay_alu instid0(VALU_DEP_1) | instskip(SKIP_1) | instid1(VALU_DEP_2)
	v_mul_f32_e32 v7, 0x3fb8aa3b, v1
	v_sub_f32_e32 v3, v42, v0
	v_rndne_f32_e32 v9, v7
	s_delay_alu instid0(VALU_DEP_2) | instskip(NEXT) | instid1(VALU_DEP_1)
	v_mul_f32_e32 v4, 0x3fb8aa3b, v3
	v_fma_f32 v5, 0x3fb8aa3b, v3, -v4
	v_rndne_f32_e32 v6, v4
	s_delay_alu instid0(VALU_DEP_1) | instskip(SKIP_2) | instid1(VALU_DEP_3)
	v_dual_sub_f32 v4, v4, v6 :: v_dual_fmac_f32 v5, 0x32a5705f, v3
	v_cvt_i32_f32_e32 v6, v6
	v_cmp_ngt_f32_e32 vcc_lo, 0xc2ce8ed0, v3
	v_add_f32_e32 v4, v4, v5
	v_fma_f32 v8, 0x3fb8aa3b, v1, -v7
	v_sub_f32_e32 v5, v7, v9
	s_delay_alu instid0(VALU_DEP_3) | instskip(NEXT) | instid1(VALU_DEP_2)
	v_exp_f32_e32 v4, v4
	v_fmac_f32_e32 v8, 0x32a5705f, v1
	s_delay_alu instid0(TRANS32_DEP_1) | instskip(SKIP_1) | instid1(VALU_DEP_2)
	v_ldexp_f32 v4, v4, v6
	v_cvt_i32_f32_e32 v6, v9
	v_cndmask_b32_e32 v4, 0, v4, vcc_lo
	v_cmp_nlt_f32_e32 vcc_lo, 0x42b17218, v3
	s_delay_alu instid0(VALU_DEP_2) | instskip(SKIP_2) | instid1(VALU_DEP_2)
	v_cndmask_b32_e32 v3, 0x7f800000, v4, vcc_lo
	v_add_f32_e32 v5, v5, v8
	v_cmp_ngt_f32_e32 vcc_lo, 0xc2ce8ed0, v1
	v_exp_f32_e32 v5, v5
	v_nop
	s_delay_alu instid0(TRANS32_DEP_1) | instskip(SKIP_1) | instid1(VALU_DEP_2)
	v_ldexp_f32 v4, v5, v6
	v_cvt_f16_f32_e32 v5, v3
	v_cndmask_b32_e32 v4, 0, v4, vcc_lo
	v_cmp_nlt_f32_e32 vcc_lo, 0x42b17218, v1
	s_delay_alu instid0(VALU_DEP_3) | instskip(NEXT) | instid1(VALU_DEP_3)
	v_and_b32_e32 v5, 0xffff, v5
	v_cndmask_b32_e32 v1, 0x7f800000, v4, vcc_lo
	s_delay_alu instid0(VALU_DEP_2) | instskip(NEXT) | instid1(VALU_DEP_2)
	v_mul_u32_u24_e32 v4, 0x10001, v5
	v_fmac_f32_e32 v1, v43, v3
	s_delay_alu instid0(VALU_DEP_2) | instskip(SKIP_1) | instid1(VALU_DEP_3)
	v_pk_mul_f16 v63, v63, v4
	v_pk_mul_f16 v62, v62, v4
	v_mov_b64_e32 v[42:43], v[0:1]
	s_branch .LBB85_19
.LBB85_18:
	s_delay_alu instid0(VALU_DEP_1)
	v_mov_b32_e32 v1, v43
.LBB85_19:
	s_delay_alu instid0(VALU_DEP_1) | instskip(SKIP_2) | instid1(VALU_DEP_3)
	v_div_scale_f32 v0, null, v1, v1, 1.0
	v_div_scale_f32 v5, vcc_lo, 1.0, v1, 1.0
	v_mad_u32 v6, s2, s22, v45
	v_rcp_f32_e32 v4, v0
	s_load_b32 s0, s[0:1], 0xd4
	v_nop
	s_delay_alu instid0(TRANS32_DEP_1) | instskip(NEXT) | instid1(VALU_DEP_3)
	v_fma_f32 v3, -v0, v4, 1.0
	v_mad_u32 v2, v6, s23, v2
	v_cvt_f32_f16_e32 v6, v62
	s_delay_alu instid0(VALU_DEP_3) | instskip(NEXT) | instid1(VALU_DEP_1)
	v_fmac_f32_e32 v4, v3, v4
	v_mul_f32_e32 v7, v5, v4
	s_wait_kmcnt 0x0
	s_cmp_lg_u32 s0, 1
	s_delay_alu instid0(VALU_DEP_1) | instskip(NEXT) | instid1(VALU_DEP_1)
	v_fma_f32 v3, -v0, v7, v5
	v_dual_fmac_f32 v7, v3, v4 :: v_dual_mov_b32 v3, 0
	s_delay_alu instid0(VALU_DEP_1) | instskip(SKIP_2) | instid1(VALU_DEP_2)
	v_fma_f32 v5, -v0, v7, v5
	v_mad_u32 v0, s0, v2, s29
	s_cselect_b32 s0, -1, 0
	v_div_fmas_f32 v2, v5, v4, v7
	v_dual_lshrrev_b32 v5, 16, v63 :: v_dual_lshrrev_b32 v7, 16, v62
	v_cvt_f32_f16_e32 v4, v63
	v_cmp_eq_u32_e32 vcc_lo, 0, v44
	s_delay_alu instid0(VALU_DEP_4) | instskip(NEXT) | instid1(VALU_DEP_4)
	v_div_fixup_f32 v1, v2, v1, 1.0
	v_cvt_f32_f16_e32 v5, v5
	v_lshl_add_u32 v2, v0, 7, v21
	v_cvt_f32_f16_e32 v7, v7
	s_delay_alu instid0(VALU_DEP_4) | instskip(SKIP_1) | instid1(VALU_DEP_3)
	v_cndmask_b32_e64 v8, v1, 1.0, s0
	s_and_b32 s0, vcc_lo, s0
	v_lshl_add_u64 v[10:11], v[2:3], 2, s[16:17]
	s_delay_alu instid0(VALU_DEP_2)
	v_pk_mul_f32 v[2:3], v[8:9], v[4:5] op_sel_hi:[0,1]
	v_pk_mul_f32 v[4:5], v[8:9], v[6:7] op_sel_hi:[0,1]
	global_store_b128 v[10:11], v[2:5], off
	s_wait_xcnt 0x0
	s_and_saveexec_b32 s1, s0
	s_cbranch_execz .LBB85_21
; %bb.20:
	global_store_b64 v0, v[42:43], s[18:19] scale_offset
.LBB85_21:
	s_sendmsg sendmsg(MSG_DEALLOC_VGPRS)
	s_endpgm
	.section	.rodata,"a",@progbits
	.p2align	6, 0x0
	.amdhsa_kernel _ZL15flash_attn_tileILi128ELi128ELi1ELi2ELb1EEvPKcS1_S1_S1_S1_PKiPfP15HIP_vector_typeIfLj2EEffffjfiS5_IjLj3EEiiiiiiiiiiiliiliiiiil
		.amdhsa_group_segment_fixed_size 5248
		.amdhsa_private_segment_fixed_size 0
		.amdhsa_kernarg_size 464
		.amdhsa_user_sgpr_count 2
		.amdhsa_user_sgpr_dispatch_ptr 0
		.amdhsa_user_sgpr_queue_ptr 0
		.amdhsa_user_sgpr_kernarg_segment_ptr 1
		.amdhsa_user_sgpr_dispatch_id 0
		.amdhsa_user_sgpr_kernarg_preload_length 0
		.amdhsa_user_sgpr_kernarg_preload_offset 0
		.amdhsa_user_sgpr_private_segment_size 0
		.amdhsa_wavefront_size32 1
		.amdhsa_uses_dynamic_stack 0
		.amdhsa_enable_private_segment 0
		.amdhsa_system_sgpr_workgroup_id_x 1
		.amdhsa_system_sgpr_workgroup_id_y 1
		.amdhsa_system_sgpr_workgroup_id_z 1
		.amdhsa_system_sgpr_workgroup_info 0
		.amdhsa_system_vgpr_workitem_id 1
		.amdhsa_next_free_vgpr 111
		.amdhsa_next_free_sgpr 43
		.amdhsa_named_barrier_count 0
		.amdhsa_reserve_vcc 1
		.amdhsa_float_round_mode_32 0
		.amdhsa_float_round_mode_16_64 0
		.amdhsa_float_denorm_mode_32 3
		.amdhsa_float_denorm_mode_16_64 3
		.amdhsa_fp16_overflow 0
		.amdhsa_memory_ordered 1
		.amdhsa_forward_progress 1
		.amdhsa_inst_pref_size 44
		.amdhsa_round_robin_scheduling 0
		.amdhsa_exception_fp_ieee_invalid_op 0
		.amdhsa_exception_fp_denorm_src 0
		.amdhsa_exception_fp_ieee_div_zero 0
		.amdhsa_exception_fp_ieee_overflow 0
		.amdhsa_exception_fp_ieee_underflow 0
		.amdhsa_exception_fp_ieee_inexact 0
		.amdhsa_exception_int_div_zero 0
	.end_amdhsa_kernel
	.section	.text._ZL15flash_attn_tileILi128ELi128ELi1ELi2ELb1EEvPKcS1_S1_S1_S1_PKiPfP15HIP_vector_typeIfLj2EEffffjfiS5_IjLj3EEiiiiiiiiiiiliiliiiiil,"axG",@progbits,_ZL15flash_attn_tileILi128ELi128ELi1ELi2ELb1EEvPKcS1_S1_S1_S1_PKiPfP15HIP_vector_typeIfLj2EEffffjfiS5_IjLj3EEiiiiiiiiiiiliiliiiiil,comdat
.Lfunc_end85:
	.size	_ZL15flash_attn_tileILi128ELi128ELi1ELi2ELb1EEvPKcS1_S1_S1_S1_PKiPfP15HIP_vector_typeIfLj2EEffffjfiS5_IjLj3EEiiiiiiiiiiiliiliiiiil, .Lfunc_end85-_ZL15flash_attn_tileILi128ELi128ELi1ELi2ELb1EEvPKcS1_S1_S1_S1_PKiPfP15HIP_vector_typeIfLj2EEffffjfiS5_IjLj3EEiiiiiiiiiiiliiliiiiil
                                        ; -- End function
	.set _ZL15flash_attn_tileILi128ELi128ELi1ELi2ELb1EEvPKcS1_S1_S1_S1_PKiPfP15HIP_vector_typeIfLj2EEffffjfiS5_IjLj3EEiiiiiiiiiiiliiliiiiil.num_vgpr, 111
	.set _ZL15flash_attn_tileILi128ELi128ELi1ELi2ELb1EEvPKcS1_S1_S1_S1_PKiPfP15HIP_vector_typeIfLj2EEffffjfiS5_IjLj3EEiiiiiiiiiiiliiliiiiil.num_agpr, 0
	.set _ZL15flash_attn_tileILi128ELi128ELi1ELi2ELb1EEvPKcS1_S1_S1_S1_PKiPfP15HIP_vector_typeIfLj2EEffffjfiS5_IjLj3EEiiiiiiiiiiiliiliiiiil.numbered_sgpr, 43
	.set _ZL15flash_attn_tileILi128ELi128ELi1ELi2ELb1EEvPKcS1_S1_S1_S1_PKiPfP15HIP_vector_typeIfLj2EEffffjfiS5_IjLj3EEiiiiiiiiiiiliiliiiiil.num_named_barrier, 0
	.set _ZL15flash_attn_tileILi128ELi128ELi1ELi2ELb1EEvPKcS1_S1_S1_S1_PKiPfP15HIP_vector_typeIfLj2EEffffjfiS5_IjLj3EEiiiiiiiiiiiliiliiiiil.private_seg_size, 0
	.set _ZL15flash_attn_tileILi128ELi128ELi1ELi2ELb1EEvPKcS1_S1_S1_S1_PKiPfP15HIP_vector_typeIfLj2EEffffjfiS5_IjLj3EEiiiiiiiiiiiliiliiiiil.uses_vcc, 1
	.set _ZL15flash_attn_tileILi128ELi128ELi1ELi2ELb1EEvPKcS1_S1_S1_S1_PKiPfP15HIP_vector_typeIfLj2EEffffjfiS5_IjLj3EEiiiiiiiiiiiliiliiiiil.uses_flat_scratch, 0
	.set _ZL15flash_attn_tileILi128ELi128ELi1ELi2ELb1EEvPKcS1_S1_S1_S1_PKiPfP15HIP_vector_typeIfLj2EEffffjfiS5_IjLj3EEiiiiiiiiiiiliiliiiiil.has_dyn_sized_stack, 0
	.set _ZL15flash_attn_tileILi128ELi128ELi1ELi2ELb1EEvPKcS1_S1_S1_S1_PKiPfP15HIP_vector_typeIfLj2EEffffjfiS5_IjLj3EEiiiiiiiiiiiliiliiiiil.has_recursion, 0
	.set _ZL15flash_attn_tileILi128ELi128ELi1ELi2ELb1EEvPKcS1_S1_S1_S1_PKiPfP15HIP_vector_typeIfLj2EEffffjfiS5_IjLj3EEiiiiiiiiiiiliiliiiiil.has_indirect_call, 0
	.section	.AMDGPU.csdata,"",@progbits
; Kernel info:
; codeLenInByte = 5556
; TotalNumSgprs: 45
; NumVgprs: 111
; ScratchSize: 0
; MemoryBound: 0
; FloatMode: 240
; IeeeMode: 1
; LDSByteSize: 5248 bytes/workgroup (compile time only)
; SGPRBlocks: 0
; VGPRBlocks: 6
; NumSGPRsForWavesPerEU: 45
; NumVGPRsForWavesPerEU: 111
; NamedBarCnt: 0
; Occupancy: 9
; WaveLimiterHint : 1
; COMPUTE_PGM_RSRC2:SCRATCH_EN: 0
; COMPUTE_PGM_RSRC2:USER_SGPR: 2
; COMPUTE_PGM_RSRC2:TRAP_HANDLER: 0
; COMPUTE_PGM_RSRC2:TGID_X_EN: 1
; COMPUTE_PGM_RSRC2:TGID_Y_EN: 1
; COMPUTE_PGM_RSRC2:TGID_Z_EN: 1
; COMPUTE_PGM_RSRC2:TIDIG_COMP_CNT: 1
	.section	.text._ZL15flash_attn_tileILi128ELi128ELi64ELi1ELb1EEvPKcS1_S1_S1_S1_PKiPfP15HIP_vector_typeIfLj2EEffffjfiS5_IjLj3EEiiiiiiiiiiiliiliiiiil,"axG",@progbits,_ZL15flash_attn_tileILi128ELi128ELi64ELi1ELb1EEvPKcS1_S1_S1_S1_PKiPfP15HIP_vector_typeIfLj2EEffffjfiS5_IjLj3EEiiiiiiiiiiiliiliiiiil,comdat
	.globl	_ZL15flash_attn_tileILi128ELi128ELi64ELi1ELb1EEvPKcS1_S1_S1_S1_PKiPfP15HIP_vector_typeIfLj2EEffffjfiS5_IjLj3EEiiiiiiiiiiiliiliiiiil ; -- Begin function _ZL15flash_attn_tileILi128ELi128ELi64ELi1ELb1EEvPKcS1_S1_S1_S1_PKiPfP15HIP_vector_typeIfLj2EEffffjfiS5_IjLj3EEiiiiiiiiiiiliiliiiiil
	.p2align	8
	.type	_ZL15flash_attn_tileILi128ELi128ELi64ELi1ELb1EEvPKcS1_S1_S1_S1_PKiPfP15HIP_vector_typeIfLj2EEffffjfiS5_IjLj3EEiiiiiiiiiiiliiliiiiil,@function
_ZL15flash_attn_tileILi128ELi128ELi64ELi1ELb1EEvPKcS1_S1_S1_S1_PKiPfP15HIP_vector_typeIfLj2EEffffjfiS5_IjLj3EEiiiiiiiiiiiliiliiiiil: ; @_ZL15flash_attn_tileILi128ELi128ELi64ELi1ELb1EEvPKcS1_S1_S1_S1_PKiPfP15HIP_vector_typeIfLj2EEffffjfiS5_IjLj3EEiiiiiiiiiiiliiliiiiil
; %bb.0:
	s_clause 0x1
	s_load_b128 s[20:23], s[0:1], 0x5c
	s_load_b64 s[2:3], s[0:1], 0x80
	s_bfe_u32 s6, ttmp6, 0x40014
	s_lshr_b32 s5, ttmp7, 16
	s_add_co_i32 s6, s6, 1
	s_bfe_u32 s7, ttmp6, 0x40008
	s_mul_i32 s6, s5, s6
	s_getreg_b32 s44, hwreg(HW_REG_IB_STS2, 6, 4)
	s_add_co_i32 s7, s7, s6
	s_load_b64 s[40:41], s[0:1], 0xb8
	s_mov_b32 s39, 0
	s_mov_b64 s[36:37], 0
	s_wait_kmcnt 0x0
	s_cvt_f32_u32 s4, s23
	s_sub_co_i32 s8, 0, s23
	s_delay_alu instid0(SALU_CYCLE_2) | instskip(SKIP_1) | instid1(TRANS32_DEP_1)
	v_rcp_iflag_f32_e32 v1, s4
	v_nop
	v_readfirstlane_b32 s4, v1
	s_mul_f32 s4, s4, 0x4f7ffffe
	s_delay_alu instid0(SALU_CYCLE_3) | instskip(NEXT) | instid1(SALU_CYCLE_3)
	s_cvt_u32_f32 s4, s4
	s_mul_i32 s8, s8, s4
	s_delay_alu instid0(SALU_CYCLE_1) | instskip(NEXT) | instid1(SALU_CYCLE_1)
	s_mul_hi_u32 s8, s4, s8
	s_add_co_i32 s4, s4, s8
	s_cmp_eq_u32 s44, 0
	s_cselect_b32 s5, s5, s7
	s_delay_alu instid0(SALU_CYCLE_1) | instskip(NEXT) | instid1(SALU_CYCLE_1)
	s_mul_hi_u32 s4, s5, s4
	s_mul_i32 s6, s4, s23
	s_add_co_i32 s7, s4, 1
	s_sub_co_i32 s6, s5, s6
	s_delay_alu instid0(SALU_CYCLE_1)
	s_sub_co_i32 s8, s6, s23
	s_cmp_ge_u32 s6, s23
	s_cselect_b32 s4, s7, s4
	s_cselect_b32 s6, s8, s6
	s_add_co_i32 s7, s4, 1
	s_cmp_ge_u32 s6, s23
	s_cselect_b32 s34, s7, s4
	s_abs_i32 s4, s3
	s_mul_i32 s8, s34, s23
	s_cvt_f32_u32 s6, s4
	s_sub_co_i32 s7, 0, s4
	s_abs_i32 s9, s23
	s_sub_co_i32 s33, s5, s8
	v_rcp_iflag_f32_e32 v1, s6
	s_xor_b32 s3, s23, s3
	s_delay_alu instid0(SALU_CYCLE_1) | instskip(SKIP_1) | instid1(TRANS32_DEP_1)
	s_ashr_i32 s3, s3, 31
	v_nop
	v_readfirstlane_b32 s6, v1
	s_mul_f32 s6, s6, 0x4f7ffffe
	s_delay_alu instid0(SALU_CYCLE_3) | instskip(NEXT) | instid1(SALU_CYCLE_3)
	s_cvt_u32_f32 s6, s6
	s_mul_i32 s7, s7, s6
	s_delay_alu instid0(SALU_CYCLE_1) | instskip(NEXT) | instid1(SALU_CYCLE_1)
	s_mul_hi_u32 s7, s6, s7
	s_add_co_i32 s6, s6, s7
	s_delay_alu instid0(SALU_CYCLE_1) | instskip(NEXT) | instid1(SALU_CYCLE_1)
	s_mul_hi_u32 s5, s9, s6
	s_mul_i32 s6, s5, s4
	s_add_co_i32 s7, s5, 1
	s_sub_co_i32 s6, s9, s6
	s_delay_alu instid0(SALU_CYCLE_1)
	s_sub_co_i32 s8, s6, s4
	s_cmp_ge_u32 s6, s4
	s_cselect_b32 s5, s7, s5
	s_cselect_b32 s6, s8, s6
	s_add_co_i32 s7, s5, 1
	s_cmp_ge_u32 s6, s4
	s_cselect_b32 s4, s7, s5
	s_abs_i32 s38, s33
	s_xor_b32 s4, s4, s3
	s_delay_alu instid0(SALU_CYCLE_1) | instskip(NEXT) | instid1(SALU_CYCLE_1)
	s_sub_co_i32 s28, s4, s3
	s_abs_i32 s3, s28
	s_delay_alu instid0(SALU_CYCLE_1) | instskip(SKIP_1) | instid1(SALU_CYCLE_2)
	s_cvt_f32_u32 s4, s3
	s_sub_co_i32 s25, 0, s3
	v_rcp_iflag_f32_e32 v1, s4
	s_load_b512 s[4:19], s[0:1], 0x0
	v_nop
	s_delay_alu instid0(TRANS32_DEP_1) | instskip(SKIP_1) | instid1(SALU_CYCLE_3)
	v_readfirstlane_b32 s24, v1
	s_mul_f32 s24, s24, 0x4f7ffffe
	s_cvt_u32_f32 s24, s24
	s_delay_alu instid0(SALU_CYCLE_3) | instskip(NEXT) | instid1(SALU_CYCLE_1)
	s_mul_i32 s25, s25, s24
	s_mul_hi_u32 s25, s24, s25
	s_delay_alu instid0(SALU_CYCLE_1)
	s_add_co_i32 s42, s24, s25
	s_wait_kmcnt 0x0
	s_cmp_eq_u64 s[10:11], 0
	s_cbranch_scc1 .LBB86_2
; %bb.1:
	s_abs_i32 s26, s40
	s_abs_i32 s27, s34
	s_cvt_f32_u32 s24, s26
	s_sub_co_i32 s25, 0, s26
	s_delay_alu instid0(SALU_CYCLE_2) | instskip(SKIP_1) | instid1(TRANS32_DEP_1)
	v_rcp_iflag_f32_e32 v1, s24
	v_nop
	v_readfirstlane_b32 s24, v1
	s_mul_f32 s24, s24, 0x4f7ffffe
	s_delay_alu instid0(SALU_CYCLE_3) | instskip(NEXT) | instid1(SALU_CYCLE_3)
	s_cvt_u32_f32 s24, s24
	s_mul_i32 s25, s25, s24
	s_delay_alu instid0(SALU_CYCLE_1) | instskip(NEXT) | instid1(SALU_CYCLE_1)
	s_mul_hi_u32 s25, s24, s25
	s_add_co_i32 s24, s24, s25
	s_delay_alu instid0(SALU_CYCLE_1) | instskip(SKIP_2) | instid1(SALU_CYCLE_1)
	s_mul_hi_u32 s29, s27, s24
	s_load_b64 s[24:25], s[0:1], 0xc8
	s_mul_i32 s29, s29, s26
	s_sub_co_i32 s27, s27, s29
	s_ashr_i32 s29, s34, 31
	s_sub_co_i32 s30, s27, s26
	s_cmp_ge_u32 s27, s26
	s_cselect_b32 s27, s30, s27
	s_delay_alu instid0(SALU_CYCLE_1) | instskip(SKIP_2) | instid1(SALU_CYCLE_1)
	s_sub_co_i32 s30, s27, s26
	s_cmp_ge_u32 s27, s26
	s_cselect_b32 s26, s30, s27
	s_xor_b32 s26, s26, s29
	s_delay_alu instid0(SALU_CYCLE_1) | instskip(NEXT) | instid1(SALU_CYCLE_1)
	s_sub_co_i32 s26, s26, s29
	s_ashr_i32 s27, s26, 31
	s_wait_kmcnt 0x0
	s_mul_u64 s[24:25], s[24:25], s[26:27]
	s_delay_alu instid0(SALU_CYCLE_1)
	s_add_nc_u64 s[36:37], s[10:11], s[24:25]
.LBB86_2:
	s_clause 0x1
	s_load_b128 s[24:27], s[0:1], 0x40
	s_load_b64 s[30:31], s[0:1], 0x50
	v_mov_b32_e32 v100, 1.0
	s_mov_b32 s43, s39
	s_wait_kmcnt 0x0
	s_cmp_le_f32 s25, 0
	s_cbranch_scc1 .LBB86_4
; %bb.3:
	v_sub_co_u32 v1, s10, s33, s30
	s_and_b32 s25, s10, exec_lo
	s_cselect_b32 s25, s26, s27
	s_add_co_i32 s26, s33, 1
	v_readfirstlane_b32 s11, v1
	s_lshl_b32 s11, s11, 1
	s_delay_alu instid0(SALU_CYCLE_1) | instskip(SKIP_4) | instid1(SALU_CYCLE_3)
	s_or_b32 s11, s11, 1
	s_and_b32 s10, s10, exec_lo
	s_cselect_b32 s10, s26, s11
	s_cmp_neq_f32 s25, 1.0
	s_cvt_f32_i32 s10, s10
	s_cselect_b32 s11, s10, 1.0
	s_delay_alu instid0(SALU_CYCLE_1) | instskip(SKIP_1) | instid1(SALU_CYCLE_1)
	s_cmp_neq_f32 s11, 0
	s_cselect_b32 s10, s25, 1.0
	v_cvt_f64_f32_e64 v[2:3], |s10|
	s_delay_alu instid0(VALU_DEP_1) | instskip(SKIP_1) | instid1(VALU_DEP_1)
	v_frexp_exp_i32_f64_e32 v1, v[2:3]
	v_frexp_mant_f32_e64 v2, |s10|
	v_readfirstlane_b32 s25, v2
	s_cmp_lt_f32 s25, 0x3f2aaaab
	s_cselect_b32 vcc_lo, -1, 0
	s_delay_alu instid0(SALU_CYCLE_1) | instskip(SKIP_1) | instid1(SALU_CYCLE_1)
	s_and_b32 s26, vcc_lo, exec_lo
	s_cselect_b32 s26, 2.0, 1.0
	s_mul_f32 s25, s25, s26
	s_delay_alu instid0(SALU_CYCLE_3) | instskip(SKIP_1) | instid1(SALU_CYCLE_2)
	s_add_f32 s26, s25, 1.0
	s_add_f32 s29, s25, -1.0
	v_s_rcp_f32 s27, s26
	s_add_f32 s40, s26, -1.0
	v_subrev_co_ci_u32_e64 v1, null, 0, v1, vcc_lo
	s_delay_alu instid0(SALU_CYCLE_2) | instskip(NEXT) | instid1(TRANS32_DEP_1)
	s_sub_f32 s25, s25, s40
	s_mul_f32 s30, s29, s27
	v_cvt_f32_i32_e32 v1, v1
	s_delay_alu instid0(SALU_CYCLE_2) | instskip(NEXT) | instid1(SALU_CYCLE_3)
	s_mul_f32 s35, s26, s30
	v_dual_mov_b32 v3, s29 :: v_dual_mov_b32 v4, s35
	s_xor_b32 s45, s35, 0x80000000
	s_delay_alu instid0(SALU_CYCLE_1) | instskip(NEXT) | instid1(SALU_CYCLE_3)
	s_fmac_f32 s45, s30, s26
	s_fmac_f32 s45, s30, s25
	s_delay_alu instid0(SALU_CYCLE_3) | instskip(NEXT) | instid1(SALU_CYCLE_3)
	s_add_f32 s25, s35, s45
	v_dual_mov_b32 v6, s45 :: v_dual_mov_b32 v7, s25
	s_sub_f32 s26, s29, s25
	s_delay_alu instid0(SALU_CYCLE_3) | instskip(NEXT) | instid1(VALU_DEP_1)
	v_dual_mov_b32 v2, s25 :: v_dual_mov_b32 v5, s26
	v_pk_add_f32 v[2:3], v[2:3], v[4:5] neg_lo:[0,1] neg_hi:[0,1]
	s_delay_alu instid0(VALU_DEP_1) | instskip(NEXT) | instid1(VALU_DEP_1)
	v_pk_add_f32 v[2:3], v[2:3], v[6:7] neg_lo:[0,1] neg_hi:[0,1]
	v_readfirstlane_b32 s25, v3
	s_delay_alu instid0(VALU_DEP_2) | instskip(SKIP_1) | instid1(SALU_CYCLE_3)
	v_readfirstlane_b32 s29, v2
	s_add_f32 s25, s29, s25
	s_add_f32 s25, s26, s25
	s_delay_alu instid0(SALU_CYCLE_3) | instskip(NEXT) | instid1(SALU_CYCLE_3)
	s_mul_f32 s25, s27, s25
	s_add_f32 s26, s30, s25
	s_delay_alu instid0(SALU_CYCLE_3) | instskip(SKIP_1) | instid1(SALU_CYCLE_2)
	s_sub_f32 s27, s26, s30
	s_mul_f32 s29, s26, s26
	s_sub_f32 s25, s25, s27
	s_delay_alu instid0(SALU_CYCLE_2) | instskip(NEXT) | instid1(SALU_CYCLE_1)
	s_xor_b32 s27, s29, 0x80000000
	s_fmac_f32 s27, s26, s26
	s_delay_alu instid0(SALU_CYCLE_1) | instskip(NEXT) | instid1(SALU_CYCLE_3)
	s_add_f32 s30, s25, s25
	s_fmac_f32 s27, s26, s30
	s_mov_b32 s30, 0x3e76c4e1
	s_delay_alu instid0(SALU_CYCLE_2) | instskip(NEXT) | instid1(SALU_CYCLE_3)
	s_add_f32 s46, s29, s27
	s_fmaak_f32 s30, s46, s30, 0x3e91f4c4
	s_sub_f32 s29, s46, s29
	s_delay_alu instid0(SALU_CYCLE_2) | instskip(NEXT) | instid1(SALU_CYCLE_2)
	s_fmaak_f32 s30, s46, s30, 0x3ecccdef
	s_sub_f32 s29, s27, s29
	s_delay_alu instid0(SALU_CYCLE_2) | instskip(NEXT) | instid1(SALU_CYCLE_3)
	s_mul_f32 s35, s46, s30
	s_xor_b32 s40, s35, 0x80000000
	s_delay_alu instid0(SALU_CYCLE_1) | instskip(NEXT) | instid1(SALU_CYCLE_3)
	s_fmac_f32 s40, s46, s30
	s_fmac_f32 s40, s29, s30
	s_delay_alu instid0(SALU_CYCLE_3) | instskip(NEXT) | instid1(SALU_CYCLE_3)
	s_add_f32 s30, s35, s40
	s_sub_f32 s27, s30, s35
	s_add_f32 s35, s30, 0x3f2aaaaa
	s_delay_alu instid0(SALU_CYCLE_2) | instskip(NEXT) | instid1(SALU_CYCLE_2)
	s_sub_f32 s27, s40, s27
	s_add_f32 s40, s35, 0xbf2aaaaa
	s_delay_alu instid0(SALU_CYCLE_2) | instskip(NEXT) | instid1(SALU_CYCLE_2)
	s_add_f32 s27, s27, 0x31739010
	s_sub_f32 s47, s30, s40
	s_delay_alu instid0(SALU_CYCLE_2) | instskip(NEXT) | instid1(SALU_CYCLE_2)
	v_mov_b64_e32 v[2:3], s[26:27]
	v_mov_b64_e32 v[4:5], s[46:47]
	s_delay_alu instid0(VALU_DEP_1) | instskip(SKIP_2) | instid1(VALU_DEP_3)
	v_pk_mul_f32 v[6:7], v[2:3], v[4:5]
	v_pk_add_f32 v[2:3], v[2:3], v[4:5]
	v_mov_b32_e32 v9, s35
	v_xor_b32_e32 v8, 0x80000000, v6
	s_delay_alu instid0(VALU_DEP_3) | instskip(NEXT) | instid1(VALU_DEP_2)
	v_mov_b32_e32 v7, v3
	v_fmac_f32_e64 v8, s46, s26
	s_delay_alu instid0(VALU_DEP_1) | instskip(NEXT) | instid1(VALU_DEP_1)
	v_fmac_f32_e64 v8, s46, s25
	v_fmac_f32_e64 v8, s29, s26
	s_delay_alu instid0(VALU_DEP_1) | instskip(NEXT) | instid1(VALU_DEP_1)
	v_pk_add_f32 v[4:5], v[6:7], v[8:9]
	v_dual_mov_b32 v2, v5 :: v_dual_sub_f32 v7, s35, v5
	v_mul_f32_e32 v12, 0x3f317218, v1
	s_delay_alu instid0(VALU_DEP_2) | instskip(NEXT) | instid1(VALU_DEP_3)
	v_pk_mul_f32 v[10:11], v[4:5], v[2:3]
	v_add_f32_e32 v3, v3, v7
	s_delay_alu instid0(VALU_DEP_3) | instskip(NEXT) | instid1(VALU_DEP_3)
	v_xor_b32_e32 v7, 0x80000000, v12
	v_xor_b32_e32 v2, 0x80000000, v10
	s_delay_alu instid0(VALU_DEP_2) | instskip(NEXT) | instid1(VALU_DEP_2)
	v_dual_sub_f32 v6, v4, v6 :: v_dual_fmac_f32 v7, 0x3f317218, v1
	v_fmac_f32_e32 v2, v4, v5
	s_delay_alu instid0(VALU_DEP_2) | instskip(NEXT) | instid1(VALU_DEP_2)
	v_sub_f32_e32 v6, v8, v6
	v_fmac_f32_e32 v2, v4, v3
	s_delay_alu instid0(VALU_DEP_1) | instskip(SKIP_3) | instid1(VALU_DEP_2)
	v_fmac_f32_e32 v2, v6, v5
	v_fmamk_f32 v4, v1, 0xb102e308, v7
	v_ldexp_f32 v5, s26, 1
	v_ldexp_f32 v1, s25, 1
	v_dual_add_f32 v13, v10, v2 :: v_dual_mov_b32 v11, v5
	s_delay_alu instid0(VALU_DEP_1) | instskip(SKIP_1) | instid1(VALU_DEP_2)
	v_pk_add_f32 v[6:7], v[12:13], v[4:5]
	v_dual_mov_b32 v8, v13 :: v_dual_mov_b32 v3, v13
	v_dual_mov_b32 v9, v7 :: v_dual_mov_b32 v5, v6
	v_mov_b32_e32 v14, v7
	s_delay_alu instid0(VALU_DEP_2) | instskip(NEXT) | instid1(VALU_DEP_1)
	v_pk_add_f32 v[8:9], v[8:9], v[10:11] neg_lo:[0,1] neg_hi:[0,1]
	v_pk_add_f32 v[2:3], v[2:3], v[8:9] neg_lo:[0,1] neg_hi:[0,1]
	s_delay_alu instid0(VALU_DEP_1) | instskip(NEXT) | instid1(VALU_DEP_1)
	v_add_f32_e32 v1, v1, v2
	v_add_f32_e32 v13, v1, v3
	s_delay_alu instid0(VALU_DEP_1) | instskip(SKIP_1) | instid1(VALU_DEP_2)
	v_pk_add_f32 v[2:3], v[6:7], v[12:13]
	v_pk_add_f32 v[8:9], v[6:7], v[12:13] neg_lo:[0,1] neg_hi:[0,1]
	v_mov_b32_e32 v9, v3
	s_delay_alu instid0(VALU_DEP_1) | instskip(SKIP_2) | instid1(VALU_DEP_3)
	v_pk_add_f32 v[10:11], v[4:5], v[8:9]
	v_pk_add_f32 v[4:5], v[4:5], v[8:9] neg_lo:[0,1] neg_hi:[0,1]
	v_dual_mov_b32 v16, v3 :: v_dual_mov_b32 v5, v6
	v_dual_mov_b32 v12, v11 :: v_dual_mov_b32 v17, v11
	s_delay_alu instid0(VALU_DEP_3) | instskip(NEXT) | instid1(VALU_DEP_2)
	v_readfirstlane_b32 s25, v4
	v_pk_add_f32 v[8:9], v[12:13], v[6:7] neg_lo:[0,1] neg_hi:[0,1]
	s_delay_alu instid0(VALU_DEP_2) | instskip(NEXT) | instid1(VALU_DEP_2)
	v_dual_mov_b32 v4, v13 :: v_dual_mov_b32 v10, s25
	v_dual_mov_b32 v15, v8 :: v_dual_mov_b32 v1, v8
	s_delay_alu instid0(VALU_DEP_1) | instskip(NEXT) | instid1(VALU_DEP_2)
	v_pk_add_f32 v[6:7], v[16:17], v[14:15] neg_lo:[0,1] neg_hi:[0,1]
	v_pk_add_f32 v[2:3], v[2:3], v[0:1] neg_lo:[0,1] neg_hi:[0,1]
	v_mov_b32_e32 v2, s25
	s_delay_alu instid0(VALU_DEP_3) | instskip(NEXT) | instid1(VALU_DEP_1)
	v_pk_add_f32 v[4:5], v[4:5], v[6:7] neg_lo:[0,1] neg_hi:[0,1]
	v_pk_add_f32 v[2:3], v[2:3], v[4:5]
	s_delay_alu instid0(VALU_DEP_1) | instskip(NEXT) | instid1(VALU_DEP_2)
	v_readfirstlane_b32 s26, v2
	v_mov_b32_e32 v6, v3
	s_delay_alu instid0(VALU_DEP_1) | instskip(NEXT) | instid1(VALU_DEP_3)
	v_pk_add_f32 v[6:7], v[2:3], v[6:7]
	v_mov_b32_e32 v2, s26
	s_delay_alu instid0(VALU_DEP_2) | instskip(SKIP_1) | instid1(VALU_DEP_2)
	v_pk_add_f32 v[8:9], v[12:13], v[6:7]
	v_mov_b32_e32 v5, v6
	v_readfirstlane_b32 s27, v8
	s_delay_alu instid0(VALU_DEP_1) | instskip(NEXT) | instid1(VALU_DEP_1)
	v_mov_b32_e32 v3, s27
	v_pk_add_f32 v[2:3], v[2:3], v[10:11] neg_lo:[0,1] neg_hi:[0,1]
	s_delay_alu instid0(VALU_DEP_1) | instskip(NEXT) | instid1(VALU_DEP_2)
	v_readfirstlane_b32 s29, v2
	v_pk_add_f32 v[2:3], v[4:5], v[2:3] neg_lo:[0,1] neg_hi:[0,1]
	s_sub_f32 s26, s26, s29
	s_delay_alu instid0(VALU_DEP_1) | instskip(NEXT) | instid1(SALU_CYCLE_2)
	v_readfirstlane_b32 s29, v2
	s_sub_f32 s25, s25, s26
	v_readfirstlane_b32 s26, v3
	s_delay_alu instid0(SALU_CYCLE_2) | instskip(NEXT) | instid1(SALU_CYCLE_3)
	s_add_f32 s25, s29, s25
	s_add_f32 s25, s25, s26
	s_delay_alu instid0(SALU_CYCLE_3) | instskip(NEXT) | instid1(SALU_CYCLE_3)
	s_add_f32 s26, s27, s25
	s_mul_f32 s29, s11, s26
	s_sub_f32 s27, s26, s27
	s_delay_alu instid0(SALU_CYCLE_2) | instskip(NEXT) | instid1(SALU_CYCLE_2)
	s_xor_b32 s30, s29, 0x80000000
	s_sub_f32 s25, s25, s27
	s_fmac_f32 s30, s11, s26
	s_delay_alu instid0(SALU_CYCLE_3) | instskip(SKIP_1) | instid1(SALU_CYCLE_2)
	s_fmac_f32 s30, s11, s25
	v_cmp_class_f32_e64 s25, s29, 0x204
	s_add_f32 s26, s29, s30
	s_and_b32 s25, s25, exec_lo
	s_delay_alu instid0(SALU_CYCLE_2) | instskip(SKIP_1) | instid1(SALU_CYCLE_1)
	s_sub_f32 s25, s26, s29
	s_cselect_b32 s26, s29, s26
	s_and_b32 s27, s26, 0x7fffffff
	s_delay_alu instid0(SALU_CYCLE_1) | instskip(SKIP_1) | instid1(SALU_CYCLE_2)
	s_sub_f32 s25, s30, s25
	s_cmp_neq_f32 s27, 0x7f800000
	s_cselect_b32 s25, s25, 0
	s_cmp_eq_f32 s26, 0x42b17218
	s_cselect_b32 s27, 0x37000000, 0
	s_delay_alu instid0(SALU_CYCLE_1) | instskip(SKIP_1) | instid1(SALU_CYCLE_2)
	s_sub_f32 s26, s26, s27
	s_add_f32 s25, s27, s25
	s_mul_f32 s29, s26, 0x3fb8aa3b
	s_delay_alu instid0(SALU_CYCLE_3) | instskip(SKIP_3) | instid1(SALU_CYCLE_1)
	s_xor_b32 s30, s29, 0x80000000
	s_rndne_f32 s35, s29
	s_fmamk_f32 s30, s26, 0x3fb8aa3b, s30
	s_cmp_nlt_f32 s26, 0xc2ce8ed0
	s_sub_f32 s29, s29, s35
	s_delay_alu instid0(SALU_CYCLE_1)
	s_fmamk_f32 s30, s26, 0x32a5705f, s30
	s_cselect_b32 vcc_lo, -1, 0
	s_cmp_ngt_f32 s26, 0x42b17218
	s_trunc_f32 s26, s11
	s_add_f32 s29, s29, s30
	s_cvt_i32_f32 s30, s35
	s_delay_alu instid0(SALU_CYCLE_2)
	v_s_exp_f32 s29, s29
	v_nop
	s_delay_alu instid0(TRANS32_DEP_1) | instid1(SALU_CYCLE_1)
	v_ldexp_f32 v1, s29, s30
	s_mul_f32 s29, s11, 0.5
	s_delay_alu instid0(VALU_DEP_1) | instskip(SKIP_3) | instid1(VALU_DEP_1)
	v_cndmask_b32_e32 v1, 0, v1, vcc_lo
	s_cselect_b32 vcc_lo, -1, 0
	s_cmp_eq_f32 s26, s11
	s_trunc_f32 s30, s29
	v_cndmask_b32_e32 v1, 0x7f800000, v1, vcc_lo
	s_cselect_b32 s35, -1, 0
	s_delay_alu instid0(SALU_CYCLE_1) | instskip(NEXT) | instid1(VALU_DEP_1)
	s_cmp_neq_f32 s30, s29
	v_fma_f32 v2, s25, v1, v1
	v_cmp_class_f32_e64 vcc_lo, v1, 0x204
	s_cselect_b32 s27, -1, 0
	s_delay_alu instid0(SALU_CYCLE_1)
	s_and_b32 s25, s35, s27
	v_cndmask_b32_e32 v1, v2, v1, vcc_lo
	s_and_b32 s27, s25, exec_lo
	s_cselect_b32 s27, s10, 1.0
	s_cmp_eq_f32 s26, s11
	v_cmp_class_f32_e64 s26, s10, 0x204
	v_bfi_b32 v1, 0x7fffffff, v1, s27
	s_cselect_b32 vcc_lo, -1, 0
	s_cmp_lt_f32 s10, 0
	s_delay_alu instid0(VALU_DEP_1) | instskip(SKIP_2) | instid1(VALU_DEP_1)
	v_cndmask_b32_e32 v2, 0x7fc00000, v1, vcc_lo
	s_cselect_b32 vcc_lo, -1, 0
	s_cmp_eq_f32 s10, 0
	v_cndmask_b32_e32 v1, v1, v2, vcc_lo
	s_cselect_b32 s27, -1, 0
	s_delay_alu instid0(SALU_CYCLE_1) | instskip(SKIP_2) | instid1(SALU_CYCLE_1)
	s_or_b32 vcc_lo, s27, s26
	s_cmp_lt_f32 s11, 0
	s_cselect_b32 s11, -1, 0
	s_xor_b32 s11, s11, s27
	s_delay_alu instid0(SALU_CYCLE_1)
	s_and_b32 s11, s11, exec_lo
	s_cselect_b32 s11, 0, 0x7f800000
	s_and_b32 s25, s25, exec_lo
	s_cselect_b32 s25, s10, 0
	s_cmp_o_f32 s10, s10
	v_mov_b32_e32 v2, s25
	s_delay_alu instid0(VALU_DEP_1) | instskip(NEXT) | instid1(VALU_DEP_1)
	v_bfi_b32 v2, 0x7fffffff, s11, v2
	v_cndmask_b32_e32 v1, v1, v2, vcc_lo
	s_cselect_b32 vcc_lo, -1, 0
	s_delay_alu instid0(VALU_DEP_1)
	v_cndmask_b32_e32 v100, 0x7fc00000, v1, vcc_lo
.LBB86_4:
	s_bfe_u32 s10, ttmp6, 0x4000c
	s_and_b32 s11, ttmp6, 15
	s_add_co_i32 s10, s10, 1
	s_ashr_i32 s45, s33, 31
	s_mul_i32 s10, ttmp9, s10
	v_bfe_u32 v98, v0, 10, 10
	s_ashr_i32 s46, s28, 31
	s_add_co_i32 s11, s11, s10
	s_cmp_eq_u32 s44, 0
	s_load_b96 s[28:30], s[0:1], 0x70
	s_cselect_b32 s25, ttmp9, s11
	v_and_b32_e32 v48, 0x3ff, v0
	s_lshl_b32 s40, s25, 6
	v_dual_lshlrev_b32 v92, 3, v98 :: v_dual_lshlrev_b32 v49, 11, v98
	s_delay_alu instid0(VALU_DEP_2) | instskip(SKIP_1) | instid1(VALU_DEP_2)
	v_dual_mov_b32 v23, 0 :: v_dual_lshlrev_b32 v97, 3, v48
	v_lshlrev_b32_e32 v22, 4, v48
	v_dual_mov_b32 v3, v23 :: v_dual_bitop2_b32 v91, 1, v92 bitop3:0x54
	s_delay_alu instid0(VALU_DEP_1) | instskip(SKIP_3) | instid1(VALU_DEP_4)
	v_dual_mov_b32 v9, v23 :: v_dual_add_nc_u32 v94, s40, v91
	v_or_b32_e32 v87, 3, v92
	v_dual_add_nc_u32 v95, s40, v92 :: v_dual_bitop2_b32 v89, 2, v92 bitop3:0x54
	v_or_b32_e32 v85, 4, v92
	v_mul_hi_u32 v2, v94, s20
	s_delay_alu instid0(VALU_DEP_3) | instskip(NEXT) | instid1(VALU_DEP_4)
	v_dual_add_nc_u32 v90, s40, v87 :: v_dual_add_nc_u32 v93, s40, v89
	v_mul_hi_u32 v1, v95, s20
	s_delay_alu instid0(VALU_DEP_4) | instskip(NEXT) | instid1(VALU_DEP_3)
	v_dual_add_nc_u32 v88, s40, v85 :: v_dual_bitop2_b32 v82, 5, v92 bitop3:0x54
	v_mul_hi_u32 v5, v90, s20
	s_delay_alu instid0(VALU_DEP_4) | instskip(NEXT) | instid1(VALU_DEP_3)
	v_mul_hi_u32 v4, v93, s20
	v_dual_mov_b32 v65, v23 :: v_dual_add_nc_u32 v84, s40, v82
	s_delay_alu instid0(VALU_DEP_4)
	v_mul_hi_u32 v6, v88, s20
	v_dual_add_nc_u32 v2, v94, v2 :: v_dual_bitop2_b32 v51, 7, v92 bitop3:0x54
	s_wait_kmcnt 0x0
	s_mul_i32 s10, s33, s29
	v_add_nc_u32_e32 v1, v95, v1
	v_mul_hi_u32 v7, v84, s20
	v_dual_lshrrev_b32 v2, s21, v2 :: v_dual_add_nc_u32 v5, v90, v5
	s_delay_alu instid0(VALU_DEP_3) | instskip(SKIP_2) | instid1(VALU_DEP_3)
	v_dual_add_nc_u32 v4, v93, v4 :: v_dual_lshrrev_b32 v1, s21, v1
	s_ashr_i32 s29, s28, 31
	v_add_nc_u32_e32 v6, v88, v6
	v_mul_lo_u32 v2, v2, s22
	s_delay_alu instid0(VALU_DEP_3) | instskip(SKIP_3) | instid1(VALU_DEP_4)
	v_lshrrev_b32_e32 v4, s21, v4
	v_mul_lo_u32 v1, v1, s22
	v_dual_lshrrev_b32 v5, s21, v5 :: v_dual_bitop2_b32 v83, 6, v92 bitop3:0x54
	v_add_nc_u32_e32 v7, v84, v7
	v_mul_lo_u32 v8, v4, s22
	s_delay_alu instid0(VALU_DEP_3) | instskip(SKIP_1) | instid1(VALU_DEP_4)
	v_dual_lshrrev_b32 v4, s21, v6 :: v_dual_add_nc_u32 v86, s40, v83
	v_add_nc_u32_e32 v69, s40, v51
	v_dual_mov_b32 v7, v23 :: v_dual_lshrrev_b32 v6, s21, v7
	v_dual_sub_nc_u32 v2, v94, v2 :: v_dual_sub_nc_u32 v64, v95, v1
	s_delay_alu instid0(VALU_DEP_4) | instskip(NEXT) | instid1(VALU_DEP_4)
	v_mul_hi_u32 v10, v86, s20
	v_mul_hi_u32 v12, v69, s20
	v_mul_lo_u32 v1, v5, s22
	v_mul_lo_u32 v11, v4, s22
	;; [unrolled: 1-line block ×3, first 2 shown]
	v_sub_nc_u32_e32 v6, v93, v8
	s_lshr_b64 s[26:27], s[28:29], 2
	s_mul_i32 s28, s34, s30
	v_mul_u64_e32 v[4:5], s[26:27], v[64:65]
	v_mul_u64_e32 v[2:3], s[26:27], v[2:3]
	;; [unrolled: 1-line block ×3, first 2 shown]
	v_dual_add_nc_u32 v10, v86, v10 :: v_dual_add_nc_u32 v12, v69, v12
	v_dual_mov_b32 v1, v23 :: v_dual_sub_nc_u32 v8, v90, v1
	s_delay_alu instid0(VALU_DEP_2) | instskip(NEXT) | instid1(VALU_DEP_3)
	v_dual_sub_nc_u32 v0, v88, v11 :: v_dual_lshrrev_b32 v10, s21, v10
	v_dual_mov_b32 v11, v23 :: v_dual_lshrrev_b32 v12, s21, v12
	s_delay_alu instid0(VALU_DEP_3) | instskip(SKIP_1) | instid1(VALU_DEP_3)
	v_mul_u64_e32 v[8:9], s[26:27], v[8:9]
	s_ashr_i32 s29, s28, 31
	v_mul_lo_u32 v14, v10, s22
	s_delay_alu instid0(VALU_DEP_3)
	v_mul_lo_u32 v15, v12, s22
	v_sub_nc_u32_e32 v10, v84, v13
	v_mul_u64_e32 v[12:13], s[26:27], v[0:1]
	s_ashr_i32 s11, s10, 31
	s_add_nc_u64 s[4:5], s[4:5], s[28:29]
	s_cmp_eq_u64 s[14:15], 0
	v_mul_u64_e32 v[16:17], s[26:27], v[10:11]
	s_add_nc_u64 s[4:5], s[4:5], s[10:11]
	s_mul_u64 s[10:11], s[38:39], s[42:43]
	v_add_nc_u64_e32 v[28:29], s[4:5], v[22:23]
	v_dual_sub_nc_u32 v0, v86, v14 :: v_dual_sub_nc_u32 v10, v69, v15
	s_mov_b32 s5, 0
	v_lshl_add_u32 v38, v85, 8, v97
	v_lshl_add_u32 v39, v82, 8, v97
	s_delay_alu instid0(VALU_DEP_3)
	v_mul_u64_e32 v[20:21], s[26:27], v[0:1]
	v_mul_u64_e32 v[30:31], s[26:27], v[10:11]
	v_lshl_add_u32 v40, v83, 8, v97
	v_lshl_add_u64 v[0:1], v[4:5], 2, v[28:29]
	v_lshl_add_u64 v[4:5], v[2:3], 2, v[28:29]
	;; [unrolled: 1-line block ×3, first 2 shown]
	v_lshl_add_u32 v41, v51, 8, v97
	s_clause 0x1
	global_load_b128 v[0:3], v[0:1], off
	global_load_b128 v[4:7], v[4:5], off
	v_lshl_add_u64 v[14:15], v[8:9], 2, v[28:29]
	global_load_b128 v[8:11], v[10:11], off
	v_lshl_add_u64 v[18:19], v[12:13], 2, v[28:29]
	;; [unrolled: 2-line block ×3, first 2 shown]
	s_clause 0x1
	global_load_b128 v[16:19], v[18:19], off
	global_load_b128 v[24:27], v[24:25], off
	v_lshl_add_u64 v[20:21], v[20:21], 2, v[28:29]
	v_lshl_add_u64 v[36:37], v[30:31], 2, v[28:29]
	s_clause 0x1
	global_load_b128 v[28:31], v[20:21], off
	global_load_b128 v[32:35], v[36:37], off
	s_wait_xcnt 0x1
	v_lshl_add_u32 v21, v91, 8, v97
	s_wait_xcnt 0x0
	v_lshl_add_u32 v36, v89, 8, v97
	v_lshl_add_u32 v37, v87, 8, v97
	s_wait_loadcnt 0x7
	v_fma_mixlo_f16 v0, s24, v0, 0
	v_fma_mixlo_f16 v1, s24, v1, 0
	;; [unrolled: 1-line block ×4, first 2 shown]
	s_wait_loadcnt 0x6
	v_fma_mixlo_f16 v4, s24, v4, 0
	v_fma_mixlo_f16 v5, s24, v5, 0
	;; [unrolled: 1-line block ×3, first 2 shown]
	s_wait_loadcnt 0x5
	v_fma_mixlo_f16 v8, s24, v8, 0
	v_fma_mixlo_f16 v9, s24, v9, 0
	v_lshlrev_b32_e32 v1, 16, v1
	v_and_b32_e32 v0, 0xffff, v0
	v_dual_add_nc_u32 v20, v97, v49 :: v_dual_lshlrev_b32 v3, 16, v3
	s_wait_loadcnt 0x4
	v_fma_mixlo_f16 v12, s24, v12, 0
	v_fma_mixlo_f16 v13, s24, v13, 0
	;; [unrolled: 1-line block ×3, first 2 shown]
	s_wait_loadcnt 0x3
	v_fma_mixlo_f16 v16, s24, v16, 0
	v_fma_mixlo_f16 v17, s24, v17, 0
	v_fma_mixlo_f16 v11, s24, v11, 0
	v_and_b32_e32 v2, 0xffff, v2
	s_wait_loadcnt 0x2
	v_fma_mixlo_f16 v24, s24, v24, 0
	v_fma_mixlo_f16 v25, s24, v25, 0
	v_dual_lshlrev_b32 v5, 16, v5 :: v_dual_lshlrev_b32 v11, 16, v11
	v_and_b32_e32 v4, 0xffff, v4
	v_fma_mixlo_f16 v10, s24, v10, 0
	v_fma_mixlo_f16 v15, s24, v15, 0
	v_lshlrev_b32_e32 v9, 16, v9
	s_wait_loadcnt 0x1
	v_fma_mixlo_f16 v28, s24, v28, 0
	v_fma_mixlo_f16 v29, s24, v29, 0
	s_wait_loadcnt 0x0
	v_fma_mixlo_f16 v32, s24, v32, 0
	v_fma_mixlo_f16 v33, s24, v33, 0
	v_and_b32_e32 v8, 0xffff, v8
	v_fma_mixlo_f16 v14, s24, v14, 0
	v_fma_mixlo_f16 v19, s24, v19, 0
	v_lshlrev_b32_e32 v13, 16, v13
	v_and_b32_e32 v12, 0xffff, v12
	v_fma_mixlo_f16 v18, s24, v18, 0
	v_fma_mixlo_f16 v27, s24, v27, 0
	v_lshlrev_b32_e32 v17, 16, v17
	v_and_b32_e32 v16, 0xffff, v16
	v_fma_mixlo_f16 v26, s24, v26, 0
	v_fma_mixlo_f16 v30, s24, v30, 0
	;; [unrolled: 1-line block ×5, first 2 shown]
	v_lshlrev_b32_e32 v25, 16, v25
	v_and_b32_e32 v24, 0xffff, v24
	v_lshlrev_b32_e32 v29, 16, v29
	v_and_b32_e32 v28, 0xffff, v28
	v_and_b32_e32 v32, 0xffff, v32
	v_dual_lshlrev_b32 v7, 16, v7 :: v_dual_lshlrev_b32 v33, 16, v33
	v_or_b32_e32 v0, v1, v0
	v_and_b32_e32 v6, 0xffff, v6
	v_or3_b32 v1, v3, v2, 0
	v_or_b32_e32 v2, v5, v4
	v_and_b32_e32 v10, 0xffff, v10
	v_dual_lshlrev_b32 v15, 16, v15 :: v_dual_bitop2_b32 v4, v9, v8 bitop3:0x54
	v_and_b32_e32 v14, 0xffff, v14
	v_dual_lshlrev_b32 v19, 16, v19 :: v_dual_bitop2_b32 v8, v13, v12 bitop3:0x54
	v_and_b32_e32 v18, 0xffff, v18
	v_dual_lshlrev_b32 v27, 16, v27 :: v_dual_bitop2_b32 v12, v17, v16 bitop3:0x54
	v_and_b32_e32 v26, 0xffff, v26
	v_lshlrev_b32_e32 v31, 16, v31
	v_and_b32_e32 v30, 0xffff, v30
	v_lshlrev_b32_e32 v35, 16, v35
	v_and_b32_e32 v34, 0xffff, v34
	v_or_b32_e32 v16, v25, v24
	v_or_b32_e32 v17, v29, v28
	;; [unrolled: 1-line block ×3, first 2 shown]
	v_or3_b32 v0, 0, 0, v0
	v_or3_b32 v3, v7, v6, 0
	;; [unrolled: 1-line block ×15, first 2 shown]
	ds_store_b64 v20, v[0:1]
	ds_store_b64 v21, v[2:3]
	;; [unrolled: 1-line block ×8, first 2 shown]
	s_wait_dscnt 0x0
	s_barrier_signal -1
	s_barrier_wait -1
	s_cbranch_scc1 .LBB86_6
; %bb.5:
	s_load_b32 s2, s[0:1], 0xd0
	s_wait_kmcnt 0x0
	s_mul_i32 s2, s2, s34
	s_delay_alu instid0(SALU_CYCLE_1)
	s_add_co_i32 s2, s2, s25
	s_load_b32 s2, s[14:15], s2 offset:0x0 scale_offset
.LBB86_6:
	s_wait_xcnt 0x0
	s_clause 0x2
	s_load_b64 s[14:15], s[0:1], 0x8c
	s_load_b128 s[24:27], s[0:1], 0x98
	s_load_b64 s[42:43], s[0:1], 0xa8
	s_mul_i32 s10, s11, s3
	s_ashr_i32 s30, s41, 1
	s_sub_co_i32 s41, s38, s10
	s_mov_b32 s4, s20
	s_ashr_i32 s35, s34, 31
	s_xor_b32 s20, s45, s46
	s_add_co_i32 s29, s11, 1
	s_sub_co_i32 s45, s41, s3
	v_dual_lshlrev_b32 v65, 2, v48 :: v_dual_lshrrev_b32 v117, 3, v48
	v_or_b32_e32 v66, 1, v95
	v_or_b32_e32 v62, 2, v95
	;; [unrolled: 1-line block ×3, first 2 shown]
	s_delay_alu instid0(VALU_DEP_4)
	v_dual_lshrrev_b32 v99, 4, v48 :: v_dual_bitop2_b32 v68, 28, v65 bitop3:0x40
	v_or_b32_e32 v58, 4, v95
	v_or_b32_e32 v56, 5, v95
	s_wait_kmcnt 0x0
	s_ashr_i32 s28, s14, 2
	s_ashr_i32 s10, s26, 2
	s_cmp_ge_u32 s41, s3
	s_mul_u64 s[24:25], s[24:25], s[34:35]
	s_cselect_b32 s11, s29, s11
	s_cselect_b32 s14, s45, s41
	s_add_co_i32 s26, s11, 1
	s_cmp_ge_u32 s14, s3
	s_add_nc_u64 s[6:7], s[6:7], s[24:25]
	s_cselect_b32 s3, s26, s11
	s_bfe_u32 s14, ttmp6, 0x40010
	s_xor_b32 s3, s3, s20
	s_and_b32 s11, ttmp7, 0xffff
	s_add_co_i32 s14, s14, 1
	s_sub_co_i32 s3, s3, s20
	s_bfe_u32 s25, ttmp6, 0x40004
	s_mul_i32 s20, s11, s14
	s_mul_i32 s14, s3, s15
	;; [unrolled: 1-line block ×3, first 2 shown]
	s_add_co_i32 s3, s25, s20
	s_ashr_i32 s15, s14, 31
	s_ashr_i32 s25, s24, 31
	s_cmp_eq_u32 s44, 0
	s_mul_u64 s[38:39], s[42:43], s[34:35]
	s_cselect_b32 s20, s11, s3
	v_or_b32_e32 v54, 6, v95
	v_or_b32_e32 v52, 7, v95
	v_and_b32_e32 v50, 60, v65
	v_mbcnt_lo_u32_b32 v96, -1, 0
	s_add_nc_u64 s[6:7], s[6:7], s[14:15]
	s_sub_co_i32 s3, s2, 64
	s_lshl_b32 s14, s20, 6
	s_add_nc_u64 s[8:9], s[8:9], s[38:39]
	s_cmp_ge_i32 s14, s3
	s_add_nc_u64 s[8:9], s[8:9], s[24:25]
	s_cbranch_scc1 .LBB86_114
; %bb.7:
	v_mov_b32_e32 v71, 0
	v_lshl_add_u32 v122, v98, 10, 0x6400
	s_movk_i32 s11, 0x4000
	s_ashr_i32 s29, s28, 31
	v_or_b32_e32 v125, 0x4000, v97
	v_dual_mov_b32 v63, v71 :: v_dual_lshlrev_b32 v76, 2, v68
	v_add_nc_u32_e32 v126, v122, v22
	v_mbcnt_lo_u32_b32 v127, -1, 0
	v_dual_mov_b32 v135, 0xfeffffff :: v_dual_mov_b32 v132, 0xfeffffff
	s_delay_alu instid0(VALU_DEP_4) | instskip(SKIP_4) | instid1(VALU_DEP_4)
	v_mul_u64_e32 v[2:3], s[4:5], v[62:63]
	v_dual_mov_b32 v59, v71 :: v_dual_lshlrev_b32 v2, 2, v68
	v_dual_mov_b32 v67, v71 :: v_dual_mov_b32 v61, v71
	v_dual_mov_b32 v57, v71 :: v_dual_mov_b32 v55, v71
	v_mov_b32_e32 v53, v71
	v_mul_u64_e32 v[6:7], s[4:5], v[58:59]
	s_delay_alu instid0(VALU_DEP_4)
	v_mul_u64_e32 v[0:1], s[4:5], v[66:67]
	v_mul_u64_e32 v[4:5], s[4:5], v[60:61]
	;; [unrolled: 1-line block ×4, first 2 shown]
	v_lshlrev_b32_e32 v6, 2, v50
	v_mul_u64_e32 v[12:13], s[4:5], v[52:53]
	v_lshl_add_u32 v0, v98, 2, v117
	v_lshl_add_u32 v4, v98, 1, v99
	v_mul_lo_u32 v53, v64, s30
	v_mad_u32_u24 v55, 0x90, v48, s11
	v_mov_b32_e32 v77, v71
	v_mul_lo_u32 v72, s28, v0
	v_mad_u32_u24 v2, 0x90, v0, v2
	v_lshl_or_b32 v6, v4, 8, v6
	v_mul_lo_u32 v0, s10, v4
	v_dual_mov_b32 v101, v71 :: v_dual_lshlrev_b32 v70, 2, v50
	s_delay_alu instid0(VALU_DEP_4)
	v_dual_mov_b32 v102, v71 :: v_dual_add_nc_u32 v57, 0x4000, v2
	v_dual_mov_b32 v104, v71 :: v_dual_add_nc_u32 v59, 0x5200, v2
	;; [unrolled: 1-line block ×3, first 2 shown]
	v_add_nc_u32_e32 v3, v62, v3
	v_lshl_add_u32 v74, s28, 5, v72
	v_ashrrev_i32_e32 v73, 31, v72
	v_dual_mov_b32 v103, v71 :: v_dual_add_nc_u32 v124, 0x5000, v6
	s_delay_alu instid0(VALU_DEP_3)
	v_dual_mov_b32 v105, v71 :: v_dual_ashrrev_i32 v75, 31, v74
	v_dual_mov_b32 v108, v71 :: v_dual_mov_b32 v107, v71
	v_dual_mov_b32 v110, v71 :: v_dual_mov_b32 v109, v71
	v_add_nc_u32_e32 v4, v60, v5
	v_dual_add_nc_u32 v1, v66, v1 :: v_dual_lshrrev_b32 v3, s21, v3
	v_dual_add_nc_u32 v5, v58, v7 :: v_dual_add_nc_u32 v7, v56, v9
	v_dual_add_nc_u32 v8, v54, v11 :: v_dual_add_nc_u32 v9, v52, v13
	s_delay_alu instid0(VALU_DEP_3) | instskip(NEXT) | instid1(VALU_DEP_3)
	v_dual_lshrrev_b32 v1, s21, v1 :: v_dual_lshrrev_b32 v4, s21, v4
	v_dual_lshrrev_b32 v5, s21, v5 :: v_dual_lshrrev_b32 v7, s21, v7
	s_delay_alu instid0(VALU_DEP_3) | instskip(SKIP_1) | instid1(VALU_DEP_4)
	v_dual_lshrrev_b32 v8, s21, v8 :: v_dual_lshrrev_b32 v9, s21, v9
	v_mul_lo_u32 v3, v3, s22
	v_mul_lo_u32 v1, v1, s22
	;; [unrolled: 1-line block ×7, first 2 shown]
	v_mov_b32_e32 v134, 0xfeffffff
	v_dual_mov_b32 v112, v71 :: v_dual_mov_b32 v111, v71
	v_dual_mov_b32 v16, v71 :: v_dual_mov_b32 v17, v71
	v_sub_nc_u32_e32 v2, v62, v3
	v_dual_sub_nc_u32 v1, v66, v1 :: v_dual_sub_nc_u32 v3, v60, v4
	v_dual_sub_nc_u32 v4, v58, v5 :: v_dual_sub_nc_u32 v5, v56, v7
	;; [unrolled: 1-line block ×3, first 2 shown]
	s_delay_alu instid0(VALU_DEP_4)
	v_mul_lo_u32 v63, v2, s30
	v_lshl_add_u32 v2, s10, 4, v0
	v_mul_lo_u32 v61, v1, s30
	v_mul_lo_u32 v67, v3, s30
	v_ashrrev_i32_e32 v1, 31, v0
	v_mul_lo_u32 v118, v4, s30
	v_ashrrev_i32_e32 v3, 31, v2
	v_mul_lo_u32 v119, v5, s30
	v_mul_lo_u32 v120, v7, s30
	;; [unrolled: 1-line block ×3, first 2 shown]
	v_lshlrev_b64_e32 v[78:79], 2, v[0:1]
	v_lshlrev_b64_e32 v[80:81], 2, v[2:3]
	v_dual_mov_b32 v18, v71 :: v_dual_mov_b32 v19, v71
	v_dual_mov_b32 v20, v71 :: v_dual_mov_b32 v21, v71
	;; [unrolled: 1-line block ×7, first 2 shown]
	v_mov_b32_e32 v129, 0xfeffffff
	s_cmp_lg_u64 s[36:37], 0
	s_add_nc_u64 s[24:25], s[0:1], 0xd0
	s_cselect_b32 s26, -1, 0
	s_ashr_i32 s11, s10, 31
	s_mov_b32 s27, 0xbbbac73d
.LBB86_8:                               ; =>This Inner Loop Header: Depth=1
	s_ashr_i32 s15, s14, 31
	v_dual_mov_b32 v150, 0 :: v_dual_mov_b32 v148, 0
	s_mul_u64 s[38:39], s[14:15], s[28:29]
	v_dual_mov_b32 v146, 0 :: v_dual_mov_b32 v144, 0
	s_lshl_b64 s[38:39], s[38:39], 2
	v_dual_mov_b32 v142, 0 :: v_dual_mov_b32 v140, 0
	s_add_nc_u64 s[38:39], s[6:7], s[38:39]
	v_dual_mov_b32 v138, 0 :: v_dual_mov_b32 v136, 0
	v_lshl_add_u64 v[0:1], v[72:73], 2, s[38:39]
	v_lshl_add_u64 v[2:3], v[74:75], 2, s[38:39]
	v_dual_mov_b32 v151, 0 :: v_dual_mov_b32 v149, 0
	v_dual_mov_b32 v147, 0 :: v_dual_mov_b32 v145, 0
	s_delay_alu instid0(VALU_DEP_4) | instskip(NEXT) | instid1(VALU_DEP_4)
	v_add_nc_u64_e32 v[0:1], v[0:1], v[76:77]
	v_add_nc_u64_e32 v[2:3], v[2:3], v[76:77]
	s_clause 0x1
	global_load_b128 v[4:7], v[0:1], off
	global_load_b128 v[8:11], v[2:3], off
	v_dual_mov_b32 v143, 0 :: v_dual_mov_b32 v141, 0
	v_dual_mov_b32 v139, 0 :: v_dual_mov_b32 v137, 0
	s_wait_loadcnt 0x1
	ds_store_b128 v57, v[4:7]
	s_wait_loadcnt 0x0
	ds_store_b128 v59, v[8:11]
	s_wait_dscnt 0x0
	s_barrier_signal -1
	s_barrier_wait -1
	ds_load_b128 v[4:7], v55
	ds_load_b128 v[8:11], v49
	ds_load_b128 v[12:15], v49 offset:256
	ds_load_b128 v[24:27], v49 offset:512
	;; [unrolled: 1-line block ×8, first 2 shown]
	s_wait_dscnt 0x8
	;;#ASMSTART
	v_dot2_f32_f16 v150, v4, v8, v150
	;;#ASMEND
	;;#ASMSTART
	v_dot2_f32_f16 v150, v5, v9, v150
	;;#ASMEND
	;;#ASMSTART
	v_dot2_f32_f16 v150, v6, v10, v150
	;;#ASMEND
	;;#ASMSTART
	v_dot2_f32_f16 v150, v7, v11, v150
	;;#ASMEND
	s_wait_dscnt 0x7
	;;#ASMSTART
	v_dot2_f32_f16 v148, v4, v12, v148
	;;#ASMEND
	;;#ASMSTART
	v_dot2_f32_f16 v148, v5, v13, v148
	;;#ASMEND
	;;#ASMSTART
	v_dot2_f32_f16 v148, v6, v14, v148
	;;#ASMEND
	;;#ASMSTART
	v_dot2_f32_f16 v148, v7, v15, v148
	;;#ASMEND
	;; [unrolled: 13-line block ×8, first 2 shown]
	;;#ASMSTART
	v_dot2_f32_f16 v151, v32, v8, v151
	;;#ASMEND
	;;#ASMSTART
	v_dot2_f32_f16 v151, v33, v9, v151
	;;#ASMEND
	;; [unrolled: 3-line block ×32, first 2 shown]
	ds_load_b128 v[4:7], v55 offset:16
	ds_load_b128 v[8:11], v49 offset:16
	;; [unrolled: 1-line block ×10, first 2 shown]
	s_wait_dscnt 0x8
	;;#ASMSTART
	v_dot2_f32_f16 v150, v4, v8, v150
	;;#ASMEND
	;;#ASMSTART
	v_dot2_f32_f16 v150, v5, v9, v150
	;;#ASMEND
	;;#ASMSTART
	v_dot2_f32_f16 v150, v6, v10, v150
	;;#ASMEND
	;;#ASMSTART
	v_dot2_f32_f16 v150, v7, v11, v150
	;;#ASMEND
	s_wait_dscnt 0x7
	;;#ASMSTART
	v_dot2_f32_f16 v148, v4, v12, v148
	;;#ASMEND
	;;#ASMSTART
	v_dot2_f32_f16 v148, v5, v13, v148
	;;#ASMEND
	;;#ASMSTART
	v_dot2_f32_f16 v148, v6, v14, v148
	;;#ASMEND
	;;#ASMSTART
	v_dot2_f32_f16 v148, v7, v15, v148
	;;#ASMEND
	s_wait_dscnt 0x6
	;;#ASMSTART
	v_dot2_f32_f16 v146, v4, v24, v146
	;;#ASMEND
	;;#ASMSTART
	v_dot2_f32_f16 v146, v5, v25, v146
	;;#ASMEND
	;;#ASMSTART
	v_dot2_f32_f16 v146, v6, v26, v146
	;;#ASMEND
	;;#ASMSTART
	v_dot2_f32_f16 v146, v7, v27, v146
	;;#ASMEND
	s_wait_dscnt 0x5
	;;#ASMSTART
	v_dot2_f32_f16 v144, v4, v28, v144
	;;#ASMEND
	;;#ASMSTART
	v_dot2_f32_f16 v144, v5, v29, v144
	;;#ASMEND
	;;#ASMSTART
	v_dot2_f32_f16 v144, v6, v30, v144
	;;#ASMEND
	;;#ASMSTART
	v_dot2_f32_f16 v144, v7, v31, v144
	;;#ASMEND
	s_wait_dscnt 0x3
	;;#ASMSTART
	v_dot2_f32_f16 v142, v4, v36, v142
	;;#ASMEND
	;;#ASMSTART
	v_dot2_f32_f16 v142, v5, v37, v142
	;;#ASMEND
	;;#ASMSTART
	v_dot2_f32_f16 v142, v6, v38, v142
	;;#ASMEND
	;;#ASMSTART
	v_dot2_f32_f16 v142, v7, v39, v142
	;;#ASMEND
	s_wait_dscnt 0x2
	;;#ASMSTART
	v_dot2_f32_f16 v140, v4, v40, v140
	;;#ASMEND
	;;#ASMSTART
	v_dot2_f32_f16 v140, v5, v41, v140
	;;#ASMEND
	;;#ASMSTART
	v_dot2_f32_f16 v140, v6, v42, v140
	;;#ASMEND
	;;#ASMSTART
	v_dot2_f32_f16 v140, v7, v43, v140
	;;#ASMEND
	s_wait_dscnt 0x1
	;;#ASMSTART
	v_dot2_f32_f16 v138, v4, v44, v138
	;;#ASMEND
	;;#ASMSTART
	v_dot2_f32_f16 v138, v5, v45, v138
	;;#ASMEND
	;;#ASMSTART
	v_dot2_f32_f16 v138, v6, v46, v138
	;;#ASMEND
	;;#ASMSTART
	v_dot2_f32_f16 v138, v7, v47, v138
	;;#ASMEND
	s_wait_dscnt 0x0
	;;#ASMSTART
	v_dot2_f32_f16 v136, v4, v152, v136
	;;#ASMEND
	;;#ASMSTART
	v_dot2_f32_f16 v136, v5, v153, v136
	;;#ASMEND
	;;#ASMSTART
	v_dot2_f32_f16 v136, v6, v154, v136
	;;#ASMEND
	;;#ASMSTART
	v_dot2_f32_f16 v136, v7, v155, v136
	;;#ASMEND
	;;#ASMSTART
	v_dot2_f32_f16 v151, v32, v8, v151
	;;#ASMEND
	;;#ASMSTART
	v_dot2_f32_f16 v151, v33, v9, v151
	;;#ASMEND
	;; [unrolled: 3-line block ×32, first 2 shown]
	ds_load_b128 v[4:7], v55 offset:32
	ds_load_b128 v[8:11], v49 offset:32
	;; [unrolled: 1-line block ×10, first 2 shown]
	s_wait_dscnt 0x8
	;;#ASMSTART
	v_dot2_f32_f16 v150, v4, v8, v150
	;;#ASMEND
	;;#ASMSTART
	v_dot2_f32_f16 v150, v5, v9, v150
	;;#ASMEND
	;;#ASMSTART
	v_dot2_f32_f16 v150, v6, v10, v150
	;;#ASMEND
	;;#ASMSTART
	v_dot2_f32_f16 v150, v7, v11, v150
	;;#ASMEND
	s_wait_dscnt 0x7
	;;#ASMSTART
	v_dot2_f32_f16 v148, v4, v12, v148
	;;#ASMEND
	;;#ASMSTART
	v_dot2_f32_f16 v148, v5, v13, v148
	;;#ASMEND
	;;#ASMSTART
	v_dot2_f32_f16 v148, v6, v14, v148
	;;#ASMEND
	;;#ASMSTART
	v_dot2_f32_f16 v148, v7, v15, v148
	;;#ASMEND
	;; [unrolled: 13-line block ×8, first 2 shown]
	;;#ASMSTART
	v_dot2_f32_f16 v151, v32, v8, v151
	;;#ASMEND
	;;#ASMSTART
	v_dot2_f32_f16 v151, v33, v9, v151
	;;#ASMEND
	;; [unrolled: 3-line block ×32, first 2 shown]
	ds_load_b128 v[4:7], v55 offset:48
	ds_load_b128 v[8:11], v49 offset:48
	ds_load_b128 v[12:15], v49 offset:304
	ds_load_b128 v[24:27], v49 offset:560
	ds_load_b128 v[28:31], v49 offset:816
	ds_load_b128 v[32:35], v55 offset:4656
	ds_load_b128 v[36:39], v49 offset:1072
	ds_load_b128 v[40:43], v49 offset:1328
	ds_load_b128 v[44:47], v49 offset:1584
	ds_load_b128 v[152:155], v49 offset:1840
	s_wait_dscnt 0x8
	;;#ASMSTART
	v_dot2_f32_f16 v150, v4, v8, v150
	;;#ASMEND
	;;#ASMSTART
	v_dot2_f32_f16 v150, v5, v9, v150
	;;#ASMEND
	;;#ASMSTART
	v_dot2_f32_f16 v150, v6, v10, v150
	;;#ASMEND
	;;#ASMSTART
	v_dot2_f32_f16 v150, v7, v11, v150
	;;#ASMEND
	s_wait_dscnt 0x7
	;;#ASMSTART
	v_dot2_f32_f16 v148, v4, v12, v148
	;;#ASMEND
	;;#ASMSTART
	v_dot2_f32_f16 v148, v5, v13, v148
	;;#ASMEND
	;;#ASMSTART
	v_dot2_f32_f16 v148, v6, v14, v148
	;;#ASMEND
	;;#ASMSTART
	v_dot2_f32_f16 v148, v7, v15, v148
	;;#ASMEND
	s_wait_dscnt 0x6
	;;#ASMSTART
	v_dot2_f32_f16 v146, v4, v24, v146
	;;#ASMEND
	;;#ASMSTART
	v_dot2_f32_f16 v146, v5, v25, v146
	;;#ASMEND
	;;#ASMSTART
	v_dot2_f32_f16 v146, v6, v26, v146
	;;#ASMEND
	;;#ASMSTART
	v_dot2_f32_f16 v146, v7, v27, v146
	;;#ASMEND
	s_wait_dscnt 0x5
	;;#ASMSTART
	v_dot2_f32_f16 v144, v4, v28, v144
	;;#ASMEND
	;;#ASMSTART
	v_dot2_f32_f16 v144, v5, v29, v144
	;;#ASMEND
	;;#ASMSTART
	v_dot2_f32_f16 v144, v6, v30, v144
	;;#ASMEND
	;;#ASMSTART
	v_dot2_f32_f16 v144, v7, v31, v144
	;;#ASMEND
	s_wait_dscnt 0x3
	;;#ASMSTART
	v_dot2_f32_f16 v142, v4, v36, v142
	;;#ASMEND
	;;#ASMSTART
	v_dot2_f32_f16 v142, v5, v37, v142
	;;#ASMEND
	;;#ASMSTART
	v_dot2_f32_f16 v142, v6, v38, v142
	;;#ASMEND
	;;#ASMSTART
	v_dot2_f32_f16 v142, v7, v39, v142
	;;#ASMEND
	s_wait_dscnt 0x2
	;;#ASMSTART
	v_dot2_f32_f16 v140, v4, v40, v140
	;;#ASMEND
	;;#ASMSTART
	v_dot2_f32_f16 v140, v5, v41, v140
	;;#ASMEND
	;;#ASMSTART
	v_dot2_f32_f16 v140, v6, v42, v140
	;;#ASMEND
	;;#ASMSTART
	v_dot2_f32_f16 v140, v7, v43, v140
	;;#ASMEND
	s_wait_dscnt 0x1
	;;#ASMSTART
	v_dot2_f32_f16 v138, v4, v44, v138
	;;#ASMEND
	;;#ASMSTART
	v_dot2_f32_f16 v138, v5, v45, v138
	;;#ASMEND
	;;#ASMSTART
	v_dot2_f32_f16 v138, v6, v46, v138
	;;#ASMEND
	;;#ASMSTART
	v_dot2_f32_f16 v138, v7, v47, v138
	;;#ASMEND
	s_wait_dscnt 0x0
	;;#ASMSTART
	v_dot2_f32_f16 v136, v4, v152, v136
	;;#ASMEND
	;;#ASMSTART
	v_dot2_f32_f16 v136, v5, v153, v136
	;;#ASMEND
	;;#ASMSTART
	v_dot2_f32_f16 v136, v6, v154, v136
	;;#ASMEND
	;;#ASMSTART
	v_dot2_f32_f16 v136, v7, v155, v136
	;;#ASMEND
	;;#ASMSTART
	v_dot2_f32_f16 v151, v32, v8, v151
	;;#ASMEND
	;;#ASMSTART
	v_dot2_f32_f16 v151, v33, v9, v151
	;;#ASMEND
	;; [unrolled: 3-line block ×32, first 2 shown]
	ds_load_b128 v[4:7], v55 offset:64
	ds_load_b128 v[8:11], v49 offset:64
	;; [unrolled: 1-line block ×10, first 2 shown]
	s_wait_dscnt 0x8
	;;#ASMSTART
	v_dot2_f32_f16 v150, v4, v8, v150
	;;#ASMEND
	;;#ASMSTART
	v_dot2_f32_f16 v150, v5, v9, v150
	;;#ASMEND
	;;#ASMSTART
	v_dot2_f32_f16 v150, v6, v10, v150
	;;#ASMEND
	;;#ASMSTART
	v_dot2_f32_f16 v150, v7, v11, v150
	;;#ASMEND
	s_wait_dscnt 0x7
	;;#ASMSTART
	v_dot2_f32_f16 v148, v4, v12, v148
	;;#ASMEND
	;;#ASMSTART
	v_dot2_f32_f16 v148, v5, v13, v148
	;;#ASMEND
	;;#ASMSTART
	v_dot2_f32_f16 v148, v6, v14, v148
	;;#ASMEND
	;;#ASMSTART
	v_dot2_f32_f16 v148, v7, v15, v148
	;;#ASMEND
	;; [unrolled: 13-line block ×8, first 2 shown]
	;;#ASMSTART
	v_dot2_f32_f16 v151, v32, v8, v151
	;;#ASMEND
	;;#ASMSTART
	v_dot2_f32_f16 v151, v33, v9, v151
	;;#ASMEND
	;; [unrolled: 3-line block ×32, first 2 shown]
	ds_load_b128 v[4:7], v55 offset:80
	ds_load_b128 v[8:11], v49 offset:80
	;; [unrolled: 1-line block ×10, first 2 shown]
	s_wait_dscnt 0x8
	;;#ASMSTART
	v_dot2_f32_f16 v150, v4, v8, v150
	;;#ASMEND
	;;#ASMSTART
	v_dot2_f32_f16 v150, v5, v9, v150
	;;#ASMEND
	;;#ASMSTART
	v_dot2_f32_f16 v150, v6, v10, v150
	;;#ASMEND
	;;#ASMSTART
	v_dot2_f32_f16 v150, v7, v11, v150
	;;#ASMEND
	s_wait_dscnt 0x7
	;;#ASMSTART
	v_dot2_f32_f16 v148, v4, v12, v148
	;;#ASMEND
	;;#ASMSTART
	v_dot2_f32_f16 v148, v5, v13, v148
	;;#ASMEND
	;;#ASMSTART
	v_dot2_f32_f16 v148, v6, v14, v148
	;;#ASMEND
	;;#ASMSTART
	v_dot2_f32_f16 v148, v7, v15, v148
	;;#ASMEND
	;; [unrolled: 13-line block ×8, first 2 shown]
	;;#ASMSTART
	v_dot2_f32_f16 v151, v32, v8, v151
	;;#ASMEND
	;;#ASMSTART
	v_dot2_f32_f16 v151, v33, v9, v151
	;;#ASMEND
	;; [unrolled: 3-line block ×32, first 2 shown]
	ds_load_b128 v[4:7], v55 offset:96
	ds_load_b128 v[8:11], v49 offset:96
	;; [unrolled: 1-line block ×10, first 2 shown]
	s_wait_dscnt 0x8
	;;#ASMSTART
	v_dot2_f32_f16 v150, v4, v8, v150
	;;#ASMEND
	;;#ASMSTART
	v_dot2_f32_f16 v150, v5, v9, v150
	;;#ASMEND
	;;#ASMSTART
	v_dot2_f32_f16 v150, v6, v10, v150
	;;#ASMEND
	;;#ASMSTART
	v_dot2_f32_f16 v150, v7, v11, v150
	;;#ASMEND
	s_wait_dscnt 0x7
	;;#ASMSTART
	v_dot2_f32_f16 v148, v4, v12, v148
	;;#ASMEND
	;;#ASMSTART
	v_dot2_f32_f16 v148, v5, v13, v148
	;;#ASMEND
	;;#ASMSTART
	v_dot2_f32_f16 v148, v6, v14, v148
	;;#ASMEND
	;;#ASMSTART
	v_dot2_f32_f16 v148, v7, v15, v148
	;;#ASMEND
	s_wait_dscnt 0x6
	;;#ASMSTART
	v_dot2_f32_f16 v146, v4, v24, v146
	;;#ASMEND
	;;#ASMSTART
	v_dot2_f32_f16 v146, v5, v25, v146
	;;#ASMEND
	;;#ASMSTART
	v_dot2_f32_f16 v146, v6, v26, v146
	;;#ASMEND
	;;#ASMSTART
	v_dot2_f32_f16 v146, v7, v27, v146
	;;#ASMEND
	s_wait_dscnt 0x5
	;;#ASMSTART
	v_dot2_f32_f16 v144, v4, v28, v144
	;;#ASMEND
	;;#ASMSTART
	v_dot2_f32_f16 v144, v5, v29, v144
	;;#ASMEND
	;;#ASMSTART
	v_dot2_f32_f16 v144, v6, v30, v144
	;;#ASMEND
	;;#ASMSTART
	v_dot2_f32_f16 v144, v7, v31, v144
	;;#ASMEND
	s_wait_dscnt 0x3
	;;#ASMSTART
	v_dot2_f32_f16 v142, v4, v36, v142
	;;#ASMEND
	;;#ASMSTART
	v_dot2_f32_f16 v142, v5, v37, v142
	;;#ASMEND
	;;#ASMSTART
	v_dot2_f32_f16 v142, v6, v38, v142
	;;#ASMEND
	;;#ASMSTART
	v_dot2_f32_f16 v142, v7, v39, v142
	;;#ASMEND
	s_wait_dscnt 0x2
	;;#ASMSTART
	v_dot2_f32_f16 v140, v4, v40, v140
	;;#ASMEND
	;;#ASMSTART
	v_dot2_f32_f16 v140, v5, v41, v140
	;;#ASMEND
	;;#ASMSTART
	v_dot2_f32_f16 v140, v6, v42, v140
	;;#ASMEND
	;;#ASMSTART
	v_dot2_f32_f16 v140, v7, v43, v140
	;;#ASMEND
	s_wait_dscnt 0x1
	;;#ASMSTART
	v_dot2_f32_f16 v138, v4, v44, v138
	;;#ASMEND
	;;#ASMSTART
	v_dot2_f32_f16 v138, v5, v45, v138
	;;#ASMEND
	;;#ASMSTART
	v_dot2_f32_f16 v138, v6, v46, v138
	;;#ASMEND
	;;#ASMSTART
	v_dot2_f32_f16 v138, v7, v47, v138
	;;#ASMEND
	s_wait_dscnt 0x0
	;;#ASMSTART
	v_dot2_f32_f16 v136, v4, v152, v136
	;;#ASMEND
	;;#ASMSTART
	v_dot2_f32_f16 v136, v5, v153, v136
	;;#ASMEND
	;;#ASMSTART
	v_dot2_f32_f16 v136, v6, v154, v136
	;;#ASMEND
	;;#ASMSTART
	v_dot2_f32_f16 v136, v7, v155, v136
	;;#ASMEND
	;;#ASMSTART
	v_dot2_f32_f16 v151, v32, v8, v151
	;;#ASMEND
	;;#ASMSTART
	v_dot2_f32_f16 v151, v33, v9, v151
	;;#ASMEND
	;; [unrolled: 3-line block ×32, first 2 shown]
	ds_load_b128 v[4:7], v55 offset:112
	ds_load_b128 v[8:11], v49 offset:112
	;; [unrolled: 1-line block ×10, first 2 shown]
	s_wait_dscnt 0x8
	;;#ASMSTART
	v_dot2_f32_f16 v150, v4, v8, v150
	;;#ASMEND
	;;#ASMSTART
	v_dot2_f32_f16 v150, v5, v9, v150
	;;#ASMEND
	;;#ASMSTART
	v_dot2_f32_f16 v150, v6, v10, v150
	;;#ASMEND
	;;#ASMSTART
	v_dot2_f32_f16 v150, v7, v11, v150
	;;#ASMEND
	s_wait_dscnt 0x7
	;;#ASMSTART
	v_dot2_f32_f16 v148, v4, v12, v148
	;;#ASMEND
	;;#ASMSTART
	v_dot2_f32_f16 v148, v5, v13, v148
	;;#ASMEND
	;;#ASMSTART
	v_dot2_f32_f16 v148, v6, v14, v148
	;;#ASMEND
	;;#ASMSTART
	v_dot2_f32_f16 v148, v7, v15, v148
	;;#ASMEND
	;; [unrolled: 13-line block ×8, first 2 shown]
	;;#ASMSTART
	v_dot2_f32_f16 v151, v32, v8, v151
	;;#ASMEND
	;;#ASMSTART
	v_dot2_f32_f16 v151, v33, v9, v151
	;;#ASMEND
	;; [unrolled: 3-line block ×32, first 2 shown]
	s_barrier_signal -1
	s_barrier_wait -1
	s_clause 0x1
	global_load_b128 v[4:7], v[0:1], off offset:128
	global_load_b128 v[8:11], v[2:3], off offset:128
	s_wait_loadcnt 0x1
	ds_store_b128 v57, v[4:7]
	s_wait_loadcnt 0x0
	ds_store_b128 v59, v[8:11]
	s_wait_dscnt 0x0
	s_barrier_signal -1
	s_barrier_wait -1
	ds_load_b128 v[0:3], v55
	ds_load_b128 v[4:7], v49 offset:128
	ds_load_b128 v[8:11], v49 offset:384
	;; [unrolled: 1-line block ×9, first 2 shown]
	s_wait_dscnt 0x8
	;;#ASMSTART
	v_dot2_f32_f16 v150, v0, v4, v150
	;;#ASMEND
	;;#ASMSTART
	v_dot2_f32_f16 v150, v1, v5, v150
	;;#ASMEND
	;;#ASMSTART
	v_dot2_f32_f16 v150, v2, v6, v150
	;;#ASMEND
	;;#ASMSTART
	v_dot2_f32_f16 v150, v3, v7, v150
	;;#ASMEND
	s_wait_dscnt 0x7
	;;#ASMSTART
	v_dot2_f32_f16 v148, v0, v8, v148
	;;#ASMEND
	;;#ASMSTART
	v_dot2_f32_f16 v148, v1, v9, v148
	;;#ASMEND
	;;#ASMSTART
	v_dot2_f32_f16 v148, v2, v10, v148
	;;#ASMEND
	;;#ASMSTART
	v_dot2_f32_f16 v148, v3, v11, v148
	;;#ASMEND
	;; [unrolled: 13-line block ×8, first 2 shown]
	;;#ASMSTART
	v_dot2_f32_f16 v151, v28, v4, v151
	;;#ASMEND
	;;#ASMSTART
	v_dot2_f32_f16 v151, v29, v5, v151
	;;#ASMEND
	;; [unrolled: 3-line block ×32, first 2 shown]
	ds_load_b128 v[0:3], v55 offset:16
	ds_load_b128 v[4:7], v49 offset:144
	;; [unrolled: 1-line block ×10, first 2 shown]
	s_wait_dscnt 0x8
	;;#ASMSTART
	v_dot2_f32_f16 v150, v0, v4, v150
	;;#ASMEND
	;;#ASMSTART
	v_dot2_f32_f16 v150, v1, v5, v150
	;;#ASMEND
	;;#ASMSTART
	v_dot2_f32_f16 v150, v2, v6, v150
	;;#ASMEND
	;;#ASMSTART
	v_dot2_f32_f16 v150, v3, v7, v150
	;;#ASMEND
	s_wait_dscnt 0x7
	;;#ASMSTART
	v_dot2_f32_f16 v148, v0, v8, v148
	;;#ASMEND
	;;#ASMSTART
	v_dot2_f32_f16 v148, v1, v9, v148
	;;#ASMEND
	;;#ASMSTART
	v_dot2_f32_f16 v148, v2, v10, v148
	;;#ASMEND
	;;#ASMSTART
	v_dot2_f32_f16 v148, v3, v11, v148
	;;#ASMEND
	;; [unrolled: 13-line block ×8, first 2 shown]
	;;#ASMSTART
	v_dot2_f32_f16 v151, v28, v4, v151
	;;#ASMEND
	;;#ASMSTART
	v_dot2_f32_f16 v151, v29, v5, v151
	;;#ASMEND
	;; [unrolled: 3-line block ×32, first 2 shown]
	ds_load_b128 v[0:3], v55 offset:32
	ds_load_b128 v[4:7], v49 offset:160
	;; [unrolled: 1-line block ×10, first 2 shown]
	s_wait_dscnt 0x8
	;;#ASMSTART
	v_dot2_f32_f16 v150, v0, v4, v150
	;;#ASMEND
	;;#ASMSTART
	v_dot2_f32_f16 v150, v1, v5, v150
	;;#ASMEND
	;;#ASMSTART
	v_dot2_f32_f16 v150, v2, v6, v150
	;;#ASMEND
	;;#ASMSTART
	v_dot2_f32_f16 v150, v3, v7, v150
	;;#ASMEND
	s_wait_dscnt 0x7
	;;#ASMSTART
	v_dot2_f32_f16 v148, v0, v8, v148
	;;#ASMEND
	;;#ASMSTART
	v_dot2_f32_f16 v148, v1, v9, v148
	;;#ASMEND
	;;#ASMSTART
	v_dot2_f32_f16 v148, v2, v10, v148
	;;#ASMEND
	;;#ASMSTART
	v_dot2_f32_f16 v148, v3, v11, v148
	;;#ASMEND
	;; [unrolled: 13-line block ×8, first 2 shown]
	;;#ASMSTART
	v_dot2_f32_f16 v151, v28, v4, v151
	;;#ASMEND
	;;#ASMSTART
	v_dot2_f32_f16 v151, v29, v5, v151
	;;#ASMEND
	;; [unrolled: 3-line block ×32, first 2 shown]
	ds_load_b128 v[0:3], v55 offset:48
	ds_load_b128 v[4:7], v49 offset:176
	ds_load_b128 v[8:11], v49 offset:432
	ds_load_b128 v[12:15], v49 offset:688
	ds_load_b128 v[24:27], v49 offset:944
	ds_load_b128 v[28:31], v55 offset:4656
	ds_load_b128 v[32:35], v49 offset:1200
	ds_load_b128 v[36:39], v49 offset:1456
	ds_load_b128 v[40:43], v49 offset:1712
	ds_load_b128 v[44:47], v49 offset:1968
	s_wait_dscnt 0x8
	;;#ASMSTART
	v_dot2_f32_f16 v150, v0, v4, v150
	;;#ASMEND
	;;#ASMSTART
	v_dot2_f32_f16 v150, v1, v5, v150
	;;#ASMEND
	;;#ASMSTART
	v_dot2_f32_f16 v150, v2, v6, v150
	;;#ASMEND
	;;#ASMSTART
	v_dot2_f32_f16 v150, v3, v7, v150
	;;#ASMEND
	s_wait_dscnt 0x7
	;;#ASMSTART
	v_dot2_f32_f16 v148, v0, v8, v148
	;;#ASMEND
	;;#ASMSTART
	v_dot2_f32_f16 v148, v1, v9, v148
	;;#ASMEND
	;;#ASMSTART
	v_dot2_f32_f16 v148, v2, v10, v148
	;;#ASMEND
	;;#ASMSTART
	v_dot2_f32_f16 v148, v3, v11, v148
	;;#ASMEND
	;; [unrolled: 13-line block ×8, first 2 shown]
	;;#ASMSTART
	v_dot2_f32_f16 v151, v28, v4, v151
	;;#ASMEND
	;;#ASMSTART
	v_dot2_f32_f16 v151, v29, v5, v151
	;;#ASMEND
	;;#ASMSTART
	v_dot2_f32_f16 v151, v30, v6, v151
	;;#ASMEND
	;;#ASMSTART
	v_dot2_f32_f16 v151, v31, v7, v151
	;;#ASMEND
	;;#ASMSTART
	v_dot2_f32_f16 v149, v28, v8, v149
	;;#ASMEND
	;;#ASMSTART
	v_dot2_f32_f16 v149, v29, v9, v149
	;;#ASMEND
	;;#ASMSTART
	v_dot2_f32_f16 v149, v30, v10, v149
	;;#ASMEND
	;;#ASMSTART
	v_dot2_f32_f16 v149, v31, v11, v149
	;;#ASMEND
	;;#ASMSTART
	v_dot2_f32_f16 v147, v28, v12, v147
	;;#ASMEND
	;;#ASMSTART
	v_dot2_f32_f16 v147, v29, v13, v147
	;;#ASMEND
	;;#ASMSTART
	v_dot2_f32_f16 v147, v30, v14, v147
	;;#ASMEND
	;;#ASMSTART
	v_dot2_f32_f16 v147, v31, v15, v147
	;;#ASMEND
	;;#ASMSTART
	v_dot2_f32_f16 v145, v28, v24, v145
	;;#ASMEND
	;;#ASMSTART
	v_dot2_f32_f16 v145, v29, v25, v145
	;;#ASMEND
	;;#ASMSTART
	v_dot2_f32_f16 v145, v30, v26, v145
	;;#ASMEND
	;;#ASMSTART
	v_dot2_f32_f16 v145, v31, v27, v145
	;;#ASMEND
	;;#ASMSTART
	v_dot2_f32_f16 v143, v28, v32, v143
	;;#ASMEND
	;;#ASMSTART
	v_dot2_f32_f16 v143, v29, v33, v143
	;;#ASMEND
	;;#ASMSTART
	v_dot2_f32_f16 v143, v30, v34, v143
	;;#ASMEND
	;;#ASMSTART
	v_dot2_f32_f16 v143, v31, v35, v143
	;;#ASMEND
	;;#ASMSTART
	v_dot2_f32_f16 v141, v28, v36, v141
	;;#ASMEND
	;;#ASMSTART
	v_dot2_f32_f16 v141, v29, v37, v141
	;;#ASMEND
	;;#ASMSTART
	v_dot2_f32_f16 v141, v30, v38, v141
	;;#ASMEND
	;;#ASMSTART
	v_dot2_f32_f16 v141, v31, v39, v141
	;;#ASMEND
	;;#ASMSTART
	v_dot2_f32_f16 v139, v28, v40, v139
	;;#ASMEND
	;;#ASMSTART
	v_dot2_f32_f16 v139, v29, v41, v139
	;;#ASMEND
	;;#ASMSTART
	v_dot2_f32_f16 v139, v30, v42, v139
	;;#ASMEND
	;;#ASMSTART
	v_dot2_f32_f16 v139, v31, v43, v139
	;;#ASMEND
	;;#ASMSTART
	v_dot2_f32_f16 v137, v28, v44, v137
	;;#ASMEND
	;;#ASMSTART
	v_dot2_f32_f16 v137, v29, v45, v137
	;;#ASMEND
	;;#ASMSTART
	v_dot2_f32_f16 v137, v30, v46, v137
	;;#ASMEND
	;;#ASMSTART
	v_dot2_f32_f16 v137, v31, v47, v137
	;;#ASMEND
	ds_load_b128 v[0:3], v55 offset:64
	ds_load_b128 v[4:7], v49 offset:192
	;; [unrolled: 1-line block ×10, first 2 shown]
	s_wait_dscnt 0x8
	;;#ASMSTART
	v_dot2_f32_f16 v150, v0, v4, v150
	;;#ASMEND
	;;#ASMSTART
	v_dot2_f32_f16 v150, v1, v5, v150
	;;#ASMEND
	;;#ASMSTART
	v_dot2_f32_f16 v150, v2, v6, v150
	;;#ASMEND
	;;#ASMSTART
	v_dot2_f32_f16 v150, v3, v7, v150
	;;#ASMEND
	s_wait_dscnt 0x7
	;;#ASMSTART
	v_dot2_f32_f16 v148, v0, v8, v148
	;;#ASMEND
	;;#ASMSTART
	v_dot2_f32_f16 v148, v1, v9, v148
	;;#ASMEND
	;;#ASMSTART
	v_dot2_f32_f16 v148, v2, v10, v148
	;;#ASMEND
	;;#ASMSTART
	v_dot2_f32_f16 v148, v3, v11, v148
	;;#ASMEND
	;; [unrolled: 13-line block ×8, first 2 shown]
	;;#ASMSTART
	v_dot2_f32_f16 v151, v28, v4, v151
	;;#ASMEND
	;;#ASMSTART
	v_dot2_f32_f16 v151, v29, v5, v151
	;;#ASMEND
	;; [unrolled: 3-line block ×32, first 2 shown]
	ds_load_b128 v[0:3], v55 offset:80
	ds_load_b128 v[4:7], v49 offset:208
	;; [unrolled: 1-line block ×10, first 2 shown]
	s_wait_dscnt 0x8
	;;#ASMSTART
	v_dot2_f32_f16 v150, v0, v4, v150
	;;#ASMEND
	;;#ASMSTART
	v_dot2_f32_f16 v150, v1, v5, v150
	;;#ASMEND
	;;#ASMSTART
	v_dot2_f32_f16 v150, v2, v6, v150
	;;#ASMEND
	;;#ASMSTART
	v_dot2_f32_f16 v150, v3, v7, v150
	;;#ASMEND
	s_wait_dscnt 0x7
	;;#ASMSTART
	v_dot2_f32_f16 v148, v0, v8, v148
	;;#ASMEND
	;;#ASMSTART
	v_dot2_f32_f16 v148, v1, v9, v148
	;;#ASMEND
	;;#ASMSTART
	v_dot2_f32_f16 v148, v2, v10, v148
	;;#ASMEND
	;;#ASMSTART
	v_dot2_f32_f16 v148, v3, v11, v148
	;;#ASMEND
	;; [unrolled: 13-line block ×8, first 2 shown]
	;;#ASMSTART
	v_dot2_f32_f16 v151, v28, v4, v151
	;;#ASMEND
	;;#ASMSTART
	v_dot2_f32_f16 v151, v29, v5, v151
	;;#ASMEND
	;; [unrolled: 3-line block ×32, first 2 shown]
	ds_load_b128 v[0:3], v55 offset:96
	ds_load_b128 v[4:7], v49 offset:224
	;; [unrolled: 1-line block ×10, first 2 shown]
	s_wait_dscnt 0x8
	;;#ASMSTART
	v_dot2_f32_f16 v150, v0, v4, v150
	;;#ASMEND
	;;#ASMSTART
	v_dot2_f32_f16 v150, v1, v5, v150
	;;#ASMEND
	;;#ASMSTART
	v_dot2_f32_f16 v150, v2, v6, v150
	;;#ASMEND
	;;#ASMSTART
	v_dot2_f32_f16 v150, v3, v7, v150
	;;#ASMEND
	s_wait_dscnt 0x7
	;;#ASMSTART
	v_dot2_f32_f16 v148, v0, v8, v148
	;;#ASMEND
	;;#ASMSTART
	v_dot2_f32_f16 v148, v1, v9, v148
	;;#ASMEND
	;;#ASMSTART
	v_dot2_f32_f16 v148, v2, v10, v148
	;;#ASMEND
	;;#ASMSTART
	v_dot2_f32_f16 v148, v3, v11, v148
	;;#ASMEND
	;; [unrolled: 13-line block ×8, first 2 shown]
	;;#ASMSTART
	v_dot2_f32_f16 v151, v28, v4, v151
	;;#ASMEND
	;;#ASMSTART
	v_dot2_f32_f16 v151, v29, v5, v151
	;;#ASMEND
	;; [unrolled: 3-line block ×32, first 2 shown]
	ds_load_b128 v[4:7], v55 offset:112
	ds_load_b128 v[8:11], v49 offset:240
	;; [unrolled: 1-line block ×10, first 2 shown]
	s_wait_dscnt 0x8
	;;#ASMSTART
	v_dot2_f32_f16 v150, v4, v8, v150
	;;#ASMEND
	;;#ASMSTART
	v_dot2_f32_f16 v150, v5, v9, v150
	;;#ASMEND
	;;#ASMSTART
	v_dot2_f32_f16 v150, v6, v10, v150
	;;#ASMEND
	;;#ASMSTART
	v_dot2_f32_f16 v150, v7, v11, v150
	;;#ASMEND
	s_wait_dscnt 0x7
	;;#ASMSTART
	v_dot2_f32_f16 v148, v4, v12, v148
	;;#ASMEND
	;;#ASMSTART
	v_dot2_f32_f16 v148, v5, v13, v148
	;;#ASMEND
	;;#ASMSTART
	v_dot2_f32_f16 v148, v6, v14, v148
	;;#ASMEND
	;;#ASMSTART
	v_dot2_f32_f16 v148, v7, v15, v148
	;;#ASMEND
	;; [unrolled: 13-line block ×8, first 2 shown]
	;;#ASMSTART
	v_dot2_f32_f16 v151, v0, v8, v151
	;;#ASMEND
	;;#ASMSTART
	v_dot2_f32_f16 v151, v1, v9, v151
	;;#ASMEND
	;; [unrolled: 3-line block ×25, first 2 shown]
	v_cmp_ngt_f32_e64 s35, 0x3f200000, |v150|
	;;#ASMSTART
	v_dot2_f32_f16 v139, v1, v41, v139
	;;#ASMEND
	;;#ASMSTART
	v_dot2_f32_f16 v139, v2, v42, v139
	;;#ASMEND
	;; [unrolled: 3-line block ×7, first 2 shown]
                                        ; implicit-def: $vgpr2
	s_and_saveexec_b32 s38, s35
	s_delay_alu instid0(SALU_CYCLE_1)
	s_xor_b32 s35, exec_lo, s38
	s_cbranch_execz .LBB86_10
; %bb.9:                                ;   in Loop: Header=BB86_8 Depth=1
	v_add_f32_e64 v0, |v150|, |v150|
	s_delay_alu instid0(VALU_DEP_1) | instskip(SKIP_1) | instid1(VALU_DEP_2)
	v_mul_f32_e32 v1, 0x3fb8aa3b, v0
	v_cmp_ngt_f32_e32 vcc_lo, 0xc2ce8ed0, v0
	v_rndne_f32_e32 v2, v1
	v_fma_f32 v3, 0x3fb8aa3b, v0, -v1
	s_delay_alu instid0(VALU_DEP_2) | instskip(NEXT) | instid1(VALU_DEP_2)
	v_sub_f32_e32 v1, v1, v2
	v_fmac_f32_e32 v3, 0x32a5705f, v0
	v_cvt_i32_f32_e32 v2, v2
	s_delay_alu instid0(VALU_DEP_2) | instskip(NEXT) | instid1(VALU_DEP_1)
	v_add_f32_e32 v1, v1, v3
	v_exp_f32_e32 v1, v1
	v_nop
	s_delay_alu instid0(TRANS32_DEP_1) | instskip(NEXT) | instid1(VALU_DEP_1)
	v_ldexp_f32 v1, v1, v2
	v_cndmask_b32_e32 v1, 0, v1, vcc_lo
	v_cmp_nlt_f32_e32 vcc_lo, 0x42b17218, v0
	s_delay_alu instid0(VALU_DEP_2) | instskip(NEXT) | instid1(VALU_DEP_1)
	v_cndmask_b32_e32 v0, 0x7f800000, v1, vcc_lo
	v_add_f32_e32 v0, 1.0, v0
	s_delay_alu instid0(VALU_DEP_1) | instskip(SKIP_1) | instid1(TRANS32_DEP_1)
	v_rcp_f32_e32 v0, v0
	v_nop
	v_fma_f32 v2, v0, -2.0, 1.0
.LBB86_10:                              ;   in Loop: Header=BB86_8 Depth=1
	s_and_not1_saveexec_b32 s35, s35
	s_cbranch_execz .LBB86_12
; %bb.11:                               ;   in Loop: Header=BB86_8 Depth=1
	v_mul_f32_e32 v0, v150, v150
	s_delay_alu instid0(VALU_DEP_1) | instskip(NEXT) | instid1(VALU_DEP_1)
	v_fmaak_f32 v1, s27, v0, 0x3ca908c9
	v_fmaak_f32 v1, v0, v1, 0xbd5c1c4e
	s_delay_alu instid0(VALU_DEP_1) | instskip(NEXT) | instid1(VALU_DEP_1)
	v_fmaak_f32 v1, v0, v1, 0x3e088382
	v_fmaak_f32 v1, v0, v1, 0xbeaaaa99
	s_delay_alu instid0(VALU_DEP_1) | instskip(NEXT) | instid1(VALU_DEP_1)
	v_mul_f32_e64 v1, |v150|, v1
	v_fma_f32 v2, v0, v1, |v150|
.LBB86_12:                              ;   in Loop: Header=BB86_8 Depth=1
	s_or_b32 exec_lo, exec_lo, s35
	v_add_nc_u32_e32 v8, s14, v48
	s_and_not1_b32 vcc_lo, exec_lo, s26
	s_delay_alu instid0(VALU_DEP_1)
	v_add_nc_u32_e32 v1, v8, v53
	s_cbranch_vccnz .LBB86_113
; %bb.13:                               ;   in Loop: Header=BB86_8 Depth=1
	global_load_u16 v0, v1, s[36:37] scale_offset
	s_wait_loadcnt 0x0
	v_cvt_f32_f16_e32 v0, v0
	s_delay_alu instid0(VALU_DEP_1) | instskip(SKIP_2) | instid1(SALU_CYCLE_1)
	v_mul_f32_e32 v0, v100, v0
	v_cmp_ngt_f32_e64 s35, 0x3f200000, |v151|
                                        ; implicit-def: $vgpr3
	s_and_saveexec_b32 s38, s35
	s_xor_b32 s35, exec_lo, s38
	s_cbranch_execz .LBB86_15
.LBB86_14:                              ;   in Loop: Header=BB86_8 Depth=1
	v_add_f32_e64 v3, |v151|, |v151|
	s_delay_alu instid0(VALU_DEP_1) | instskip(SKIP_1) | instid1(VALU_DEP_2)
	v_mul_f32_e32 v4, 0x3fb8aa3b, v3
	v_cmp_ngt_f32_e32 vcc_lo, 0xc2ce8ed0, v3
	v_rndne_f32_e32 v5, v4
	v_fma_f32 v6, 0x3fb8aa3b, v3, -v4
	s_delay_alu instid0(VALU_DEP_2) | instskip(NEXT) | instid1(VALU_DEP_2)
	v_sub_f32_e32 v4, v4, v5
	v_fmac_f32_e32 v6, 0x32a5705f, v3
	v_cvt_i32_f32_e32 v5, v5
	s_delay_alu instid0(VALU_DEP_2) | instskip(NEXT) | instid1(VALU_DEP_1)
	v_add_f32_e32 v4, v4, v6
	v_exp_f32_e32 v4, v4
	v_nop
	s_delay_alu instid0(TRANS32_DEP_1) | instskip(NEXT) | instid1(VALU_DEP_1)
	v_ldexp_f32 v4, v4, v5
	v_cndmask_b32_e32 v4, 0, v4, vcc_lo
	v_cmp_nlt_f32_e32 vcc_lo, 0x42b17218, v3
	s_delay_alu instid0(VALU_DEP_2) | instskip(NEXT) | instid1(VALU_DEP_1)
	v_cndmask_b32_e32 v3, 0x7f800000, v4, vcc_lo
	v_add_f32_e32 v3, 1.0, v3
	s_delay_alu instid0(VALU_DEP_1) | instskip(SKIP_1) | instid1(TRANS32_DEP_1)
	v_rcp_f32_e32 v3, v3
	v_nop
	v_fma_f32 v3, v3, -2.0, 1.0
.LBB86_15:                              ;   in Loop: Header=BB86_8 Depth=1
	s_and_not1_saveexec_b32 s35, s35
	s_cbranch_execz .LBB86_18
; %bb.16:                               ;   in Loop: Header=BB86_8 Depth=1
	v_mul_f32_e32 v3, v151, v151
	s_delay_alu instid0(VALU_DEP_1) | instskip(NEXT) | instid1(VALU_DEP_1)
	v_fmaak_f32 v4, s27, v3, 0x3ca908c9
	v_fmaak_f32 v4, v3, v4, 0xbd5c1c4e
	s_delay_alu instid0(VALU_DEP_1) | instskip(NEXT) | instid1(VALU_DEP_1)
	v_fmaak_f32 v4, v3, v4, 0x3e088382
	v_fmaak_f32 v4, v3, v4, 0xbeaaaa99
	s_delay_alu instid0(VALU_DEP_1) | instskip(NEXT) | instid1(VALU_DEP_1)
	v_mul_f32_e64 v4, |v151|, v4
	v_fma_f32 v3, v3, v4, |v151|
	s_or_b32 exec_lo, exec_lo, s35
	s_delay_alu instid0(SALU_CYCLE_1)
	s_and_not1_b32 vcc_lo, exec_lo, s26
	s_cbranch_vccz .LBB86_19
.LBB86_17:                              ;   in Loop: Header=BB86_8 Depth=1
	v_mov_b32_e32 v1, 0
	s_branch .LBB86_20
.LBB86_18:                              ;   in Loop: Header=BB86_8 Depth=1
	s_or_b32 exec_lo, exec_lo, s35
	s_delay_alu instid0(SALU_CYCLE_1)
	s_and_not1_b32 vcc_lo, exec_lo, s26
	s_cbranch_vccnz .LBB86_17
.LBB86_19:                              ;   in Loop: Header=BB86_8 Depth=1
	global_load_u16 v1, v1, s[36:37] offset:64 scale_offset
	s_wait_loadcnt 0x0
	v_cvt_f32_f16_e32 v1, v1
	s_delay_alu instid0(VALU_DEP_1)
	v_mul_f32_e32 v1, v100, v1
.LBB86_20:                              ;   in Loop: Header=BB86_8 Depth=1
	v_bfi_b32 v2, 0x7fffffff, v2, v150
	v_bfi_b32 v3, 0x7fffffff, v3, v151
	v_xor_b32_e32 v4, 16, v127
	v_cmp_ngt_f32_e64 s35, 0x3f200000, |v148|
                                        ; implicit-def: $vgpr12
	s_delay_alu instid0(VALU_DEP_4) | instskip(NEXT) | instid1(VALU_DEP_3)
	v_dual_fmac_f32 v0, s31, v2 :: v_dual_bitop2_b32 v5, 8, v127 bitop3:0x14
	v_cmp_gt_i32_e32 vcc_lo, 32, v4
	v_fmac_f32_e32 v1, s31, v3
	s_delay_alu instid0(VALU_DEP_3) | instskip(SKIP_1) | instid1(VALU_DEP_3)
	v_add_f32_e32 v3, 0x40051340, v0
	v_cndmask_b32_e32 v2, v127, v4, vcc_lo
	v_add_f32_e32 v4, 0x40051340, v1
	v_cmp_gt_i32_e32 vcc_lo, 32, v5
	s_delay_alu instid0(VALU_DEP_3) | instskip(NEXT) | instid1(VALU_DEP_3)
	v_lshlrev_b32_e32 v2, 2, v2
	v_max3_num_f32 v4, v134, v3, v4
	v_cndmask_b32_e32 v5, v127, v5, vcc_lo
	ds_bpermute_b32 v3, v2, v4
	s_wait_dscnt 0x0
	v_dual_max_num_f32 v6, v3, v3 :: v_dual_lshlrev_b32 v3, 2, v5
	s_delay_alu instid0(VALU_DEP_1) | instskip(NEXT) | instid1(VALU_DEP_1)
	v_dual_max_num_f32 v5, v4, v6 :: v_dual_bitop2_b32 v6, 4, v127 bitop3:0x14
	v_cmp_gt_i32_e32 vcc_lo, 32, v6
	v_cndmask_b32_e32 v6, v127, v6, vcc_lo
	ds_bpermute_b32 v4, v3, v5
	s_wait_dscnt 0x0
	v_dual_max_num_f32 v7, v4, v4 :: v_dual_lshlrev_b32 v4, 2, v6
	s_delay_alu instid0(VALU_DEP_1) | instskip(SKIP_1) | instid1(VALU_DEP_1)
	v_max_num_f32_e32 v5, v5, v7
	v_xor_b32_e32 v7, 2, v127
	v_cmp_gt_i32_e32 vcc_lo, 32, v7
	v_cndmask_b32_e32 v7, v127, v7, vcc_lo
	ds_bpermute_b32 v6, v4, v5
	s_wait_dscnt 0x0
	v_dual_max_num_f32 v9, v6, v6 :: v_dual_lshlrev_b32 v6, 2, v7
	s_delay_alu instid0(VALU_DEP_1) | instskip(SKIP_3) | instid1(VALU_DEP_1)
	v_max_num_f32_e32 v5, v5, v9
	ds_bpermute_b32 v7, v6, v5
	s_wait_dscnt 0x0
	v_max_num_f32_e32 v10, v7, v7
	v_dual_max_num_f32 v10, v5, v10 :: v_dual_bitop2_b32 v9, 1, v127 bitop3:0x14
	s_delay_alu instid0(VALU_DEP_1) | instskip(SKIP_1) | instid1(VALU_DEP_1)
	v_cmp_gt_i32_e32 vcc_lo, 32, v9
	v_cndmask_b32_e32 v9, v127, v9, vcc_lo
	v_lshlrev_b32_e32 v7, 2, v9
	ds_bpermute_b32 v11, v7, v10
	s_and_saveexec_b32 s38, s35
	s_delay_alu instid0(SALU_CYCLE_1)
	s_xor_b32 s35, exec_lo, s38
	s_cbranch_execz .LBB86_28
; %bb.21:                               ;   in Loop: Header=BB86_8 Depth=1
	v_add_f32_e64 v5, |v148|, |v148|
	s_delay_alu instid0(VALU_DEP_1) | instskip(SKIP_1) | instid1(VALU_DEP_2)
	v_mul_f32_e32 v9, 0x3fb8aa3b, v5
	v_cmp_ngt_f32_e32 vcc_lo, 0xc2ce8ed0, v5
	v_rndne_f32_e32 v12, v9
	v_fma_f32 v13, 0x3fb8aa3b, v5, -v9
	s_delay_alu instid0(VALU_DEP_2) | instskip(NEXT) | instid1(VALU_DEP_2)
	v_sub_f32_e32 v9, v9, v12
	v_fmac_f32_e32 v13, 0x32a5705f, v5
	v_cvt_i32_f32_e32 v12, v12
	s_delay_alu instid0(VALU_DEP_2) | instskip(NEXT) | instid1(VALU_DEP_1)
	v_add_f32_e32 v9, v9, v13
	v_exp_f32_e32 v9, v9
	v_nop
	s_delay_alu instid0(TRANS32_DEP_1) | instskip(NEXT) | instid1(VALU_DEP_1)
	v_ldexp_f32 v9, v9, v12
	v_cndmask_b32_e32 v9, 0, v9, vcc_lo
	v_cmp_nlt_f32_e32 vcc_lo, 0x42b17218, v5
	s_delay_alu instid0(VALU_DEP_2) | instskip(NEXT) | instid1(VALU_DEP_1)
	v_cndmask_b32_e32 v5, 0x7f800000, v9, vcc_lo
	v_add_f32_e32 v5, 1.0, v5
	s_delay_alu instid0(VALU_DEP_1) | instskip(SKIP_1) | instid1(TRANS32_DEP_1)
	v_rcp_f32_e32 v5, v5
	v_nop
	v_fma_f32 v12, v5, -2.0, 1.0
	s_and_not1_saveexec_b32 s35, s35
	s_cbranch_execnz .LBB86_29
.LBB86_22:                              ;   in Loop: Header=BB86_8 Depth=1
	s_or_b32 exec_lo, exec_lo, s35
	v_add_nc_u32_e32 v9, v8, v61
	s_and_not1_b32 vcc_lo, exec_lo, s26
	s_cbranch_vccnz .LBB86_30
.LBB86_23:                              ;   in Loop: Header=BB86_8 Depth=1
	global_load_u16 v5, v9, s[36:37] scale_offset
	s_wait_loadcnt 0x0
	v_cvt_f32_f16_e32 v5, v5
	s_delay_alu instid0(VALU_DEP_1) | instskip(SKIP_2) | instid1(SALU_CYCLE_1)
	v_mul_f32_e32 v5, v100, v5
	v_cmp_ngt_f32_e64 s35, 0x3f200000, |v149|
                                        ; implicit-def: $vgpr13
	s_and_saveexec_b32 s38, s35
	s_xor_b32 s35, exec_lo, s38
	s_cbranch_execz .LBB86_25
.LBB86_24:                              ;   in Loop: Header=BB86_8 Depth=1
	v_add_f32_e64 v13, |v149|, |v149|
	s_delay_alu instid0(VALU_DEP_1) | instskip(SKIP_1) | instid1(VALU_DEP_2)
	v_mul_f32_e32 v14, 0x3fb8aa3b, v13
	v_cmp_ngt_f32_e32 vcc_lo, 0xc2ce8ed0, v13
	v_rndne_f32_e32 v15, v14
	v_fma_f32 v24, 0x3fb8aa3b, v13, -v14
	s_delay_alu instid0(VALU_DEP_2) | instskip(NEXT) | instid1(VALU_DEP_2)
	v_sub_f32_e32 v14, v14, v15
	v_fmac_f32_e32 v24, 0x32a5705f, v13
	v_cvt_i32_f32_e32 v15, v15
	s_delay_alu instid0(VALU_DEP_2) | instskip(NEXT) | instid1(VALU_DEP_1)
	v_add_f32_e32 v14, v14, v24
	v_exp_f32_e32 v14, v14
	v_nop
	s_delay_alu instid0(TRANS32_DEP_1) | instskip(NEXT) | instid1(VALU_DEP_1)
	v_ldexp_f32 v14, v14, v15
	v_cndmask_b32_e32 v14, 0, v14, vcc_lo
	v_cmp_nlt_f32_e32 vcc_lo, 0x42b17218, v13
	s_delay_alu instid0(VALU_DEP_2) | instskip(NEXT) | instid1(VALU_DEP_1)
	v_cndmask_b32_e32 v13, 0x7f800000, v14, vcc_lo
	v_add_f32_e32 v13, 1.0, v13
	s_delay_alu instid0(VALU_DEP_1) | instskip(SKIP_1) | instid1(TRANS32_DEP_1)
	v_rcp_f32_e32 v13, v13
	v_nop
	v_fma_f32 v13, v13, -2.0, 1.0
.LBB86_25:                              ;   in Loop: Header=BB86_8 Depth=1
	s_and_not1_saveexec_b32 s35, s35
	s_cbranch_execz .LBB86_31
; %bb.26:                               ;   in Loop: Header=BB86_8 Depth=1
	v_mul_f32_e32 v13, v149, v149
	s_delay_alu instid0(VALU_DEP_1) | instskip(NEXT) | instid1(VALU_DEP_1)
	v_fmaak_f32 v14, s27, v13, 0x3ca908c9
	v_fmaak_f32 v14, v13, v14, 0xbd5c1c4e
	s_delay_alu instid0(VALU_DEP_1) | instskip(NEXT) | instid1(VALU_DEP_1)
	v_fmaak_f32 v14, v13, v14, 0x3e088382
	v_fmaak_f32 v14, v13, v14, 0xbeaaaa99
	s_delay_alu instid0(VALU_DEP_1) | instskip(NEXT) | instid1(VALU_DEP_1)
	v_mul_f32_e64 v14, |v149|, v14
	v_fma_f32 v13, v13, v14, |v149|
	s_or_b32 exec_lo, exec_lo, s35
	s_delay_alu instid0(SALU_CYCLE_1)
	s_and_not1_b32 vcc_lo, exec_lo, s26
	s_cbranch_vccz .LBB86_32
.LBB86_27:                              ;   in Loop: Header=BB86_8 Depth=1
	v_mov_b32_e32 v9, 0
	s_branch .LBB86_33
.LBB86_28:                              ;   in Loop: Header=BB86_8 Depth=1
	s_and_not1_saveexec_b32 s35, s35
	s_cbranch_execz .LBB86_22
.LBB86_29:                              ;   in Loop: Header=BB86_8 Depth=1
	v_mul_f32_e32 v5, v148, v148
	s_delay_alu instid0(VALU_DEP_1) | instskip(NEXT) | instid1(VALU_DEP_1)
	v_fmaak_f32 v9, s27, v5, 0x3ca908c9
	v_fmaak_f32 v9, v5, v9, 0xbd5c1c4e
	s_delay_alu instid0(VALU_DEP_1) | instskip(NEXT) | instid1(VALU_DEP_1)
	v_fmaak_f32 v9, v5, v9, 0x3e088382
	v_fmaak_f32 v9, v5, v9, 0xbeaaaa99
	s_delay_alu instid0(VALU_DEP_1) | instskip(NEXT) | instid1(VALU_DEP_1)
	v_mul_f32_e64 v9, |v148|, v9
	v_fma_f32 v12, v5, v9, |v148|
	s_or_b32 exec_lo, exec_lo, s35
	v_add_nc_u32_e32 v9, v8, v61
	s_and_not1_b32 vcc_lo, exec_lo, s26
	s_cbranch_vccz .LBB86_23
.LBB86_30:                              ;   in Loop: Header=BB86_8 Depth=1
	v_mov_b32_e32 v5, 0
	v_cmp_ngt_f32_e64 s35, 0x3f200000, |v149|
                                        ; implicit-def: $vgpr13
	s_and_saveexec_b32 s38, s35
	s_delay_alu instid0(SALU_CYCLE_1)
	s_xor_b32 s35, exec_lo, s38
	s_cbranch_execz .LBB86_25
	s_branch .LBB86_24
.LBB86_31:                              ;   in Loop: Header=BB86_8 Depth=1
	s_or_b32 exec_lo, exec_lo, s35
	s_delay_alu instid0(SALU_CYCLE_1)
	s_and_not1_b32 vcc_lo, exec_lo, s26
	s_cbranch_vccnz .LBB86_27
.LBB86_32:                              ;   in Loop: Header=BB86_8 Depth=1
	global_load_u16 v9, v9, s[36:37] offset:64 scale_offset
	s_wait_loadcnt 0x0
	v_cvt_f32_f16_e32 v9, v9
	s_delay_alu instid0(VALU_DEP_1)
	v_mul_f32_e32 v9, v100, v9
.LBB86_33:                              ;   in Loop: Header=BB86_8 Depth=1
	v_bfi_b32 v12, 0x7fffffff, v12, v148
	v_bfi_b32 v13, 0x7fffffff, v13, v149
	v_cmp_ngt_f32_e64 s35, 0x3f200000, |v146|
                                        ; implicit-def: $vgpr14
	s_delay_alu instid0(VALU_DEP_3) | instskip(NEXT) | instid1(VALU_DEP_3)
	v_fmac_f32_e32 v5, s31, v12
	v_fmac_f32_e32 v9, s31, v13
	s_delay_alu instid0(VALU_DEP_2) | instskip(NEXT) | instid1(VALU_DEP_2)
	v_add_f32_e32 v12, 0x40051340, v5
	v_add_f32_e32 v13, 0x40051340, v9
	s_delay_alu instid0(VALU_DEP_1) | instskip(SKIP_3) | instid1(VALU_DEP_1)
	v_max3_num_f32 v12, v135, v12, v13
	ds_bpermute_b32 v13, v2, v12
	s_wait_dscnt 0x0
	v_max_num_f32_e32 v13, v13, v13
	v_max_num_f32_e32 v12, v12, v13
	ds_bpermute_b32 v13, v3, v12
	s_wait_dscnt 0x0
	v_max_num_f32_e32 v13, v13, v13
	s_delay_alu instid0(VALU_DEP_1) | instskip(SKIP_3) | instid1(VALU_DEP_1)
	v_max_num_f32_e32 v12, v12, v13
	ds_bpermute_b32 v13, v4, v12
	s_wait_dscnt 0x0
	v_max_num_f32_e32 v13, v13, v13
	v_max_num_f32_e32 v12, v12, v13
	ds_bpermute_b32 v13, v6, v12
	s_wait_dscnt 0x0
	v_max_num_f32_e32 v13, v13, v13
	s_delay_alu instid0(VALU_DEP_1) | instskip(SKIP_2) | instid1(SALU_CYCLE_1)
	v_max_num_f32_e32 v15, v12, v13
	ds_bpermute_b32 v24, v7, v15
	s_and_saveexec_b32 s38, s35
	s_xor_b32 s35, exec_lo, s38
	s_cbranch_execz .LBB86_41
; %bb.34:                               ;   in Loop: Header=BB86_8 Depth=1
	v_add_f32_e64 v12, |v146|, |v146|
	s_delay_alu instid0(VALU_DEP_1) | instskip(SKIP_1) | instid1(VALU_DEP_2)
	v_mul_f32_e32 v13, 0x3fb8aa3b, v12
	v_cmp_ngt_f32_e32 vcc_lo, 0xc2ce8ed0, v12
	v_rndne_f32_e32 v14, v13
	v_fma_f32 v25, 0x3fb8aa3b, v12, -v13
	s_delay_alu instid0(VALU_DEP_2) | instskip(NEXT) | instid1(VALU_DEP_2)
	v_sub_f32_e32 v13, v13, v14
	v_fmac_f32_e32 v25, 0x32a5705f, v12
	v_cvt_i32_f32_e32 v14, v14
	s_delay_alu instid0(VALU_DEP_2) | instskip(NEXT) | instid1(VALU_DEP_1)
	v_add_f32_e32 v13, v13, v25
	v_exp_f32_e32 v13, v13
	v_nop
	s_delay_alu instid0(TRANS32_DEP_1) | instskip(NEXT) | instid1(VALU_DEP_1)
	v_ldexp_f32 v13, v13, v14
	v_cndmask_b32_e32 v13, 0, v13, vcc_lo
	v_cmp_nlt_f32_e32 vcc_lo, 0x42b17218, v12
	s_delay_alu instid0(VALU_DEP_2) | instskip(NEXT) | instid1(VALU_DEP_1)
	v_cndmask_b32_e32 v12, 0x7f800000, v13, vcc_lo
	v_add_f32_e32 v12, 1.0, v12
	s_delay_alu instid0(VALU_DEP_1) | instskip(SKIP_1) | instid1(TRANS32_DEP_1)
	v_rcp_f32_e32 v12, v12
	v_nop
	v_fma_f32 v14, v12, -2.0, 1.0
	s_and_not1_saveexec_b32 s35, s35
	s_cbranch_execnz .LBB86_42
.LBB86_35:                              ;   in Loop: Header=BB86_8 Depth=1
	s_or_b32 exec_lo, exec_lo, s35
	v_add_nc_u32_e32 v13, v8, v63
	s_and_not1_b32 vcc_lo, exec_lo, s26
	s_cbranch_vccnz .LBB86_43
.LBB86_36:                              ;   in Loop: Header=BB86_8 Depth=1
	global_load_u16 v12, v13, s[36:37] scale_offset
	s_wait_loadcnt 0x0
	v_cvt_f32_f16_e32 v12, v12
	s_delay_alu instid0(VALU_DEP_1) | instskip(SKIP_2) | instid1(SALU_CYCLE_1)
	v_mul_f32_e32 v12, v100, v12
	v_cmp_ngt_f32_e64 s35, 0x3f200000, |v147|
                                        ; implicit-def: $vgpr25
	s_and_saveexec_b32 s38, s35
	s_xor_b32 s35, exec_lo, s38
	s_cbranch_execz .LBB86_38
.LBB86_37:                              ;   in Loop: Header=BB86_8 Depth=1
	v_add_f32_e64 v25, |v147|, |v147|
	s_delay_alu instid0(VALU_DEP_1) | instskip(SKIP_1) | instid1(VALU_DEP_2)
	v_mul_f32_e32 v26, 0x3fb8aa3b, v25
	v_cmp_ngt_f32_e32 vcc_lo, 0xc2ce8ed0, v25
	v_rndne_f32_e32 v27, v26
	v_fma_f32 v28, 0x3fb8aa3b, v25, -v26
	s_delay_alu instid0(VALU_DEP_2) | instskip(NEXT) | instid1(VALU_DEP_2)
	v_sub_f32_e32 v26, v26, v27
	v_fmac_f32_e32 v28, 0x32a5705f, v25
	v_cvt_i32_f32_e32 v27, v27
	s_delay_alu instid0(VALU_DEP_2) | instskip(NEXT) | instid1(VALU_DEP_1)
	v_add_f32_e32 v26, v26, v28
	v_exp_f32_e32 v26, v26
	v_nop
	s_delay_alu instid0(TRANS32_DEP_1) | instskip(NEXT) | instid1(VALU_DEP_1)
	v_ldexp_f32 v26, v26, v27
	v_cndmask_b32_e32 v26, 0, v26, vcc_lo
	v_cmp_nlt_f32_e32 vcc_lo, 0x42b17218, v25
	s_delay_alu instid0(VALU_DEP_2) | instskip(NEXT) | instid1(VALU_DEP_1)
	v_cndmask_b32_e32 v25, 0x7f800000, v26, vcc_lo
	v_add_f32_e32 v25, 1.0, v25
	s_delay_alu instid0(VALU_DEP_1) | instskip(SKIP_1) | instid1(TRANS32_DEP_1)
	v_rcp_f32_e32 v25, v25
	v_nop
	v_fma_f32 v25, v25, -2.0, 1.0
.LBB86_38:                              ;   in Loop: Header=BB86_8 Depth=1
	s_and_not1_saveexec_b32 s35, s35
	s_cbranch_execz .LBB86_44
; %bb.39:                               ;   in Loop: Header=BB86_8 Depth=1
	v_mul_f32_e32 v25, v147, v147
	s_delay_alu instid0(VALU_DEP_1) | instskip(NEXT) | instid1(VALU_DEP_1)
	v_fmaak_f32 v26, s27, v25, 0x3ca908c9
	v_fmaak_f32 v26, v25, v26, 0xbd5c1c4e
	s_delay_alu instid0(VALU_DEP_1) | instskip(NEXT) | instid1(VALU_DEP_1)
	v_fmaak_f32 v26, v25, v26, 0x3e088382
	v_fmaak_f32 v26, v25, v26, 0xbeaaaa99
	s_delay_alu instid0(VALU_DEP_1) | instskip(NEXT) | instid1(VALU_DEP_1)
	v_mul_f32_e64 v26, |v147|, v26
	v_fma_f32 v25, v25, v26, |v147|
	s_or_b32 exec_lo, exec_lo, s35
	s_delay_alu instid0(SALU_CYCLE_1)
	s_and_not1_b32 vcc_lo, exec_lo, s26
	s_cbranch_vccz .LBB86_45
.LBB86_40:                              ;   in Loop: Header=BB86_8 Depth=1
	v_mov_b32_e32 v13, 0
	s_branch .LBB86_46
.LBB86_41:                              ;   in Loop: Header=BB86_8 Depth=1
	s_and_not1_saveexec_b32 s35, s35
	s_cbranch_execz .LBB86_35
.LBB86_42:                              ;   in Loop: Header=BB86_8 Depth=1
	v_mul_f32_e32 v12, v146, v146
	s_delay_alu instid0(VALU_DEP_1) | instskip(NEXT) | instid1(VALU_DEP_1)
	v_fmaak_f32 v13, s27, v12, 0x3ca908c9
	v_fmaak_f32 v13, v12, v13, 0xbd5c1c4e
	s_delay_alu instid0(VALU_DEP_1) | instskip(NEXT) | instid1(VALU_DEP_1)
	v_fmaak_f32 v13, v12, v13, 0x3e088382
	v_fmaak_f32 v13, v12, v13, 0xbeaaaa99
	s_delay_alu instid0(VALU_DEP_1) | instskip(NEXT) | instid1(VALU_DEP_1)
	v_mul_f32_e64 v13, |v146|, v13
	v_fma_f32 v14, v12, v13, |v146|
	s_or_b32 exec_lo, exec_lo, s35
	v_add_nc_u32_e32 v13, v8, v63
	s_and_not1_b32 vcc_lo, exec_lo, s26
	s_cbranch_vccz .LBB86_36
.LBB86_43:                              ;   in Loop: Header=BB86_8 Depth=1
	v_mov_b32_e32 v12, 0
	v_cmp_ngt_f32_e64 s35, 0x3f200000, |v147|
                                        ; implicit-def: $vgpr25
	s_and_saveexec_b32 s38, s35
	s_delay_alu instid0(SALU_CYCLE_1)
	s_xor_b32 s35, exec_lo, s38
	s_cbranch_execz .LBB86_38
	s_branch .LBB86_37
.LBB86_44:                              ;   in Loop: Header=BB86_8 Depth=1
	s_or_b32 exec_lo, exec_lo, s35
	s_delay_alu instid0(SALU_CYCLE_1)
	s_and_not1_b32 vcc_lo, exec_lo, s26
	s_cbranch_vccnz .LBB86_40
.LBB86_45:                              ;   in Loop: Header=BB86_8 Depth=1
	global_load_u16 v13, v13, s[36:37] offset:64 scale_offset
	s_wait_loadcnt 0x0
	v_cvt_f32_f16_e32 v13, v13
	s_delay_alu instid0(VALU_DEP_1)
	v_mul_f32_e32 v13, v100, v13
.LBB86_46:                              ;   in Loop: Header=BB86_8 Depth=1
	v_bfi_b32 v14, 0x7fffffff, v14, v146
	v_bfi_b32 v25, 0x7fffffff, v25, v147
	v_cmp_ngt_f32_e64 s35, 0x3f200000, |v144|
                                        ; implicit-def: $vgpr27
	s_delay_alu instid0(VALU_DEP_2) | instskip(NEXT) | instid1(VALU_DEP_1)
	v_dual_fmac_f32 v12, s31, v14 :: v_dual_fmac_f32 v13, s31, v25
	v_dual_add_f32 v14, 0x40051340, v12 :: v_dual_add_f32 v25, 0x40051340, v13
	s_delay_alu instid0(VALU_DEP_1) | instskip(SKIP_3) | instid1(VALU_DEP_1)
	v_max3_num_f32 v14, v133, v14, v25
	ds_bpermute_b32 v25, v2, v14
	s_wait_dscnt 0x0
	v_max_num_f32_e32 v25, v25, v25
	v_max_num_f32_e32 v14, v14, v25
	ds_bpermute_b32 v25, v3, v14
	s_wait_dscnt 0x0
	v_max_num_f32_e32 v25, v25, v25
	s_delay_alu instid0(VALU_DEP_1) | instskip(SKIP_3) | instid1(VALU_DEP_1)
	v_max_num_f32_e32 v14, v14, v25
	ds_bpermute_b32 v25, v4, v14
	s_wait_dscnt 0x0
	v_max_num_f32_e32 v25, v25, v25
	v_max_num_f32_e32 v14, v14, v25
	ds_bpermute_b32 v25, v6, v14
	s_wait_dscnt 0x0
	v_max_num_f32_e32 v25, v25, v25
	s_delay_alu instid0(VALU_DEP_1) | instskip(SKIP_2) | instid1(SALU_CYCLE_1)
	v_max_num_f32_e32 v25, v14, v25
	ds_bpermute_b32 v26, v7, v25
	s_and_saveexec_b32 s38, s35
	s_xor_b32 s35, exec_lo, s38
	s_cbranch_execz .LBB86_54
; %bb.47:                               ;   in Loop: Header=BB86_8 Depth=1
	v_add_f32_e64 v14, |v144|, |v144|
	s_delay_alu instid0(VALU_DEP_1) | instskip(SKIP_1) | instid1(VALU_DEP_2)
	v_mul_f32_e32 v27, 0x3fb8aa3b, v14
	v_cmp_ngt_f32_e32 vcc_lo, 0xc2ce8ed0, v14
	v_rndne_f32_e32 v28, v27
	v_fma_f32 v29, 0x3fb8aa3b, v14, -v27
	s_delay_alu instid0(VALU_DEP_2) | instskip(NEXT) | instid1(VALU_DEP_2)
	v_sub_f32_e32 v27, v27, v28
	v_fmac_f32_e32 v29, 0x32a5705f, v14
	v_cvt_i32_f32_e32 v28, v28
	s_delay_alu instid0(VALU_DEP_2) | instskip(NEXT) | instid1(VALU_DEP_1)
	v_add_f32_e32 v27, v27, v29
	v_exp_f32_e32 v27, v27
	v_nop
	s_delay_alu instid0(TRANS32_DEP_1) | instskip(NEXT) | instid1(VALU_DEP_1)
	v_ldexp_f32 v27, v27, v28
	v_cndmask_b32_e32 v27, 0, v27, vcc_lo
	v_cmp_nlt_f32_e32 vcc_lo, 0x42b17218, v14
	s_delay_alu instid0(VALU_DEP_2) | instskip(NEXT) | instid1(VALU_DEP_1)
	v_cndmask_b32_e32 v14, 0x7f800000, v27, vcc_lo
	v_add_f32_e32 v14, 1.0, v14
	s_delay_alu instid0(VALU_DEP_1) | instskip(SKIP_1) | instid1(TRANS32_DEP_1)
	v_rcp_f32_e32 v14, v14
	v_nop
	v_fma_f32 v27, v14, -2.0, 1.0
	s_and_not1_saveexec_b32 s35, s35
	s_cbranch_execnz .LBB86_55
.LBB86_48:                              ;   in Loop: Header=BB86_8 Depth=1
	s_or_b32 exec_lo, exec_lo, s35
	v_add_nc_u32_e32 v28, v8, v67
	s_and_not1_b32 vcc_lo, exec_lo, s26
	s_cbranch_vccnz .LBB86_56
.LBB86_49:                              ;   in Loop: Header=BB86_8 Depth=1
	global_load_u16 v14, v28, s[36:37] scale_offset
	s_wait_loadcnt 0x0
	v_cvt_f32_f16_e32 v14, v14
	s_delay_alu instid0(VALU_DEP_1) | instskip(SKIP_2) | instid1(SALU_CYCLE_1)
	v_mul_f32_e32 v14, v100, v14
	v_cmp_ngt_f32_e64 s35, 0x3f200000, |v145|
                                        ; implicit-def: $vgpr29
	s_and_saveexec_b32 s38, s35
	s_xor_b32 s35, exec_lo, s38
	s_cbranch_execz .LBB86_51
.LBB86_50:                              ;   in Loop: Header=BB86_8 Depth=1
	v_add_f32_e64 v29, |v145|, |v145|
	s_delay_alu instid0(VALU_DEP_1) | instskip(SKIP_1) | instid1(VALU_DEP_2)
	v_mul_f32_e32 v30, 0x3fb8aa3b, v29
	v_cmp_ngt_f32_e32 vcc_lo, 0xc2ce8ed0, v29
	v_rndne_f32_e32 v31, v30
	v_fma_f32 v32, 0x3fb8aa3b, v29, -v30
	s_delay_alu instid0(VALU_DEP_2) | instskip(NEXT) | instid1(VALU_DEP_2)
	v_sub_f32_e32 v30, v30, v31
	v_fmac_f32_e32 v32, 0x32a5705f, v29
	v_cvt_i32_f32_e32 v31, v31
	s_delay_alu instid0(VALU_DEP_2) | instskip(NEXT) | instid1(VALU_DEP_1)
	v_add_f32_e32 v30, v30, v32
	v_exp_f32_e32 v30, v30
	v_nop
	s_delay_alu instid0(TRANS32_DEP_1) | instskip(NEXT) | instid1(VALU_DEP_1)
	v_ldexp_f32 v30, v30, v31
	v_cndmask_b32_e32 v30, 0, v30, vcc_lo
	v_cmp_nlt_f32_e32 vcc_lo, 0x42b17218, v29
	s_delay_alu instid0(VALU_DEP_2) | instskip(NEXT) | instid1(VALU_DEP_1)
	v_cndmask_b32_e32 v29, 0x7f800000, v30, vcc_lo
	v_add_f32_e32 v29, 1.0, v29
	s_delay_alu instid0(VALU_DEP_1) | instskip(SKIP_1) | instid1(TRANS32_DEP_1)
	v_rcp_f32_e32 v29, v29
	v_nop
	v_fma_f32 v29, v29, -2.0, 1.0
.LBB86_51:                              ;   in Loop: Header=BB86_8 Depth=1
	s_and_not1_saveexec_b32 s35, s35
	s_cbranch_execz .LBB86_57
; %bb.52:                               ;   in Loop: Header=BB86_8 Depth=1
	v_mul_f32_e32 v29, v145, v145
	s_delay_alu instid0(VALU_DEP_1) | instskip(NEXT) | instid1(VALU_DEP_1)
	v_fmaak_f32 v30, s27, v29, 0x3ca908c9
	v_fmaak_f32 v30, v29, v30, 0xbd5c1c4e
	s_delay_alu instid0(VALU_DEP_1) | instskip(NEXT) | instid1(VALU_DEP_1)
	v_fmaak_f32 v30, v29, v30, 0x3e088382
	v_fmaak_f32 v30, v29, v30, 0xbeaaaa99
	s_delay_alu instid0(VALU_DEP_1) | instskip(NEXT) | instid1(VALU_DEP_1)
	v_mul_f32_e64 v30, |v145|, v30
	v_fma_f32 v29, v29, v30, |v145|
	s_or_b32 exec_lo, exec_lo, s35
	s_delay_alu instid0(SALU_CYCLE_1)
	s_and_not1_b32 vcc_lo, exec_lo, s26
	s_cbranch_vccz .LBB86_58
.LBB86_53:                              ;   in Loop: Header=BB86_8 Depth=1
	v_mov_b32_e32 v32, 0
	s_branch .LBB86_59
.LBB86_54:                              ;   in Loop: Header=BB86_8 Depth=1
	s_and_not1_saveexec_b32 s35, s35
	s_cbranch_execz .LBB86_48
.LBB86_55:                              ;   in Loop: Header=BB86_8 Depth=1
	v_mul_f32_e32 v14, v144, v144
	s_delay_alu instid0(VALU_DEP_1) | instskip(NEXT) | instid1(VALU_DEP_1)
	v_fmaak_f32 v27, s27, v14, 0x3ca908c9
	v_fmaak_f32 v27, v14, v27, 0xbd5c1c4e
	s_delay_alu instid0(VALU_DEP_1) | instskip(NEXT) | instid1(VALU_DEP_1)
	v_fmaak_f32 v27, v14, v27, 0x3e088382
	v_fmaak_f32 v27, v14, v27, 0xbeaaaa99
	s_delay_alu instid0(VALU_DEP_1) | instskip(NEXT) | instid1(VALU_DEP_1)
	v_mul_f32_e64 v27, |v144|, v27
	v_fma_f32 v27, v14, v27, |v144|
	s_or_b32 exec_lo, exec_lo, s35
	v_add_nc_u32_e32 v28, v8, v67
	s_and_not1_b32 vcc_lo, exec_lo, s26
	s_cbranch_vccz .LBB86_49
.LBB86_56:                              ;   in Loop: Header=BB86_8 Depth=1
	v_mov_b32_e32 v14, 0
	v_cmp_ngt_f32_e64 s35, 0x3f200000, |v145|
                                        ; implicit-def: $vgpr29
	s_and_saveexec_b32 s38, s35
	s_delay_alu instid0(SALU_CYCLE_1)
	s_xor_b32 s35, exec_lo, s38
	s_cbranch_execz .LBB86_51
	s_branch .LBB86_50
.LBB86_57:                              ;   in Loop: Header=BB86_8 Depth=1
	s_or_b32 exec_lo, exec_lo, s35
	s_delay_alu instid0(SALU_CYCLE_1)
	s_and_not1_b32 vcc_lo, exec_lo, s26
	s_cbranch_vccnz .LBB86_53
.LBB86_58:                              ;   in Loop: Header=BB86_8 Depth=1
	global_load_u16 v28, v28, s[36:37] offset:64 scale_offset
	s_wait_loadcnt 0x0
	v_cvt_f32_f16_e32 v28, v28
	s_delay_alu instid0(VALU_DEP_1)
	v_mul_f32_e32 v32, v100, v28
.LBB86_59:                              ;   in Loop: Header=BB86_8 Depth=1
	v_bfi_b32 v27, 0x7fffffff, v27, v144
	v_bfi_b32 v28, 0x7fffffff, v29, v145
	v_cmp_ngt_f32_e64 s35, 0x3f200000, |v142|
	s_delay_alu instid0(VALU_DEP_2) | instskip(NEXT) | instid1(VALU_DEP_1)
	v_dual_fmac_f32 v14, s31, v27 :: v_dual_fmac_f32 v32, s31, v28
	v_dual_add_f32 v27, 0x40051340, v14 :: v_dual_add_f32 v28, 0x40051340, v32
	s_delay_alu instid0(VALU_DEP_1) | instskip(SKIP_3) | instid1(VALU_DEP_1)
	v_max3_num_f32 v27, v132, v27, v28
	ds_bpermute_b32 v28, v2, v27
	s_wait_dscnt 0x0
	v_max_num_f32_e32 v28, v28, v28
	v_max_num_f32_e32 v27, v27, v28
	ds_bpermute_b32 v28, v3, v27
	s_wait_dscnt 0x0
	v_max_num_f32_e32 v28, v28, v28
	s_delay_alu instid0(VALU_DEP_1) | instskip(SKIP_3) | instid1(VALU_DEP_1)
	v_max_num_f32_e32 v27, v27, v28
	ds_bpermute_b32 v28, v4, v27
	s_wait_dscnt 0x0
	v_max_num_f32_e32 v28, v28, v28
	v_max_num_f32_e32 v27, v27, v28
	ds_bpermute_b32 v28, v6, v27
	s_wait_dscnt 0x0
	v_max_num_f32_e32 v28, v28, v28
	s_delay_alu instid0(VALU_DEP_1) | instskip(SKIP_2) | instid1(SALU_CYCLE_1)
	v_max_num_f32_e32 v27, v27, v28
                                        ; implicit-def: $vgpr28
	ds_bpermute_b32 v31, v7, v27
	s_and_saveexec_b32 s38, s35
	s_xor_b32 s35, exec_lo, s38
	s_cbranch_execz .LBB86_67
; %bb.60:                               ;   in Loop: Header=BB86_8 Depth=1
	v_add_f32_e64 v28, |v142|, |v142|
	s_delay_alu instid0(VALU_DEP_1) | instskip(SKIP_1) | instid1(VALU_DEP_2)
	v_mul_f32_e32 v29, 0x3fb8aa3b, v28
	v_cmp_ngt_f32_e32 vcc_lo, 0xc2ce8ed0, v28
	v_rndne_f32_e32 v30, v29
	v_fma_f32 v33, 0x3fb8aa3b, v28, -v29
	s_delay_alu instid0(VALU_DEP_2) | instskip(NEXT) | instid1(VALU_DEP_2)
	v_sub_f32_e32 v29, v29, v30
	v_fmac_f32_e32 v33, 0x32a5705f, v28
	v_cvt_i32_f32_e32 v30, v30
	s_delay_alu instid0(VALU_DEP_2) | instskip(NEXT) | instid1(VALU_DEP_1)
	v_add_f32_e32 v29, v29, v33
	v_exp_f32_e32 v29, v29
	v_nop
	s_delay_alu instid0(TRANS32_DEP_1) | instskip(NEXT) | instid1(VALU_DEP_1)
	v_ldexp_f32 v29, v29, v30
	v_cndmask_b32_e32 v29, 0, v29, vcc_lo
	v_cmp_nlt_f32_e32 vcc_lo, 0x42b17218, v28
	s_delay_alu instid0(VALU_DEP_2) | instskip(NEXT) | instid1(VALU_DEP_1)
	v_cndmask_b32_e32 v28, 0x7f800000, v29, vcc_lo
	v_add_f32_e32 v28, 1.0, v28
	s_delay_alu instid0(VALU_DEP_1) | instskip(SKIP_1) | instid1(TRANS32_DEP_1)
	v_rcp_f32_e32 v28, v28
	v_nop
	v_fma_f32 v28, v28, -2.0, 1.0
	s_and_not1_saveexec_b32 s35, s35
	s_cbranch_execnz .LBB86_68
.LBB86_61:                              ;   in Loop: Header=BB86_8 Depth=1
	s_or_b32 exec_lo, exec_lo, s35
	v_add_nc_u32_e32 v29, v8, v118
	s_and_not1_b32 vcc_lo, exec_lo, s26
	s_cbranch_vccnz .LBB86_69
.LBB86_62:                              ;   in Loop: Header=BB86_8 Depth=1
	global_load_u16 v30, v29, s[36:37] scale_offset
	s_wait_loadcnt 0x0
	v_cvt_f32_f16_e32 v30, v30
	s_delay_alu instid0(VALU_DEP_1) | instskip(SKIP_2) | instid1(SALU_CYCLE_1)
	v_mul_f32_e32 v33, v100, v30
	v_cmp_ngt_f32_e64 s35, 0x3f200000, |v143|
                                        ; implicit-def: $vgpr30
	s_and_saveexec_b32 s38, s35
	s_xor_b32 s35, exec_lo, s38
	s_cbranch_execz .LBB86_64
.LBB86_63:                              ;   in Loop: Header=BB86_8 Depth=1
	v_add_f32_e64 v30, |v143|, |v143|
	s_delay_alu instid0(VALU_DEP_1) | instskip(SKIP_1) | instid1(VALU_DEP_2)
	v_mul_f32_e32 v34, 0x3fb8aa3b, v30
	v_cmp_ngt_f32_e32 vcc_lo, 0xc2ce8ed0, v30
	v_rndne_f32_e32 v35, v34
	v_fma_f32 v36, 0x3fb8aa3b, v30, -v34
	s_delay_alu instid0(VALU_DEP_2) | instskip(NEXT) | instid1(VALU_DEP_2)
	v_sub_f32_e32 v34, v34, v35
	v_fmac_f32_e32 v36, 0x32a5705f, v30
	v_cvt_i32_f32_e32 v35, v35
	s_delay_alu instid0(VALU_DEP_2) | instskip(NEXT) | instid1(VALU_DEP_1)
	v_add_f32_e32 v34, v34, v36
	v_exp_f32_e32 v34, v34
	v_nop
	s_delay_alu instid0(TRANS32_DEP_1) | instskip(NEXT) | instid1(VALU_DEP_1)
	v_ldexp_f32 v34, v34, v35
	v_cndmask_b32_e32 v34, 0, v34, vcc_lo
	v_cmp_nlt_f32_e32 vcc_lo, 0x42b17218, v30
	s_delay_alu instid0(VALU_DEP_2) | instskip(NEXT) | instid1(VALU_DEP_1)
	v_cndmask_b32_e32 v30, 0x7f800000, v34, vcc_lo
	v_add_f32_e32 v30, 1.0, v30
	s_delay_alu instid0(VALU_DEP_1) | instskip(SKIP_1) | instid1(TRANS32_DEP_1)
	v_rcp_f32_e32 v30, v30
	v_nop
	v_fma_f32 v30, v30, -2.0, 1.0
.LBB86_64:                              ;   in Loop: Header=BB86_8 Depth=1
	s_and_not1_saveexec_b32 s35, s35
	s_cbranch_execz .LBB86_70
; %bb.65:                               ;   in Loop: Header=BB86_8 Depth=1
	v_mul_f32_e32 v30, v143, v143
	s_delay_alu instid0(VALU_DEP_1) | instskip(NEXT) | instid1(VALU_DEP_1)
	v_fmaak_f32 v34, s27, v30, 0x3ca908c9
	v_fmaak_f32 v34, v30, v34, 0xbd5c1c4e
	s_delay_alu instid0(VALU_DEP_1) | instskip(NEXT) | instid1(VALU_DEP_1)
	v_fmaak_f32 v34, v30, v34, 0x3e088382
	v_fmaak_f32 v34, v30, v34, 0xbeaaaa99
	s_delay_alu instid0(VALU_DEP_1) | instskip(NEXT) | instid1(VALU_DEP_1)
	v_mul_f32_e64 v34, |v143|, v34
	v_fma_f32 v30, v30, v34, |v143|
	s_or_b32 exec_lo, exec_lo, s35
	s_delay_alu instid0(SALU_CYCLE_1)
	s_and_not1_b32 vcc_lo, exec_lo, s26
	s_cbranch_vccz .LBB86_71
.LBB86_66:                              ;   in Loop: Header=BB86_8 Depth=1
	v_mov_b32_e32 v34, 0
	s_branch .LBB86_72
.LBB86_67:                              ;   in Loop: Header=BB86_8 Depth=1
	s_and_not1_saveexec_b32 s35, s35
	s_cbranch_execz .LBB86_61
.LBB86_68:                              ;   in Loop: Header=BB86_8 Depth=1
	v_mul_f32_e32 v28, v142, v142
	s_delay_alu instid0(VALU_DEP_1) | instskip(NEXT) | instid1(VALU_DEP_1)
	v_fmaak_f32 v29, s27, v28, 0x3ca908c9
	v_fmaak_f32 v29, v28, v29, 0xbd5c1c4e
	s_delay_alu instid0(VALU_DEP_1) | instskip(NEXT) | instid1(VALU_DEP_1)
	v_fmaak_f32 v29, v28, v29, 0x3e088382
	v_fmaak_f32 v29, v28, v29, 0xbeaaaa99
	s_delay_alu instid0(VALU_DEP_1) | instskip(NEXT) | instid1(VALU_DEP_1)
	v_mul_f32_e64 v29, |v142|, v29
	v_fma_f32 v28, v28, v29, |v142|
	s_or_b32 exec_lo, exec_lo, s35
	v_add_nc_u32_e32 v29, v8, v118
	s_and_not1_b32 vcc_lo, exec_lo, s26
	s_cbranch_vccz .LBB86_62
.LBB86_69:                              ;   in Loop: Header=BB86_8 Depth=1
	v_mov_b32_e32 v33, 0
	v_cmp_ngt_f32_e64 s35, 0x3f200000, |v143|
                                        ; implicit-def: $vgpr30
	s_and_saveexec_b32 s38, s35
	s_delay_alu instid0(SALU_CYCLE_1)
	s_xor_b32 s35, exec_lo, s38
	s_cbranch_execz .LBB86_64
	s_branch .LBB86_63
.LBB86_70:                              ;   in Loop: Header=BB86_8 Depth=1
	s_or_b32 exec_lo, exec_lo, s35
	s_delay_alu instid0(SALU_CYCLE_1)
	s_and_not1_b32 vcc_lo, exec_lo, s26
	s_cbranch_vccnz .LBB86_66
.LBB86_71:                              ;   in Loop: Header=BB86_8 Depth=1
	global_load_u16 v29, v29, s[36:37] offset:64 scale_offset
	s_wait_loadcnt 0x0
	v_cvt_f32_f16_e32 v29, v29
	s_delay_alu instid0(VALU_DEP_1)
	v_mul_f32_e32 v34, v100, v29
.LBB86_72:                              ;   in Loop: Header=BB86_8 Depth=1
	v_bfi_b32 v28, 0x7fffffff, v28, v142
	v_bfi_b32 v29, 0x7fffffff, v30, v143
	v_cmp_ngt_f32_e64 s35, 0x3f200000, |v140|
	s_delay_alu instid0(VALU_DEP_2) | instskip(NEXT) | instid1(VALU_DEP_1)
	v_dual_fmac_f32 v33, s31, v28 :: v_dual_fmac_f32 v34, s31, v29
	v_dual_add_f32 v28, 0x40051340, v33 :: v_dual_add_f32 v29, 0x40051340, v34
	s_delay_alu instid0(VALU_DEP_1) | instskip(SKIP_3) | instid1(VALU_DEP_1)
	v_max3_num_f32 v28, v131, v28, v29
	ds_bpermute_b32 v29, v2, v28
	s_wait_dscnt 0x0
	v_max_num_f32_e32 v29, v29, v29
	v_max_num_f32_e32 v28, v28, v29
	ds_bpermute_b32 v29, v3, v28
	s_wait_dscnt 0x0
	v_max_num_f32_e32 v29, v29, v29
	s_delay_alu instid0(VALU_DEP_1) | instskip(SKIP_3) | instid1(VALU_DEP_1)
	v_max_num_f32_e32 v28, v28, v29
	ds_bpermute_b32 v29, v4, v28
	s_wait_dscnt 0x0
	v_max_num_f32_e32 v29, v29, v29
	v_max_num_f32_e32 v28, v28, v29
	ds_bpermute_b32 v29, v6, v28
	s_wait_dscnt 0x0
	v_max_num_f32_e32 v29, v29, v29
	s_delay_alu instid0(VALU_DEP_1) | instskip(SKIP_2) | instid1(SALU_CYCLE_1)
	v_max_num_f32_e32 v28, v28, v29
                                        ; implicit-def: $vgpr29
	ds_bpermute_b32 v41, v7, v28
	s_and_saveexec_b32 s38, s35
	s_xor_b32 s35, exec_lo, s38
	s_cbranch_execz .LBB86_80
; %bb.73:                               ;   in Loop: Header=BB86_8 Depth=1
	v_add_f32_e64 v29, |v140|, |v140|
	s_delay_alu instid0(VALU_DEP_1) | instskip(SKIP_1) | instid1(VALU_DEP_2)
	v_mul_f32_e32 v30, 0x3fb8aa3b, v29
	v_cmp_ngt_f32_e32 vcc_lo, 0xc2ce8ed0, v29
	v_rndne_f32_e32 v35, v30
	v_fma_f32 v36, 0x3fb8aa3b, v29, -v30
	s_delay_alu instid0(VALU_DEP_2) | instskip(NEXT) | instid1(VALU_DEP_2)
	v_sub_f32_e32 v30, v30, v35
	v_fmac_f32_e32 v36, 0x32a5705f, v29
	v_cvt_i32_f32_e32 v35, v35
	s_delay_alu instid0(VALU_DEP_2) | instskip(NEXT) | instid1(VALU_DEP_1)
	v_add_f32_e32 v30, v30, v36
	v_exp_f32_e32 v30, v30
	v_nop
	s_delay_alu instid0(TRANS32_DEP_1) | instskip(NEXT) | instid1(VALU_DEP_1)
	v_ldexp_f32 v30, v30, v35
	v_cndmask_b32_e32 v30, 0, v30, vcc_lo
	v_cmp_nlt_f32_e32 vcc_lo, 0x42b17218, v29
	s_delay_alu instid0(VALU_DEP_2) | instskip(NEXT) | instid1(VALU_DEP_1)
	v_cndmask_b32_e32 v29, 0x7f800000, v30, vcc_lo
	v_add_f32_e32 v29, 1.0, v29
	s_delay_alu instid0(VALU_DEP_1) | instskip(SKIP_1) | instid1(TRANS32_DEP_1)
	v_rcp_f32_e32 v29, v29
	v_nop
	v_fma_f32 v29, v29, -2.0, 1.0
	s_and_not1_saveexec_b32 s35, s35
	s_cbranch_execnz .LBB86_81
.LBB86_74:                              ;   in Loop: Header=BB86_8 Depth=1
	s_or_b32 exec_lo, exec_lo, s35
	v_add_nc_u32_e32 v30, v8, v119
	s_and_not1_b32 vcc_lo, exec_lo, s26
	s_cbranch_vccnz .LBB86_82
.LBB86_75:                              ;   in Loop: Header=BB86_8 Depth=1
	global_load_u16 v35, v30, s[36:37] scale_offset
	s_wait_loadcnt 0x0
	v_cvt_f32_f16_e32 v35, v35
	s_delay_alu instid0(VALU_DEP_1) | instskip(SKIP_2) | instid1(SALU_CYCLE_1)
	v_mul_f32_e32 v35, v100, v35
	v_cmp_ngt_f32_e64 s35, 0x3f200000, |v141|
                                        ; implicit-def: $vgpr37
	s_and_saveexec_b32 s38, s35
	s_xor_b32 s35, exec_lo, s38
	s_cbranch_execz .LBB86_77
.LBB86_76:                              ;   in Loop: Header=BB86_8 Depth=1
	v_add_f32_e64 v36, |v141|, |v141|
	s_delay_alu instid0(VALU_DEP_1) | instskip(SKIP_1) | instid1(VALU_DEP_2)
	v_mul_f32_e32 v37, 0x3fb8aa3b, v36
	v_cmp_ngt_f32_e32 vcc_lo, 0xc2ce8ed0, v36
	v_rndne_f32_e32 v38, v37
	v_fma_f32 v39, 0x3fb8aa3b, v36, -v37
	s_delay_alu instid0(VALU_DEP_2) | instskip(NEXT) | instid1(VALU_DEP_2)
	v_sub_f32_e32 v37, v37, v38
	v_fmac_f32_e32 v39, 0x32a5705f, v36
	v_cvt_i32_f32_e32 v38, v38
	s_delay_alu instid0(VALU_DEP_2) | instskip(NEXT) | instid1(VALU_DEP_1)
	v_add_f32_e32 v37, v37, v39
	v_exp_f32_e32 v37, v37
	v_nop
	s_delay_alu instid0(TRANS32_DEP_1) | instskip(NEXT) | instid1(VALU_DEP_1)
	v_ldexp_f32 v37, v37, v38
	v_cndmask_b32_e32 v37, 0, v37, vcc_lo
	v_cmp_nlt_f32_e32 vcc_lo, 0x42b17218, v36
	s_delay_alu instid0(VALU_DEP_2) | instskip(NEXT) | instid1(VALU_DEP_1)
	v_cndmask_b32_e32 v36, 0x7f800000, v37, vcc_lo
	v_add_f32_e32 v36, 1.0, v36
	s_delay_alu instid0(VALU_DEP_1) | instskip(SKIP_1) | instid1(TRANS32_DEP_1)
	v_rcp_f32_e32 v36, v36
	v_nop
	v_fma_f32 v37, v36, -2.0, 1.0
.LBB86_77:                              ;   in Loop: Header=BB86_8 Depth=1
	s_and_not1_saveexec_b32 s35, s35
	s_cbranch_execz .LBB86_83
; %bb.78:                               ;   in Loop: Header=BB86_8 Depth=1
	v_mul_f32_e32 v36, v141, v141
	s_delay_alu instid0(VALU_DEP_1) | instskip(NEXT) | instid1(VALU_DEP_1)
	v_fmaak_f32 v37, s27, v36, 0x3ca908c9
	v_fmaak_f32 v37, v36, v37, 0xbd5c1c4e
	s_delay_alu instid0(VALU_DEP_1) | instskip(NEXT) | instid1(VALU_DEP_1)
	v_fmaak_f32 v37, v36, v37, 0x3e088382
	v_fmaak_f32 v37, v36, v37, 0xbeaaaa99
	s_delay_alu instid0(VALU_DEP_1) | instskip(NEXT) | instid1(VALU_DEP_1)
	v_mul_f32_e64 v37, |v141|, v37
	v_fma_f32 v37, v36, v37, |v141|
	s_or_b32 exec_lo, exec_lo, s35
	s_delay_alu instid0(SALU_CYCLE_1)
	s_and_not1_b32 vcc_lo, exec_lo, s26
	s_cbranch_vccz .LBB86_84
.LBB86_79:                              ;   in Loop: Header=BB86_8 Depth=1
	v_mov_b32_e32 v36, 0
	s_branch .LBB86_85
.LBB86_80:                              ;   in Loop: Header=BB86_8 Depth=1
	s_and_not1_saveexec_b32 s35, s35
	s_cbranch_execz .LBB86_74
.LBB86_81:                              ;   in Loop: Header=BB86_8 Depth=1
	v_mul_f32_e32 v29, v140, v140
	s_delay_alu instid0(VALU_DEP_1) | instskip(NEXT) | instid1(VALU_DEP_1)
	v_fmaak_f32 v30, s27, v29, 0x3ca908c9
	v_fmaak_f32 v30, v29, v30, 0xbd5c1c4e
	s_delay_alu instid0(VALU_DEP_1) | instskip(NEXT) | instid1(VALU_DEP_1)
	v_fmaak_f32 v30, v29, v30, 0x3e088382
	v_fmaak_f32 v30, v29, v30, 0xbeaaaa99
	s_delay_alu instid0(VALU_DEP_1) | instskip(NEXT) | instid1(VALU_DEP_1)
	v_mul_f32_e64 v30, |v140|, v30
	v_fma_f32 v29, v29, v30, |v140|
	s_or_b32 exec_lo, exec_lo, s35
	v_add_nc_u32_e32 v30, v8, v119
	s_and_not1_b32 vcc_lo, exec_lo, s26
	s_cbranch_vccz .LBB86_75
.LBB86_82:                              ;   in Loop: Header=BB86_8 Depth=1
	v_mov_b32_e32 v35, 0
	v_cmp_ngt_f32_e64 s35, 0x3f200000, |v141|
                                        ; implicit-def: $vgpr37
	s_and_saveexec_b32 s38, s35
	s_delay_alu instid0(SALU_CYCLE_1)
	s_xor_b32 s35, exec_lo, s38
	s_cbranch_execz .LBB86_77
	s_branch .LBB86_76
.LBB86_83:                              ;   in Loop: Header=BB86_8 Depth=1
	s_or_b32 exec_lo, exec_lo, s35
	s_delay_alu instid0(SALU_CYCLE_1)
	s_and_not1_b32 vcc_lo, exec_lo, s26
	s_cbranch_vccnz .LBB86_79
.LBB86_84:                              ;   in Loop: Header=BB86_8 Depth=1
	global_load_u16 v30, v30, s[36:37] offset:64 scale_offset
	s_wait_loadcnt 0x0
	v_cvt_f32_f16_e32 v30, v30
	s_delay_alu instid0(VALU_DEP_1)
	v_mul_f32_e32 v36, v100, v30
.LBB86_85:                              ;   in Loop: Header=BB86_8 Depth=1
	v_bfi_b32 v29, 0x7fffffff, v29, v140
	v_bfi_b32 v30, 0x7fffffff, v37, v141
	v_cmp_ngt_f32_e64 s35, 0x3f200000, |v138|
	s_delay_alu instid0(VALU_DEP_2) | instskip(NEXT) | instid1(VALU_DEP_1)
	v_dual_fmac_f32 v35, s31, v29 :: v_dual_fmac_f32 v36, s31, v30
	v_dual_add_f32 v29, 0x40051340, v35 :: v_dual_add_f32 v30, 0x40051340, v36
	s_delay_alu instid0(VALU_DEP_1) | instskip(SKIP_3) | instid1(VALU_DEP_1)
	v_max3_num_f32 v29, v130, v29, v30
	ds_bpermute_b32 v30, v2, v29
	s_wait_dscnt 0x0
	v_max_num_f32_e32 v30, v30, v30
	v_max_num_f32_e32 v29, v29, v30
	ds_bpermute_b32 v30, v3, v29
	s_wait_dscnt 0x0
	v_max_num_f32_e32 v30, v30, v30
	s_delay_alu instid0(VALU_DEP_1) | instskip(SKIP_3) | instid1(VALU_DEP_1)
	v_max_num_f32_e32 v29, v29, v30
	ds_bpermute_b32 v30, v4, v29
	s_wait_dscnt 0x0
	v_max_num_f32_e32 v30, v30, v30
	v_max_num_f32_e32 v29, v29, v30
	ds_bpermute_b32 v30, v6, v29
	s_wait_dscnt 0x0
	v_max_num_f32_e32 v30, v30, v30
	s_delay_alu instid0(VALU_DEP_1) | instskip(SKIP_2) | instid1(SALU_CYCLE_1)
	v_max_num_f32_e32 v29, v29, v30
                                        ; implicit-def: $vgpr30
	ds_bpermute_b32 v42, v7, v29
	s_and_saveexec_b32 s38, s35
	s_xor_b32 s35, exec_lo, s38
	s_cbranch_execz .LBB86_93
; %bb.86:                               ;   in Loop: Header=BB86_8 Depth=1
	v_add_f32_e64 v30, |v138|, |v138|
	s_delay_alu instid0(VALU_DEP_1) | instskip(SKIP_1) | instid1(VALU_DEP_2)
	v_mul_f32_e32 v37, 0x3fb8aa3b, v30
	v_cmp_ngt_f32_e32 vcc_lo, 0xc2ce8ed0, v30
	v_rndne_f32_e32 v38, v37
	v_fma_f32 v39, 0x3fb8aa3b, v30, -v37
	s_delay_alu instid0(VALU_DEP_2) | instskip(NEXT) | instid1(VALU_DEP_2)
	v_sub_f32_e32 v37, v37, v38
	v_fmac_f32_e32 v39, 0x32a5705f, v30
	v_cvt_i32_f32_e32 v38, v38
	s_delay_alu instid0(VALU_DEP_2) | instskip(NEXT) | instid1(VALU_DEP_1)
	v_add_f32_e32 v37, v37, v39
	v_exp_f32_e32 v37, v37
	v_nop
	s_delay_alu instid0(TRANS32_DEP_1) | instskip(NEXT) | instid1(VALU_DEP_1)
	v_ldexp_f32 v37, v37, v38
	v_cndmask_b32_e32 v37, 0, v37, vcc_lo
	v_cmp_nlt_f32_e32 vcc_lo, 0x42b17218, v30
	s_delay_alu instid0(VALU_DEP_2) | instskip(NEXT) | instid1(VALU_DEP_1)
	v_cndmask_b32_e32 v30, 0x7f800000, v37, vcc_lo
	v_add_f32_e32 v30, 1.0, v30
	s_delay_alu instid0(VALU_DEP_1) | instskip(SKIP_1) | instid1(TRANS32_DEP_1)
	v_rcp_f32_e32 v30, v30
	v_nop
	v_fma_f32 v30, v30, -2.0, 1.0
	s_and_not1_saveexec_b32 s35, s35
	s_cbranch_execnz .LBB86_94
.LBB86_87:                              ;   in Loop: Header=BB86_8 Depth=1
	s_or_b32 exec_lo, exec_lo, s35
	v_add_nc_u32_e32 v38, v8, v120
	s_and_not1_b32 vcc_lo, exec_lo, s26
	s_cbranch_vccnz .LBB86_95
.LBB86_88:                              ;   in Loop: Header=BB86_8 Depth=1
	global_load_u16 v37, v38, s[36:37] scale_offset
	s_wait_loadcnt 0x0
	v_cvt_f32_f16_e32 v37, v37
	s_delay_alu instid0(VALU_DEP_1) | instskip(SKIP_2) | instid1(SALU_CYCLE_1)
	v_mul_f32_e32 v37, v100, v37
	v_cmp_ngt_f32_e64 s35, 0x3f200000, |v139|
                                        ; implicit-def: $vgpr39
	s_and_saveexec_b32 s38, s35
	s_xor_b32 s35, exec_lo, s38
	s_cbranch_execz .LBB86_90
.LBB86_89:                              ;   in Loop: Header=BB86_8 Depth=1
	v_add_f32_e64 v39, |v139|, |v139|
	s_delay_alu instid0(VALU_DEP_1) | instskip(SKIP_1) | instid1(VALU_DEP_2)
	v_mul_f32_e32 v40, 0x3fb8aa3b, v39
	v_cmp_ngt_f32_e32 vcc_lo, 0xc2ce8ed0, v39
	v_rndne_f32_e32 v43, v40
	v_fma_f32 v44, 0x3fb8aa3b, v39, -v40
	s_delay_alu instid0(VALU_DEP_2) | instskip(NEXT) | instid1(VALU_DEP_2)
	v_sub_f32_e32 v40, v40, v43
	v_fmac_f32_e32 v44, 0x32a5705f, v39
	v_cvt_i32_f32_e32 v43, v43
	s_delay_alu instid0(VALU_DEP_2) | instskip(NEXT) | instid1(VALU_DEP_1)
	v_add_f32_e32 v40, v40, v44
	v_exp_f32_e32 v40, v40
	v_nop
	s_delay_alu instid0(TRANS32_DEP_1) | instskip(NEXT) | instid1(VALU_DEP_1)
	v_ldexp_f32 v40, v40, v43
	v_cndmask_b32_e32 v40, 0, v40, vcc_lo
	v_cmp_nlt_f32_e32 vcc_lo, 0x42b17218, v39
	s_delay_alu instid0(VALU_DEP_2) | instskip(NEXT) | instid1(VALU_DEP_1)
	v_cndmask_b32_e32 v39, 0x7f800000, v40, vcc_lo
	v_add_f32_e32 v39, 1.0, v39
	s_delay_alu instid0(VALU_DEP_1) | instskip(SKIP_1) | instid1(TRANS32_DEP_1)
	v_rcp_f32_e32 v39, v39
	v_nop
	v_fma_f32 v39, v39, -2.0, 1.0
.LBB86_90:                              ;   in Loop: Header=BB86_8 Depth=1
	s_and_not1_saveexec_b32 s35, s35
	s_cbranch_execz .LBB86_96
; %bb.91:                               ;   in Loop: Header=BB86_8 Depth=1
	v_mul_f32_e32 v39, v139, v139
	s_delay_alu instid0(VALU_DEP_1) | instskip(NEXT) | instid1(VALU_DEP_1)
	v_fmaak_f32 v40, s27, v39, 0x3ca908c9
	v_fmaak_f32 v40, v39, v40, 0xbd5c1c4e
	s_delay_alu instid0(VALU_DEP_1) | instskip(NEXT) | instid1(VALU_DEP_1)
	v_fmaak_f32 v40, v39, v40, 0x3e088382
	v_fmaak_f32 v40, v39, v40, 0xbeaaaa99
	s_delay_alu instid0(VALU_DEP_1) | instskip(NEXT) | instid1(VALU_DEP_1)
	v_mul_f32_e64 v40, |v139|, v40
	v_fma_f32 v39, v39, v40, |v139|
	s_or_b32 exec_lo, exec_lo, s35
	s_delay_alu instid0(SALU_CYCLE_1)
	s_and_not1_b32 vcc_lo, exec_lo, s26
	s_cbranch_vccz .LBB86_97
.LBB86_92:                              ;   in Loop: Header=BB86_8 Depth=1
	v_mov_b32_e32 v38, 0
	s_branch .LBB86_98
.LBB86_93:                              ;   in Loop: Header=BB86_8 Depth=1
	s_and_not1_saveexec_b32 s35, s35
	s_cbranch_execz .LBB86_87
.LBB86_94:                              ;   in Loop: Header=BB86_8 Depth=1
	v_mul_f32_e32 v30, v138, v138
	s_delay_alu instid0(VALU_DEP_1) | instskip(NEXT) | instid1(VALU_DEP_1)
	v_fmaak_f32 v37, s27, v30, 0x3ca908c9
	v_fmaak_f32 v37, v30, v37, 0xbd5c1c4e
	s_delay_alu instid0(VALU_DEP_1) | instskip(NEXT) | instid1(VALU_DEP_1)
	v_fmaak_f32 v37, v30, v37, 0x3e088382
	v_fmaak_f32 v37, v30, v37, 0xbeaaaa99
	s_delay_alu instid0(VALU_DEP_1) | instskip(NEXT) | instid1(VALU_DEP_1)
	v_mul_f32_e64 v37, |v138|, v37
	v_fma_f32 v30, v30, v37, |v138|
	s_or_b32 exec_lo, exec_lo, s35
	v_add_nc_u32_e32 v38, v8, v120
	s_and_not1_b32 vcc_lo, exec_lo, s26
	s_cbranch_vccz .LBB86_88
.LBB86_95:                              ;   in Loop: Header=BB86_8 Depth=1
	v_mov_b32_e32 v37, 0
	v_cmp_ngt_f32_e64 s35, 0x3f200000, |v139|
                                        ; implicit-def: $vgpr39
	s_and_saveexec_b32 s38, s35
	s_delay_alu instid0(SALU_CYCLE_1)
	s_xor_b32 s35, exec_lo, s38
	s_cbranch_execz .LBB86_90
	s_branch .LBB86_89
.LBB86_96:                              ;   in Loop: Header=BB86_8 Depth=1
	s_or_b32 exec_lo, exec_lo, s35
	s_delay_alu instid0(SALU_CYCLE_1)
	s_and_not1_b32 vcc_lo, exec_lo, s26
	s_cbranch_vccnz .LBB86_92
.LBB86_97:                              ;   in Loop: Header=BB86_8 Depth=1
	global_load_u16 v38, v38, s[36:37] offset:64 scale_offset
	s_wait_loadcnt 0x0
	v_cvt_f32_f16_e32 v38, v38
	s_delay_alu instid0(VALU_DEP_1)
	v_mul_f32_e32 v38, v100, v38
.LBB86_98:                              ;   in Loop: Header=BB86_8 Depth=1
	v_bfi_b32 v30, 0x7fffffff, v30, v138
	v_bfi_b32 v39, 0x7fffffff, v39, v139
	v_cmp_ngt_f32_e64 s35, 0x3f200000, |v136|
                                        ; implicit-def: $vgpr44
	s_delay_alu instid0(VALU_DEP_2) | instskip(NEXT) | instid1(VALU_DEP_1)
	v_dual_fmac_f32 v37, s31, v30 :: v_dual_fmac_f32 v38, s31, v39
	v_dual_add_f32 v30, 0x40051340, v37 :: v_dual_add_f32 v39, 0x40051340, v38
	s_delay_alu instid0(VALU_DEP_1) | instskip(SKIP_3) | instid1(VALU_DEP_1)
	v_max3_num_f32 v30, v129, v30, v39
	ds_bpermute_b32 v39, v2, v30
	s_wait_dscnt 0x0
	v_max_num_f32_e32 v39, v39, v39
	v_max_num_f32_e32 v30, v30, v39
	ds_bpermute_b32 v39, v3, v30
	s_wait_dscnt 0x0
	v_max_num_f32_e32 v39, v39, v39
	s_delay_alu instid0(VALU_DEP_1) | instskip(SKIP_3) | instid1(VALU_DEP_1)
	v_max_num_f32_e32 v30, v30, v39
	ds_bpermute_b32 v39, v4, v30
	s_wait_dscnt 0x0
	v_max_num_f32_e32 v39, v39, v39
	v_max_num_f32_e32 v30, v30, v39
	ds_bpermute_b32 v39, v6, v30
	s_wait_dscnt 0x0
	v_max_num_f32_e32 v39, v39, v39
	s_delay_alu instid0(VALU_DEP_1) | instskip(SKIP_2) | instid1(SALU_CYCLE_1)
	v_max_num_f32_e32 v30, v30, v39
	ds_bpermute_b32 v43, v7, v30
	s_and_saveexec_b32 s38, s35
	s_xor_b32 s35, exec_lo, s38
	s_cbranch_execz .LBB86_106
; %bb.99:                               ;   in Loop: Header=BB86_8 Depth=1
	v_add_f32_e64 v39, |v136|, |v136|
	s_delay_alu instid0(VALU_DEP_1) | instskip(SKIP_1) | instid1(VALU_DEP_2)
	v_mul_f32_e32 v40, 0x3fb8aa3b, v39
	v_cmp_ngt_f32_e32 vcc_lo, 0xc2ce8ed0, v39
	v_rndne_f32_e32 v44, v40
	v_fma_f32 v45, 0x3fb8aa3b, v39, -v40
	s_delay_alu instid0(VALU_DEP_1) | instskip(SKIP_1) | instid1(VALU_DEP_2)
	v_dual_sub_f32 v40, v40, v44 :: v_dual_fmac_f32 v45, 0x32a5705f, v39
	v_cvt_i32_f32_e32 v44, v44
	v_add_f32_e32 v40, v40, v45
	s_delay_alu instid0(VALU_DEP_1) | instskip(SKIP_1) | instid1(TRANS32_DEP_1)
	v_exp_f32_e32 v40, v40
	v_nop
	v_ldexp_f32 v40, v40, v44
	s_delay_alu instid0(VALU_DEP_1) | instskip(SKIP_1) | instid1(VALU_DEP_2)
	v_cndmask_b32_e32 v40, 0, v40, vcc_lo
	v_cmp_nlt_f32_e32 vcc_lo, 0x42b17218, v39
	v_cndmask_b32_e32 v39, 0x7f800000, v40, vcc_lo
	s_delay_alu instid0(VALU_DEP_1) | instskip(NEXT) | instid1(VALU_DEP_1)
	v_add_f32_e32 v39, 1.0, v39
	v_rcp_f32_e32 v39, v39
	v_nop
	s_delay_alu instid0(TRANS32_DEP_1)
	v_fma_f32 v44, v39, -2.0, 1.0
	s_and_not1_saveexec_b32 s35, s35
	s_cbranch_execnz .LBB86_107
.LBB86_100:                             ;   in Loop: Header=BB86_8 Depth=1
	s_or_b32 exec_lo, exec_lo, s35
	v_add_nc_u32_e32 v8, v8, v121
	s_and_not1_b32 vcc_lo, exec_lo, s26
	s_cbranch_vccnz .LBB86_108
.LBB86_101:                             ;   in Loop: Header=BB86_8 Depth=1
	global_load_u16 v39, v8, s[36:37] scale_offset
	s_wait_loadcnt 0x0
	v_cvt_f32_f16_e32 v39, v39
	s_delay_alu instid0(VALU_DEP_1) | instskip(SKIP_2) | instid1(SALU_CYCLE_1)
	v_mul_f32_e32 v39, v100, v39
	v_cmp_ngt_f32_e64 s35, 0x3f200000, |v137|
                                        ; implicit-def: $vgpr45
	s_and_saveexec_b32 s38, s35
	s_xor_b32 s35, exec_lo, s38
	s_cbranch_execz .LBB86_103
.LBB86_102:                             ;   in Loop: Header=BB86_8 Depth=1
	v_add_f32_e64 v40, |v137|, |v137|
	s_delay_alu instid0(VALU_DEP_1) | instskip(SKIP_1) | instid1(VALU_DEP_2)
	v_mul_f32_e32 v45, 0x3fb8aa3b, v40
	v_cmp_ngt_f32_e32 vcc_lo, 0xc2ce8ed0, v40
	v_rndne_f32_e32 v46, v45
	v_fma_f32 v47, 0x3fb8aa3b, v40, -v45
	s_delay_alu instid0(VALU_DEP_2) | instskip(NEXT) | instid1(VALU_DEP_2)
	v_sub_f32_e32 v45, v45, v46
	v_fmac_f32_e32 v47, 0x32a5705f, v40
	v_cvt_i32_f32_e32 v46, v46
	s_delay_alu instid0(VALU_DEP_2) | instskip(NEXT) | instid1(VALU_DEP_1)
	v_add_f32_e32 v45, v45, v47
	v_exp_f32_e32 v45, v45
	v_nop
	s_delay_alu instid0(TRANS32_DEP_1) | instskip(NEXT) | instid1(VALU_DEP_1)
	v_ldexp_f32 v45, v45, v46
	v_cndmask_b32_e32 v45, 0, v45, vcc_lo
	v_cmp_nlt_f32_e32 vcc_lo, 0x42b17218, v40
	s_delay_alu instid0(VALU_DEP_2) | instskip(NEXT) | instid1(VALU_DEP_1)
	v_cndmask_b32_e32 v40, 0x7f800000, v45, vcc_lo
	v_add_f32_e32 v40, 1.0, v40
	s_delay_alu instid0(VALU_DEP_1) | instskip(SKIP_1) | instid1(TRANS32_DEP_1)
	v_rcp_f32_e32 v40, v40
	v_nop
	v_fma_f32 v45, v40, -2.0, 1.0
.LBB86_103:                             ;   in Loop: Header=BB86_8 Depth=1
	s_and_not1_saveexec_b32 s35, s35
	s_cbranch_execz .LBB86_109
; %bb.104:                              ;   in Loop: Header=BB86_8 Depth=1
	v_mul_f32_e32 v40, v137, v137
	s_delay_alu instid0(VALU_DEP_1) | instskip(NEXT) | instid1(VALU_DEP_1)
	v_fmaak_f32 v45, s27, v40, 0x3ca908c9
	v_fmaak_f32 v45, v40, v45, 0xbd5c1c4e
	s_delay_alu instid0(VALU_DEP_1) | instskip(NEXT) | instid1(VALU_DEP_1)
	v_fmaak_f32 v45, v40, v45, 0x3e088382
	v_fmaak_f32 v45, v40, v45, 0xbeaaaa99
	s_delay_alu instid0(VALU_DEP_1) | instskip(NEXT) | instid1(VALU_DEP_1)
	v_mul_f32_e64 v45, |v137|, v45
	v_fma_f32 v45, v40, v45, |v137|
	s_or_b32 exec_lo, exec_lo, s35
	s_delay_alu instid0(SALU_CYCLE_1)
	s_and_not1_b32 vcc_lo, exec_lo, s26
	s_cbranch_vccz .LBB86_110
.LBB86_105:                             ;   in Loop: Header=BB86_8 Depth=1
	v_mov_b32_e32 v40, 0
	s_branch .LBB86_111
.LBB86_106:                             ;   in Loop: Header=BB86_8 Depth=1
	s_and_not1_saveexec_b32 s35, s35
	s_cbranch_execz .LBB86_100
.LBB86_107:                             ;   in Loop: Header=BB86_8 Depth=1
	v_mul_f32_e32 v39, v136, v136
	s_delay_alu instid0(VALU_DEP_1) | instskip(NEXT) | instid1(VALU_DEP_1)
	v_fmaak_f32 v40, s27, v39, 0x3ca908c9
	v_fmaak_f32 v40, v39, v40, 0xbd5c1c4e
	s_delay_alu instid0(VALU_DEP_1) | instskip(NEXT) | instid1(VALU_DEP_1)
	v_fmaak_f32 v40, v39, v40, 0x3e088382
	v_fmaak_f32 v40, v39, v40, 0xbeaaaa99
	s_delay_alu instid0(VALU_DEP_1) | instskip(NEXT) | instid1(VALU_DEP_1)
	v_mul_f32_e64 v40, |v136|, v40
	v_fma_f32 v44, v39, v40, |v136|
	s_or_b32 exec_lo, exec_lo, s35
	v_add_nc_u32_e32 v8, v8, v121
	s_and_not1_b32 vcc_lo, exec_lo, s26
	s_cbranch_vccz .LBB86_101
.LBB86_108:                             ;   in Loop: Header=BB86_8 Depth=1
	v_mov_b32_e32 v39, 0
	v_cmp_ngt_f32_e64 s35, 0x3f200000, |v137|
                                        ; implicit-def: $vgpr45
	s_and_saveexec_b32 s38, s35
	s_delay_alu instid0(SALU_CYCLE_1)
	s_xor_b32 s35, exec_lo, s38
	s_cbranch_execz .LBB86_103
	s_branch .LBB86_102
.LBB86_109:                             ;   in Loop: Header=BB86_8 Depth=1
	s_or_b32 exec_lo, exec_lo, s35
	s_delay_alu instid0(SALU_CYCLE_1)
	s_and_not1_b32 vcc_lo, exec_lo, s26
	s_cbranch_vccnz .LBB86_105
.LBB86_110:                             ;   in Loop: Header=BB86_8 Depth=1
	global_load_u16 v8, v8, s[36:37] offset:64 scale_offset
	s_wait_loadcnt 0x0
	v_cvt_f32_f16_e32 v8, v8
	s_delay_alu instid0(VALU_DEP_1)
	v_mul_f32_e32 v40, v100, v8
.LBB86_111:                             ;   in Loop: Header=BB86_8 Depth=1
	v_bfi_b32 v8, 0x7fffffff, v45, v137
	v_bfi_b32 v44, 0x7fffffff, v44, v136
	v_dual_max_num_f32 v11, v11, v11 :: v_dual_max_num_f32 v30, v30, v30
	s_delay_alu instid0(VALU_DEP_3) | instskip(SKIP_1) | instid1(VALU_DEP_3)
	v_dual_max_num_f32 v41, v41, v41 :: v_dual_fmac_f32 v40, s31, v8
	s_wait_dscnt 0x0
	v_dual_fmac_f32 v39, s31, v44 :: v_dual_max_num_f32 v43, v43, v43
	v_dual_max_num_f32 v42, v42, v42 :: v_dual_max_num_f32 v28, v28, v28
	s_delay_alu instid0(VALU_DEP_3) | instskip(NEXT) | instid1(VALU_DEP_3)
	v_add_f32_e32 v8, 0x40051340, v40
	v_dual_add_f32 v44, 0x40051340, v39 :: v_dual_max_num_f32 v29, v29, v29
	s_delay_alu instid0(VALU_DEP_3) | instskip(SKIP_1) | instid1(VALU_DEP_3)
	v_dual_max_num_f32 v31, v31, v31 :: v_dual_max_num_f32 v28, v28, v41
	v_dual_max_num_f32 v27, v27, v27 :: v_dual_max_num_f32 v26, v26, v26
	v_max3_num_f32 v8, v128, v44, v8
	v_dual_max_num_f32 v25, v25, v25 :: v_dual_max_num_f32 v24, v24, v24
	s_delay_alu instid0(VALU_DEP_3) | instskip(SKIP_4) | instid1(VALU_DEP_2)
	v_max_num_f32_e32 v27, v27, v31
	v_dual_max_num_f32 v15, v15, v15 :: v_dual_max_num_f32 v10, v10, v10
	ds_bpermute_b32 v2, v2, v8
	v_dual_max_num_f32 v26, v25, v26 :: v_dual_max_num_f32 v30, v30, v43
	v_dual_max_num_f32 v29, v29, v42 :: v_dual_max_num_f32 v25, v15, v24
	v_dual_max_num_f32 v24, v10, v11 :: v_dual_sub_f32 v11, v12, v26
	s_mul_u64 s[38:39], s[14:15], s[10:11]
	s_wait_dscnt 0x0
	s_lshl_b64 s[38:39], s[38:39], 2
	s_barrier_signal -1
	v_mul_f32_e32 v12, 0x3fb8aa3b, v11
	s_add_nc_u64 s[38:39], s[8:9], s[38:39]
	s_barrier_wait -1
	v_sub_f32_e32 v0, v0, v24
	s_delay_alu instid0(VALU_DEP_2) | instskip(SKIP_2) | instid1(VALU_DEP_4)
	v_fma_f32 v15, 0x3fb8aa3b, v11, -v12
	v_rndne_f32_e32 v41, v12
	v_dual_sub_f32 v1, v1, v24 :: v_dual_max_num_f32 v2, v2, v2
	v_cmp_ngt_f32_e32 vcc_lo, 0xc2ce8ed0, v0
	s_delay_alu instid0(VALU_DEP_3) | instskip(NEXT) | instid1(VALU_DEP_3)
	v_dual_fmac_f32 v15, 0x32a5705f, v11 :: v_dual_sub_f32 v12, v12, v41
	v_dual_max_num_f32 v2, v8, v2 :: v_dual_sub_f32 v8, v135, v25
	s_delay_alu instid0(VALU_DEP_2) | instskip(SKIP_4) | instid1(TRANS32_DEP_1)
	v_add_f32_e32 v12, v12, v15
	v_cvt_i32_f32_e32 v15, v41
	ds_bpermute_b32 v3, v3, v2
	v_exp_f32_e32 v12, v12
	v_nop
	v_ldexp_f32 v12, v12, v15
	s_wait_dscnt 0x0
	v_max_num_f32_e32 v3, v3, v3
	s_delay_alu instid0(VALU_DEP_1) | instskip(SKIP_3) | instid1(VALU_DEP_1)
	v_max_num_f32_e32 v2, v2, v3
	ds_bpermute_b32 v3, v4, v2
	s_wait_dscnt 0x0
	v_max_num_f32_e32 v3, v3, v3
	v_max_num_f32_e32 v2, v2, v3
	ds_bpermute_b32 v3, v6, v2
	s_wait_dscnt 0x0
	v_max_num_f32_e32 v3, v3, v3
	s_delay_alu instid0(VALU_DEP_1) | instskip(SKIP_3) | instid1(VALU_DEP_1)
	v_max_num_f32_e32 v2, v2, v3
	ds_bpermute_b32 v3, v7, v2
	s_wait_dscnt 0x0
	v_max_num_f32_e32 v3, v3, v3
	v_dual_max_num_f32 v31, v2, v3 :: v_dual_mul_f32 v2, 0x3fb8aa3b, v0
	s_delay_alu instid0(VALU_DEP_1) | instskip(SKIP_1) | instid1(VALU_DEP_2)
	v_fma_f32 v4, 0x3fb8aa3b, v0, -v2
	v_rndne_f32_e32 v6, v2
	v_fmac_f32_e32 v4, 0x32a5705f, v0
	s_delay_alu instid0(VALU_DEP_2) | instskip(NEXT) | instid1(VALU_DEP_1)
	v_sub_f32_e32 v2, v2, v6
	v_add_f32_e32 v2, v2, v4
	v_cvt_i32_f32_e32 v4, v6
	s_delay_alu instid0(VALU_DEP_2) | instskip(SKIP_1) | instid1(TRANS32_DEP_1)
	v_exp_f32_e32 v2, v2
	v_nop
	v_ldexp_f32 v2, v2, v4
	s_delay_alu instid0(VALU_DEP_1) | instskip(SKIP_1) | instid1(VALU_DEP_2)
	v_dual_sub_f32 v3, v134, v24 :: v_dual_cndmask_b32 v2, 0, v2
	v_cmp_nlt_f32_e32 vcc_lo, 0x42b17218, v0
	v_cndmask_b32_e32 v0, 0x7f800000, v2, vcc_lo
	v_mul_f32_e32 v2, 0x3fb8aa3b, v1
	v_cmp_ngt_f32_e32 vcc_lo, 0xc2ce8ed0, v1
	s_delay_alu instid0(VALU_DEP_2) | instskip(SKIP_1) | instid1(VALU_DEP_2)
	v_fma_f32 v4, 0x3fb8aa3b, v1, -v2
	v_rndne_f32_e32 v6, v2
	v_fmac_f32_e32 v4, 0x32a5705f, v1
	s_delay_alu instid0(VALU_DEP_2) | instskip(NEXT) | instid1(VALU_DEP_1)
	v_sub_f32_e32 v2, v2, v6
	v_add_f32_e32 v2, v2, v4
	v_cvt_i32_f32_e32 v4, v6
	s_delay_alu instid0(VALU_DEP_2) | instskip(SKIP_1) | instid1(TRANS32_DEP_1)
	v_exp_f32_e32 v2, v2
	v_nop
	v_ldexp_f32 v2, v2, v4
	s_delay_alu instid0(VALU_DEP_1) | instskip(SKIP_2) | instid1(VALU_DEP_3)
	v_cndmask_b32_e32 v2, 0, v2, vcc_lo
	v_cmp_nlt_f32_e32 vcc_lo, 0x42b17218, v1
	v_mul_f32_e32 v1, 0x3fb8aa3b, v3
	v_cndmask_b32_e32 v2, 0x7f800000, v2, vcc_lo
	s_delay_alu instid0(VALU_DEP_2) | instskip(SKIP_2) | instid1(VALU_DEP_2)
	v_fma_f32 v4, 0x3fb8aa3b, v3, -v1
	v_rndne_f32_e32 v6, v1
	v_cmp_ngt_f32_e32 vcc_lo, 0xc2ce8ed0, v3
	v_dual_fmac_f32 v4, 0x32a5705f, v3 :: v_dual_sub_f32 v1, v1, v6
	s_delay_alu instid0(VALU_DEP_1) | instskip(SKIP_1) | instid1(VALU_DEP_2)
	v_add_f32_e32 v1, v1, v4
	v_cvt_i32_f32_e32 v4, v6
	v_exp_f32_e32 v1, v1
	v_nop
	s_delay_alu instid0(TRANS32_DEP_1) | instskip(NEXT) | instid1(VALU_DEP_1)
	v_ldexp_f32 v1, v1, v4
	v_cndmask_b32_e32 v1, 0, v1, vcc_lo
	v_cmp_nlt_f32_e32 vcc_lo, 0x42b17218, v3
	s_delay_alu instid0(VALU_DEP_2) | instskip(NEXT) | instid1(VALU_DEP_1)
	v_cndmask_b32_e32 v4, 0x7f800000, v1, vcc_lo
	v_cvt_f16_f32_e32 v1, v4
	s_delay_alu instid0(VALU_DEP_1) | instskip(NEXT) | instid1(VALU_DEP_1)
	v_and_b32_e32 v1, 0xffff, v1
	v_mul_u32_u24_e32 v1, 0x10001, v1
	s_delay_alu instid0(VALU_DEP_1) | instskip(SKIP_2) | instid1(VALU_DEP_1)
	v_pk_mul_f16 v7, v115, v1
	v_pk_mul_f16 v6, v116, v1
	v_sub_f32_e32 v1, v5, v25
	v_mul_f32_e32 v3, 0x3fb8aa3b, v1
	v_cmp_ngt_f32_e32 vcc_lo, 0xc2ce8ed0, v1
	s_delay_alu instid0(VALU_DEP_2) | instskip(SKIP_1) | instid1(VALU_DEP_2)
	v_fma_f32 v5, 0x3fb8aa3b, v1, -v3
	v_rndne_f32_e32 v10, v3
	v_fmac_f32_e32 v5, 0x32a5705f, v1
	s_delay_alu instid0(VALU_DEP_2) | instskip(NEXT) | instid1(VALU_DEP_1)
	v_sub_f32_e32 v3, v3, v10
	v_add_f32_e32 v3, v3, v5
	v_cvt_i32_f32_e32 v5, v10
	s_delay_alu instid0(VALU_DEP_2) | instskip(SKIP_1) | instid1(TRANS32_DEP_1)
	v_exp_f32_e32 v3, v3
	v_nop
	v_ldexp_f32 v3, v3, v5
	s_delay_alu instid0(VALU_DEP_1) | instskip(SKIP_1) | instid1(VALU_DEP_2)
	v_cndmask_b32_e32 v3, 0, v3, vcc_lo
	v_cmp_nlt_f32_e32 vcc_lo, 0x42b17218, v1
	v_cndmask_b32_e32 v1, 0x7f800000, v3, vcc_lo
	v_sub_f32_e32 v3, v9, v25
	s_delay_alu instid0(VALU_DEP_1) | instskip(SKIP_1) | instid1(VALU_DEP_2)
	v_mul_f32_e32 v5, 0x3fb8aa3b, v3
	v_cmp_ngt_f32_e32 vcc_lo, 0xc2ce8ed0, v3
	v_fma_f32 v9, 0x3fb8aa3b, v3, -v5
	v_rndne_f32_e32 v10, v5
	s_delay_alu instid0(VALU_DEP_2) | instskip(NEXT) | instid1(VALU_DEP_2)
	v_fmac_f32_e32 v9, 0x32a5705f, v3
	v_sub_f32_e32 v5, v5, v10
	s_delay_alu instid0(VALU_DEP_1) | instskip(SKIP_1) | instid1(VALU_DEP_2)
	v_add_f32_e32 v5, v5, v9
	v_cvt_i32_f32_e32 v9, v10
	v_exp_f32_e32 v5, v5
	v_nop
	s_delay_alu instid0(TRANS32_DEP_1) | instskip(NEXT) | instid1(VALU_DEP_1)
	v_ldexp_f32 v5, v5, v9
	v_cndmask_b32_e32 v5, 0, v5, vcc_lo
	v_cmp_nlt_f32_e32 vcc_lo, 0x42b17218, v3
	s_delay_alu instid0(VALU_DEP_2) | instskip(SKIP_2) | instid1(VALU_DEP_2)
	v_cndmask_b32_e32 v3, 0x7f800000, v5, vcc_lo
	v_mul_f32_e32 v5, 0x3fb8aa3b, v8
	v_cmp_ngt_f32_e32 vcc_lo, 0xc2ce8ed0, v8
	v_fma_f32 v9, 0x3fb8aa3b, v8, -v5
	v_rndne_f32_e32 v10, v5
	s_delay_alu instid0(VALU_DEP_2) | instskip(NEXT) | instid1(VALU_DEP_2)
	v_fmac_f32_e32 v9, 0x32a5705f, v8
	v_sub_f32_e32 v5, v5, v10
	s_delay_alu instid0(VALU_DEP_1) | instskip(SKIP_2) | instid1(VALU_DEP_3)
	v_add_f32_e32 v5, v5, v9
	v_cvt_i32_f32_e32 v9, v10
	v_sub_f32_e32 v10, v133, v26
	v_exp_f32_e32 v5, v5
	v_nop
	s_delay_alu instid0(TRANS32_DEP_1) | instskip(NEXT) | instid1(VALU_DEP_1)
	v_ldexp_f32 v5, v5, v9
	v_cndmask_b32_e32 v5, 0, v5, vcc_lo
	v_cmp_nlt_f32_e32 vcc_lo, 0x42b17218, v8
	s_delay_alu instid0(VALU_DEP_2) | instskip(SKIP_3) | instid1(VALU_DEP_2)
	v_cndmask_b32_e32 v5, 0x7f800000, v5, vcc_lo
	v_cmp_ngt_f32_e32 vcc_lo, 0xc2ce8ed0, v11
	v_cndmask_b32_e32 v12, 0, v12, vcc_lo
	v_cmp_nlt_f32_e32 vcc_lo, 0x42b17218, v11
	v_dual_sub_f32 v11, v13, v26 :: v_dual_cndmask_b32 v42, 0x7f800000, v12
	s_delay_alu instid0(VALU_DEP_1) | instskip(SKIP_1) | instid1(VALU_DEP_2)
	v_mul_f32_e32 v12, 0x3fb8aa3b, v11
	v_cmp_ngt_f32_e32 vcc_lo, 0xc2ce8ed0, v11
	v_fma_f32 v13, 0x3fb8aa3b, v11, -v12
	v_rndne_f32_e32 v15, v12
	s_delay_alu instid0(VALU_DEP_2) | instskip(NEXT) | instid1(VALU_DEP_2)
	v_fmac_f32_e32 v13, 0x32a5705f, v11
	v_sub_f32_e32 v12, v12, v15
	s_delay_alu instid0(VALU_DEP_1) | instskip(SKIP_1) | instid1(VALU_DEP_2)
	v_add_f32_e32 v12, v12, v13
	v_cvt_i32_f32_e32 v13, v15
	v_exp_f32_e32 v12, v12
	v_nop
	s_delay_alu instid0(TRANS32_DEP_1) | instskip(NEXT) | instid1(VALU_DEP_1)
	v_ldexp_f32 v12, v12, v13
	v_cndmask_b32_e32 v12, 0, v12, vcc_lo
	v_cmp_nlt_f32_e32 vcc_lo, 0x42b17218, v11
	v_mul_f32_e32 v11, 0x3fb8aa3b, v10
	s_delay_alu instid0(VALU_DEP_1) | instskip(NEXT) | instid1(VALU_DEP_4)
	v_rndne_f32_e32 v13, v11
	v_cndmask_b32_e32 v44, 0x7f800000, v12, vcc_lo
	v_fma_f32 v12, 0x3fb8aa3b, v10, -v11
	v_cmp_ngt_f32_e32 vcc_lo, 0xc2ce8ed0, v10
	s_delay_alu instid0(VALU_DEP_2) | instskip(NEXT) | instid1(VALU_DEP_1)
	v_dual_sub_f32 v11, v11, v13 :: v_dual_fmac_f32 v12, 0x32a5705f, v10
	v_add_f32_e32 v11, v11, v12
	v_cvt_i32_f32_e32 v12, v13
	v_sub_f32_e32 v13, v14, v27
	s_delay_alu instid0(VALU_DEP_3) | instskip(NEXT) | instid1(VALU_DEP_1)
	v_exp_f32_e32 v11, v11
	v_mul_f32_e32 v14, 0x3fb8aa3b, v13
	s_delay_alu instid0(TRANS32_DEP_1) | instskip(NEXT) | instid1(VALU_DEP_2)
	v_ldexp_f32 v11, v11, v12
	v_fma_f32 v15, 0x3fb8aa3b, v13, -v14
	v_rndne_f32_e32 v41, v14
	v_sub_f32_e32 v12, v132, v27
	v_cvt_f16_f32_e32 v8, v5
	v_cndmask_b32_e32 v11, 0, v11, vcc_lo
	v_fmac_f32_e32 v15, 0x32a5705f, v13
	v_sub_f32_e32 v14, v14, v41
	v_cmp_nlt_f32_e32 vcc_lo, 0x42b17218, v10
	v_and_b32_e32 v8, 0xffff, v8
	s_delay_alu instid0(VALU_DEP_3)
	v_add_f32_e32 v14, v14, v15
	v_cvt_i32_f32_e32 v15, v41
	v_cndmask_b32_e32 v46, 0x7f800000, v11, vcc_lo
	v_cmp_ngt_f32_e32 vcc_lo, 0xc2ce8ed0, v13
	v_mul_u32_u24_e32 v8, 0x10001, v8
	v_exp_f32_e32 v14, v14
	s_delay_alu instid0(VALU_DEP_1) | instskip(SKIP_1) | instid1(TRANS32_DEP_1)
	v_pk_mul_f16 v9, v113, v8
	v_pk_mul_f16 v8, v114, v8
	v_ldexp_f32 v14, v14, v15
	s_delay_alu instid0(VALU_DEP_1) | instskip(SKIP_2) | instid1(VALU_DEP_3)
	v_cndmask_b32_e32 v14, 0, v14, vcc_lo
	v_cmp_nlt_f32_e32 vcc_lo, 0x42b17218, v13
	v_sub_f32_e32 v13, v32, v27
	v_cndmask_b32_e32 v43, 0x7f800000, v14, vcc_lo
	s_delay_alu instid0(VALU_DEP_2) | instskip(SKIP_1) | instid1(VALU_DEP_2)
	v_mul_f32_e32 v14, 0x3fb8aa3b, v13
	v_cmp_ngt_f32_e32 vcc_lo, 0xc2ce8ed0, v13
	v_fma_f32 v15, 0x3fb8aa3b, v13, -v14
	v_rndne_f32_e32 v32, v14
	s_delay_alu instid0(VALU_DEP_1) | instskip(NEXT) | instid1(VALU_DEP_1)
	v_dual_fmac_f32 v15, 0x32a5705f, v13 :: v_dual_sub_f32 v14, v14, v32
	v_add_f32_e32 v14, v14, v15
	v_cvt_i32_f32_e32 v15, v32
	s_delay_alu instid0(VALU_DEP_2) | instskip(SKIP_1) | instid1(TRANS32_DEP_1)
	v_exp_f32_e32 v14, v14
	v_nop
	v_ldexp_f32 v14, v14, v15
	s_delay_alu instid0(VALU_DEP_1) | instskip(SKIP_2) | instid1(VALU_DEP_3)
	v_cndmask_b32_e32 v14, 0, v14, vcc_lo
	v_cmp_nlt_f32_e32 vcc_lo, 0x42b17218, v13
	v_mul_f32_e32 v13, 0x3fb8aa3b, v12
	v_cndmask_b32_e32 v45, 0x7f800000, v14, vcc_lo
	s_delay_alu instid0(VALU_DEP_2) | instskip(SKIP_2) | instid1(VALU_DEP_2)
	v_fma_f32 v14, 0x3fb8aa3b, v12, -v13
	v_rndne_f32_e32 v15, v13
	v_cmp_ngt_f32_e32 vcc_lo, 0xc2ce8ed0, v12
	v_dual_fmac_f32 v14, 0x32a5705f, v12 :: v_dual_sub_f32 v13, v13, v15
	s_delay_alu instid0(VALU_DEP_1) | instskip(SKIP_3) | instid1(VALU_DEP_4)
	v_add_f32_e32 v13, v13, v14
	v_cvt_i32_f32_e32 v14, v15
	v_sub_f32_e32 v15, v33, v28
	v_cvt_f16_f32_e32 v10, v46
	v_exp_f32_e32 v13, v13
	s_delay_alu instid0(VALU_DEP_2) | instskip(NEXT) | instid1(VALU_DEP_2)
	v_mul_f32_e32 v32, 0x3fb8aa3b, v15
	v_and_b32_e32 v10, 0xffff, v10
	s_delay_alu instid0(TRANS32_DEP_1) | instskip(NEXT) | instid1(VALU_DEP_3)
	v_ldexp_f32 v13, v13, v14
	v_fma_f32 v33, 0x3fb8aa3b, v15, -v32
	v_rndne_f32_e32 v41, v32
	v_sub_f32_e32 v14, v131, v28
	v_mul_u32_u24_e32 v10, 0x10001, v10
	v_cndmask_b32_e32 v13, 0, v13, vcc_lo
	s_delay_alu instid0(VALU_DEP_4) | instskip(SKIP_1) | instid1(VALU_DEP_4)
	v_dual_fmac_f32 v33, 0x32a5705f, v15 :: v_dual_sub_f32 v32, v32, v41
	v_cmp_nlt_f32_e32 vcc_lo, 0x42b17218, v12
	v_pk_mul_f16 v11, v111, v10
	v_pk_mul_f16 v10, v112, v10
	s_delay_alu instid0(VALU_DEP_4) | instskip(SKIP_3) | instid1(VALU_DEP_4)
	v_add_f32_e32 v32, v32, v33
	v_cndmask_b32_e32 v47, 0x7f800000, v13, vcc_lo
	v_cvt_i32_f32_e32 v33, v41
	v_cmp_ngt_f32_e32 vcc_lo, 0xc2ce8ed0, v15
	v_exp_f32_e32 v32, v32
	s_delay_alu instid0(VALU_DEP_3) | instskip(NEXT) | instid1(VALU_DEP_1)
	v_cvt_f16_f32_e32 v12, v47
	v_and_b32_e32 v12, 0xffff, v12
	s_delay_alu instid0(TRANS32_DEP_1) | instskip(NEXT) | instid1(VALU_DEP_2)
	v_ldexp_f32 v32, v32, v33
	v_mul_u32_u24_e32 v12, 0x10001, v12
	s_delay_alu instid0(VALU_DEP_2) | instskip(SKIP_2) | instid1(VALU_DEP_4)
	v_cndmask_b32_e32 v32, 0, v32, vcc_lo
	v_cmp_nlt_f32_e32 vcc_lo, 0x42b17218, v15
	v_sub_f32_e32 v15, v34, v28
	v_pk_mul_f16 v13, v109, v12
	v_pk_mul_f16 v12, v110, v12
	v_cndmask_b32_e32 v110, 0x7f800000, v32, vcc_lo
	s_delay_alu instid0(VALU_DEP_4) | instskip(SKIP_1) | instid1(VALU_DEP_2)
	v_mul_f32_e32 v32, 0x3fb8aa3b, v15
	v_cmp_ngt_f32_e32 vcc_lo, 0xc2ce8ed0, v15
	v_fma_f32 v33, 0x3fb8aa3b, v15, -v32
	v_rndne_f32_e32 v34, v32
	s_delay_alu instid0(VALU_DEP_1) | instskip(NEXT) | instid1(VALU_DEP_1)
	v_dual_fmac_f32 v33, 0x32a5705f, v15 :: v_dual_sub_f32 v32, v32, v34
	v_add_f32_e32 v32, v32, v33
	v_cvt_i32_f32_e32 v33, v34
	s_delay_alu instid0(VALU_DEP_2) | instskip(SKIP_1) | instid1(TRANS32_DEP_1)
	v_exp_f32_e32 v32, v32
	v_nop
	v_ldexp_f32 v32, v32, v33
	s_delay_alu instid0(VALU_DEP_1) | instskip(SKIP_2) | instid1(VALU_DEP_3)
	v_cndmask_b32_e32 v32, 0, v32, vcc_lo
	v_cmp_nlt_f32_e32 vcc_lo, 0x42b17218, v15
	v_mul_f32_e32 v15, 0x3fb8aa3b, v14
	v_cndmask_b32_e32 v112, 0x7f800000, v32, vcc_lo
	s_delay_alu instid0(VALU_DEP_2) | instskip(SKIP_2) | instid1(VALU_DEP_2)
	v_fma_f32 v32, 0x3fb8aa3b, v14, -v15
	v_rndne_f32_e32 v33, v15
	v_cmp_ngt_f32_e32 vcc_lo, 0xc2ce8ed0, v14
	v_dual_fmac_f32 v32, 0x32a5705f, v14 :: v_dual_sub_f32 v15, v15, v33
	s_delay_alu instid0(VALU_DEP_1) | instskip(SKIP_2) | instid1(VALU_DEP_3)
	v_add_f32_e32 v15, v15, v32
	v_cvt_i32_f32_e32 v32, v33
	v_sub_f32_e32 v33, v35, v29
	v_exp_f32_e32 v15, v15
	s_delay_alu instid0(VALU_DEP_1) | instskip(NEXT) | instid1(VALU_DEP_1)
	v_mul_f32_e32 v34, 0x3fb8aa3b, v33
	v_fma_f32 v35, 0x3fb8aa3b, v33, -v34
	v_rndne_f32_e32 v41, v34
	s_delay_alu instid0(TRANS32_DEP_1) | instskip(NEXT) | instid1(VALU_DEP_3)
	v_ldexp_f32 v15, v15, v32
	v_fmac_f32_e32 v35, 0x32a5705f, v33
	s_delay_alu instid0(VALU_DEP_2) | instskip(SKIP_1) | instid1(VALU_DEP_2)
	v_dual_sub_f32 v34, v34, v41 :: v_dual_cndmask_b32 v15, 0, v15
	v_cmp_nlt_f32_e32 vcc_lo, 0x42b17218, v14
	v_add_f32_e32 v34, v34, v35
	v_cvt_i32_f32_e32 v35, v41
	s_delay_alu instid0(VALU_DEP_4) | instskip(SKIP_1) | instid1(VALU_DEP_4)
	v_cndmask_b32_e32 v114, 0x7f800000, v15, vcc_lo
	v_cmp_ngt_f32_e32 vcc_lo, 0xc2ce8ed0, v33
	v_exp_f32_e32 v34, v34
	v_nop
	s_delay_alu instid0(TRANS32_DEP_1) | instskip(NEXT) | instid1(VALU_DEP_1)
	v_ldexp_f32 v34, v34, v35
	v_dual_sub_f32 v32, v130, v29 :: v_dual_cndmask_b32 v34, 0, v34, vcc_lo
	v_cmp_nlt_f32_e32 vcc_lo, 0x42b17218, v33
	v_sub_f32_e32 v33, v36, v29
	s_delay_alu instid0(VALU_DEP_3) | instskip(NEXT) | instid1(VALU_DEP_2)
	v_cndmask_b32_e32 v111, 0x7f800000, v34, vcc_lo
	v_mul_f32_e32 v34, 0x3fb8aa3b, v33
	v_cmp_ngt_f32_e32 vcc_lo, 0xc2ce8ed0, v33
	s_delay_alu instid0(VALU_DEP_2) | instskip(SKIP_1) | instid1(VALU_DEP_1)
	v_fma_f32 v35, 0x3fb8aa3b, v33, -v34
	v_rndne_f32_e32 v36, v34
	v_dual_fmac_f32 v35, 0x32a5705f, v33 :: v_dual_sub_f32 v34, v34, v36
	s_delay_alu instid0(VALU_DEP_1) | instskip(SKIP_1) | instid1(VALU_DEP_2)
	v_add_f32_e32 v34, v34, v35
	v_cvt_i32_f32_e32 v35, v36
	v_exp_f32_e32 v34, v34
	v_nop
	s_delay_alu instid0(TRANS32_DEP_1) | instskip(NEXT) | instid1(VALU_DEP_1)
	v_ldexp_f32 v34, v34, v35
	v_cndmask_b32_e32 v34, 0, v34, vcc_lo
	v_cmp_nlt_f32_e32 vcc_lo, 0x42b17218, v33
	v_mul_f32_e32 v33, 0x3fb8aa3b, v32
	s_delay_alu instid0(VALU_DEP_3) | instskip(NEXT) | instid1(VALU_DEP_2)
	v_cndmask_b32_e32 v113, 0x7f800000, v34, vcc_lo
	v_fma_f32 v34, 0x3fb8aa3b, v32, -v33
	v_rndne_f32_e32 v35, v33
	v_cmp_ngt_f32_e32 vcc_lo, 0xc2ce8ed0, v32
	s_delay_alu instid0(VALU_DEP_2) | instskip(NEXT) | instid1(VALU_DEP_1)
	v_dual_fmac_f32 v34, 0x32a5705f, v32 :: v_dual_sub_f32 v33, v33, v35
	v_add_f32_e32 v33, v33, v34
	v_cvt_i32_f32_e32 v34, v35
	v_sub_f32_e32 v35, v37, v30
	v_cvt_f16_f32_e32 v14, v114
	s_delay_alu instid0(VALU_DEP_4) | instskip(NEXT) | instid1(VALU_DEP_2)
	v_exp_f32_e32 v33, v33
	v_mul_f32_e32 v36, 0x3fb8aa3b, v35
	s_delay_alu instid0(VALU_DEP_2) | instskip(NEXT) | instid1(VALU_DEP_2)
	v_and_b32_e32 v14, 0xffff, v14
	v_fma_f32 v37, 0x3fb8aa3b, v35, -v36
	v_rndne_f32_e32 v41, v36
	s_delay_alu instid0(TRANS32_DEP_1) | instskip(NEXT) | instid1(VALU_DEP_4)
	v_ldexp_f32 v33, v33, v34
	v_mul_u32_u24_e32 v14, 0x10001, v14
	s_delay_alu instid0(VALU_DEP_3) | instskip(NEXT) | instid1(VALU_DEP_3)
	v_dual_fmac_f32 v37, 0x32a5705f, v35 :: v_dual_sub_f32 v36, v36, v41
	v_dual_sub_f32 v34, v129, v30 :: v_dual_cndmask_b32 v33, 0, v33
	v_cmp_nlt_f32_e32 vcc_lo, 0x42b17218, v32
	s_delay_alu instid0(VALU_DEP_4) | instskip(NEXT) | instid1(VALU_DEP_4)
	v_pk_mul_f16 v15, v107, v14
	v_add_f32_e32 v36, v36, v37
	v_cvt_i32_f32_e32 v37, v41
	v_pk_mul_f16 v14, v108, v14
	v_cndmask_b32_e32 v115, 0x7f800000, v33, vcc_lo
	v_cmp_ngt_f32_e32 vcc_lo, 0xc2ce8ed0, v35
	v_exp_f32_e32 v36, v36
	v_pk_add_f32 v[108:109], v[110:111], v[112:113]
	s_delay_alu instid0(VALU_DEP_3) | instskip(NEXT) | instid1(VALU_DEP_2)
	v_cvt_f16_f32_e32 v32, v115
	v_pk_fma_f32 v[20:21], v[20:21], v[114:115], v[108:109]
	s_delay_alu instid0(TRANS32_DEP_1) | instskip(NEXT) | instid1(VALU_DEP_3)
	v_ldexp_f32 v36, v36, v37
	v_and_b32_e32 v32, 0xffff, v32
	s_delay_alu instid0(VALU_DEP_2) | instskip(SKIP_2) | instid1(VALU_DEP_4)
	v_cndmask_b32_e32 v36, 0, v36, vcc_lo
	v_cmp_nlt_f32_e32 vcc_lo, 0x42b17218, v35
	v_sub_f32_e32 v35, v38, v30
	v_mul_u32_u24_e32 v32, 0x10001, v32
	s_delay_alu instid0(VALU_DEP_2) | instskip(NEXT) | instid1(VALU_DEP_2)
	v_mul_f32_e32 v37, 0x3fb8aa3b, v35
	v_pk_mul_f16 v33, v105, v32
	v_pk_mul_f16 v32, v106, v32
	s_delay_alu instid0(VALU_DEP_3) | instskip(SKIP_3) | instid1(VALU_DEP_3)
	v_fma_f32 v38, 0x3fb8aa3b, v35, -v37
	v_rndne_f32_e32 v41, v37
	v_cndmask_b32_e32 v36, 0x7f800000, v36, vcc_lo
	v_cmp_ngt_f32_e32 vcc_lo, 0xc2ce8ed0, v35
	v_dual_fmac_f32 v38, 0x32a5705f, v35 :: v_dual_sub_f32 v37, v37, v41
	s_delay_alu instid0(VALU_DEP_1) | instskip(SKIP_2) | instid1(VALU_DEP_3)
	v_add_f32_e32 v37, v37, v38
	v_cvt_i32_f32_e32 v38, v41
	v_sub_f32_e32 v41, v128, v31
	v_exp_f32_e32 v37, v37
	v_nop
	s_delay_alu instid0(TRANS32_DEP_1) | instskip(NEXT) | instid1(VALU_DEP_1)
	v_ldexp_f32 v37, v37, v38
	v_cndmask_b32_e32 v37, 0, v37, vcc_lo
	v_cmp_nlt_f32_e32 vcc_lo, 0x42b17218, v35
	v_mul_f32_e32 v35, 0x3fb8aa3b, v34
	s_delay_alu instid0(VALU_DEP_3) | instskip(NEXT) | instid1(VALU_DEP_2)
	v_cndmask_b32_e32 v106, 0x7f800000, v37, vcc_lo
	v_fma_f32 v37, 0x3fb8aa3b, v34, -v35
	v_rndne_f32_e32 v38, v35
	v_cmp_ngt_f32_e32 vcc_lo, 0xc2ce8ed0, v34
	s_delay_alu instid0(VALU_DEP_3) | instskip(NEXT) | instid1(VALU_DEP_3)
	v_fmac_f32_e32 v37, 0x32a5705f, v34
	v_sub_f32_e32 v35, v35, v38
	s_delay_alu instid0(VALU_DEP_1) | instskip(SKIP_1) | instid1(VALU_DEP_2)
	v_add_f32_e32 v35, v35, v37
	v_cvt_i32_f32_e32 v37, v38
	v_exp_f32_e32 v35, v35
	v_nop
	s_delay_alu instid0(TRANS32_DEP_1) | instskip(SKIP_1) | instid1(VALU_DEP_1)
	v_ldexp_f32 v35, v35, v37
	v_sub_f32_e32 v37, v39, v31
	v_mul_f32_e32 v39, 0x3fb8aa3b, v37
	s_delay_alu instid0(VALU_DEP_3) | instskip(SKIP_1) | instid1(VALU_DEP_2)
	v_cndmask_b32_e32 v35, 0, v35, vcc_lo
	v_cmp_nlt_f32_e32 vcc_lo, 0x42b17218, v34
	v_cndmask_b32_e32 v38, 0x7f800000, v35, vcc_lo
	v_cmp_ngt_f32_e32 vcc_lo, 0xc2ce8ed0, v37
	s_delay_alu instid0(VALU_DEP_2) | instskip(NEXT) | instid1(VALU_DEP_1)
	v_cvt_f16_f32_e32 v34, v38
	v_and_b32_e32 v34, 0xffff, v34
	s_delay_alu instid0(VALU_DEP_1) | instskip(NEXT) | instid1(VALU_DEP_1)
	v_mul_u32_u24_e32 v34, 0x10001, v34
	v_pk_mul_f16 v35, v103, v34
	v_pk_mul_f16 v34, v104, v34
	v_fma_f32 v103, 0x3fb8aa3b, v37, -v39
	v_rndne_f32_e32 v104, v39
	s_delay_alu instid0(VALU_DEP_2) | instskip(NEXT) | instid1(VALU_DEP_2)
	v_fmac_f32_e32 v103, 0x32a5705f, v37
	v_sub_f32_e32 v39, v39, v104
	s_delay_alu instid0(VALU_DEP_1) | instskip(SKIP_1) | instid1(VALU_DEP_2)
	v_add_f32_e32 v39, v39, v103
	v_cvt_i32_f32_e32 v103, v104
	v_exp_f32_e32 v39, v39
	v_nop
	s_delay_alu instid0(TRANS32_DEP_1) | instskip(NEXT) | instid1(VALU_DEP_1)
	v_ldexp_f32 v39, v39, v103
	v_cndmask_b32_e32 v39, 0, v39, vcc_lo
	v_cmp_nlt_f32_e32 vcc_lo, 0x42b17218, v37
	s_delay_alu instid0(VALU_DEP_2) | instskip(SKIP_1) | instid1(VALU_DEP_1)
	v_cndmask_b32_e32 v37, 0x7f800000, v39, vcc_lo
	v_sub_f32_e32 v39, v40, v31
	v_mul_f32_e32 v40, 0x3fb8aa3b, v39
	v_cmp_ngt_f32_e32 vcc_lo, 0xc2ce8ed0, v39
	s_delay_alu instid0(VALU_DEP_2) | instskip(SKIP_1) | instid1(VALU_DEP_1)
	v_fma_f32 v103, 0x3fb8aa3b, v39, -v40
	v_rndne_f32_e32 v104, v40
	v_dual_fmac_f32 v103, 0x32a5705f, v39 :: v_dual_sub_f32 v40, v40, v104
	s_delay_alu instid0(VALU_DEP_1) | instskip(SKIP_2) | instid1(VALU_DEP_3)
	v_add_f32_e32 v40, v40, v103
	v_cvt_i32_f32_e32 v103, v104
	v_pk_add_f32 v[104:105], v[42:43], v[44:45]
	v_exp_f32_e32 v40, v40
	s_delay_alu instid0(VALU_DEP_1) | instskip(NEXT) | instid1(TRANS32_DEP_1)
	v_pk_fma_f32 v[18:19], v[18:19], v[46:47], v[104:105]
	v_ldexp_f32 v40, v40, v103
	s_delay_alu instid0(VALU_DEP_1) | instskip(SKIP_2) | instid1(VALU_DEP_3)
	v_cndmask_b32_e32 v40, 0, v40, vcc_lo
	v_cmp_nlt_f32_e32 vcc_lo, 0x42b17218, v39
	v_mul_f32_e32 v39, 0x3fb8aa3b, v41
	v_cndmask_b32_e32 v107, 0x7f800000, v40, vcc_lo
	s_delay_alu instid0(VALU_DEP_2) | instskip(SKIP_2) | instid1(VALU_DEP_4)
	v_fma_f32 v40, 0x3fb8aa3b, v41, -v39
	v_rndne_f32_e32 v103, v39
	v_cmp_ngt_f32_e32 vcc_lo, 0xc2ce8ed0, v41
	v_pk_add_f32 v[128:129], v[36:37], v[106:107]
	s_delay_alu instid0(VALU_DEP_3) | instskip(NEXT) | instid1(VALU_DEP_1)
	v_dual_fmac_f32 v40, 0x32a5705f, v41 :: v_dual_sub_f32 v39, v39, v103
	v_add_f32_e32 v39, v39, v40
	v_cvt_i32_f32_e32 v40, v103
	s_delay_alu instid0(VALU_DEP_2) | instskip(SKIP_1) | instid1(TRANS32_DEP_1)
	v_exp_f32_e32 v39, v39
	v_nop
	v_ldexp_f32 v39, v39, v40
	s_delay_alu instid0(VALU_DEP_1) | instskip(SKIP_2) | instid1(VALU_DEP_3)
	v_cndmask_b32_e32 v39, 0, v39, vcc_lo
	v_cmp_nlt_f32_e32 vcc_lo, 0x42b17218, v41
	v_pk_add_f32 v[40:41], v[0:1], v[2:3]
	v_cndmask_b32_e32 v39, 0x7f800000, v39, vcc_lo
	s_delay_alu instid0(VALU_DEP_2) | instskip(NEXT) | instid1(VALU_DEP_2)
	v_pk_fma_f32 v[16:17], v[16:17], v[4:5], v[40:41]
	v_pk_fma_f32 v[22:23], v[22:23], v[38:39], v[128:129]
	v_cvt_f16_f32_e32 v4, v39
	v_cvt_pk_f16_f32 v39, v36, v37
	v_cvt_pk_f16_f32 v36, v0, v1
	v_add_nc_u64_e32 v[0:1], s[38:39], v[78:79]
	v_cvt_pk_f16_f32 v38, v110, v111
	v_cvt_pk_f16_f32 v37, v42, v43
	v_and_b32_e32 v4, 0xffff, v4
	s_delay_alu instid0(VALU_DEP_4)
	v_add_nc_u64_e32 v[0:1], v[0:1], v[70:71]
	ds_store_b128 v126, v[36:39]
	v_cvt_pk_f16_f32 v36, v2, v3
	v_cvt_pk_f16_f32 v39, v106, v107
	;; [unrolled: 1-line block ×4, first 2 shown]
	v_mul_u32_u24_e32 v4, 0x10001, v4
	global_load_b128 v[0:3], v[0:1], off
	ds_store_b128 v126, v[36:39] offset:512
	v_pk_mul_f16 v5, v101, v4
	v_pk_mul_f16 v4, v102, v4
	s_wait_loadcnt 0x0
	ds_store_b128 v123, v[0:3]
	v_add_nc_u64_e32 v[0:1], s[38:39], v[80:81]
	s_or_b32 s38, s14, 32
	s_delay_alu instid0(SALU_CYCLE_1) | instskip(NEXT) | instid1(SALU_CYCLE_1)
	s_ashr_i32 s39, s38, 31
	s_mul_u64 s[38:39], s[38:39], s[10:11]
	s_delay_alu instid0(VALU_DEP_1) | instskip(SKIP_1) | instid1(SALU_CYCLE_1)
	v_add_nc_u64_e32 v[0:1], v[0:1], v[70:71]
	s_lshl_b64 s[38:39], s[38:39], 2
	s_add_nc_u64 s[38:39], s[8:9], s[38:39]
	global_load_b128 v[0:3], v[0:1], off
	s_wait_loadcnt 0x0
	ds_store_b128 v124, v[0:3]
	s_wait_dscnt 0x0
	s_barrier_signal -1
	s_barrier_wait -1
	ds_load_2addr_b64 v[0:3], v125 offset1:32
	ds_load_b128 v[36:39], v122
	ds_load_b128 v[40:43], v122 offset:16
	ds_load_b128 v[44:47], v122 offset:32
	;; [unrolled: 1-line block ×3, first 2 shown]
	s_wait_dscnt 0x3
	v_dual_lshrrev_b32 v101, 16, v36 :: v_dual_lshrrev_b32 v106, 16, v37
	v_dual_lshrrev_b32 v107, 16, v38 :: v_dual_lshrrev_b32 v108, 16, v39
	v_and_b32_e32 v36, 0xffff, v36
	v_and_b32_e32 v37, 0xffff, v37
	;; [unrolled: 1-line block ×4, first 2 shown]
	v_mul_u32_u24_e32 v101, 0x10001, v101
	v_mul_u32_u24_e32 v36, 0x10001, v36
	;; [unrolled: 1-line block ×8, first 2 shown]
	v_pk_fma_f16 v7, v0, v36, v7
	v_pk_fma_f16 v9, v0, v101, v9
	;; [unrolled: 1-line block ×16, first 2 shown]
	s_wait_dscnt 0x2
	v_dual_lshrrev_b32 v4, 16, v40 :: v_dual_lshrrev_b32 v34, 16, v41
	v_dual_lshrrev_b32 v36, 16, v42 :: v_dual_lshrrev_b32 v37, 16, v43
	v_and_b32_e32 v38, 0xffff, v40
	v_and_b32_e32 v39, 0xffff, v41
	;; [unrolled: 1-line block ×4, first 2 shown]
	v_mul_u32_u24_e32 v4, 0x10001, v4
	v_mul_u32_u24_e32 v38, 0x10001, v38
	;; [unrolled: 1-line block ×8, first 2 shown]
	v_pk_fma_f16 v7, v2, v38, v7
	v_pk_fma_f16 v9, v2, v4, v9
	;; [unrolled: 1-line block ×16, first 2 shown]
	ds_load_2addr_b64 v[0:3], v125 offset0:64 offset1:96
	s_wait_dscnt 0x2
	v_dual_lshrrev_b32 v34, 16, v44 :: v_dual_lshrrev_b32 v36, 16, v45
	v_dual_lshrrev_b32 v37, 16, v46 :: v_dual_lshrrev_b32 v38, 16, v47
	v_and_b32_e32 v39, 0xffff, v44
	v_and_b32_e32 v40, 0xffff, v45
	;; [unrolled: 1-line block ×4, first 2 shown]
	v_mul_u32_u24_e32 v34, 0x10001, v34
	v_mul_u32_u24_e32 v39, 0x10001, v39
	;; [unrolled: 1-line block ×8, first 2 shown]
	s_wait_dscnt 0x0
	v_pk_fma_f16 v7, v0, v39, v7
	v_pk_fma_f16 v9, v0, v34, v9
	;; [unrolled: 1-line block ×16, first 2 shown]
	v_dual_lshrrev_b32 v32, 16, v102 :: v_dual_lshrrev_b32 v34, 16, v103
	v_dual_lshrrev_b32 v36, 16, v104 :: v_dual_lshrrev_b32 v37, 16, v105
	v_and_b32_e32 v38, 0xffff, v102
	v_and_b32_e32 v39, 0xffff, v103
	v_and_b32_e32 v40, 0xffff, v104
	v_and_b32_e32 v41, 0xffff, v105
	v_mul_u32_u24_e32 v32, 0x10001, v32
	v_mul_u32_u24_e32 v38, 0x10001, v38
	;; [unrolled: 1-line block ×8, first 2 shown]
	v_pk_fma_f16 v42, v2, v38, v7
	v_pk_fma_f16 v9, v2, v32, v9
	v_pk_fma_f16 v11, v2, v39, v11
	v_pk_fma_f16 v13, v2, v34, v13
	v_pk_fma_f16 v15, v2, v40, v15
	v_pk_fma_f16 v33, v2, v36, v33
	v_pk_fma_f16 v35, v2, v41, v35
	v_pk_fma_f16 v43, v2, v37, v0
	v_pk_fma_f16 v38, v3, v38, v5
	v_pk_fma_f16 v32, v3, v32, v4
	v_pk_fma_f16 v39, v3, v39, v6
	v_pk_fma_f16 v8, v3, v34, v8
	v_pk_fma_f16 v10, v3, v40, v10
	v_pk_fma_f16 v12, v3, v36, v12
	v_pk_fma_f16 v14, v3, v41, v14
	v_pk_fma_f16 v34, v3, v37, v1
	ds_load_2addr_b64 v[0:3], v125 offset0:128 offset1:160
	ds_load_b128 v[4:7], v122 offset:64
	s_wait_dscnt 0x0
	v_dual_lshrrev_b32 v36, 16, v4 :: v_dual_lshrrev_b32 v37, 16, v5
	v_dual_lshrrev_b32 v40, 16, v6 :: v_dual_lshrrev_b32 v41, 16, v7
	v_and_b32_e32 v4, 0xffff, v4
	v_and_b32_e32 v5, 0xffff, v5
	;; [unrolled: 1-line block ×4, first 2 shown]
	v_mul_u32_u24_e32 v36, 0x10001, v36
	v_mul_u32_u24_e32 v4, 0x10001, v4
	;; [unrolled: 1-line block ×5, first 2 shown]
	v_pk_fma_f16 v9, v0, v36, v9
	v_pk_fma_f16 v42, v0, v4, v42
	;; [unrolled: 1-line block ×10, first 2 shown]
	ds_load_b128 v[4:7], v122 offset:80
	v_mul_u32_u24_e32 v37, 0x10001, v37
	v_mul_u32_u24_e32 v40, 0x10001, v40
	;; [unrolled: 1-line block ×3, first 2 shown]
	s_delay_alu instid0(VALU_DEP_3) | instskip(NEXT) | instid1(VALU_DEP_3)
	v_pk_fma_f16 v13, v0, v37, v13
	v_pk_fma_f16 v33, v0, v40, v33
	;; [unrolled: 1-line block ×6, first 2 shown]
	s_wait_dscnt 0x0
	v_dual_lshrrev_b32 v34, 16, v4 :: v_dual_lshrrev_b32 v37, 16, v5
	v_dual_lshrrev_b32 v39, 16, v6 :: v_dual_lshrrev_b32 v40, 16, v7
	v_and_b32_e32 v4, 0xffff, v4
	v_and_b32_e32 v5, 0xffff, v5
	;; [unrolled: 1-line block ×4, first 2 shown]
	v_mul_u32_u24_e32 v34, 0x10001, v34
	v_mul_u32_u24_e32 v4, 0x10001, v4
	;; [unrolled: 1-line block ×8, first 2 shown]
	v_pk_fma_f16 v41, v2, v4, v42
	v_pk_fma_f16 v9, v2, v34, v9
	;; [unrolled: 1-line block ×16, first 2 shown]
	ds_load_2addr_b64 v[0:3], v125 offset0:192 offset1:224
	ds_load_b128 v[4:7], v122 offset:96
	s_wait_dscnt 0x0
	v_dual_lshrrev_b32 v37, 16, v4 :: v_dual_lshrrev_b32 v39, 16, v5
	v_dual_lshrrev_b32 v40, 16, v6 :: v_dual_lshrrev_b32 v43, 16, v7
	v_and_b32_e32 v4, 0xffff, v4
	v_and_b32_e32 v5, 0xffff, v5
	;; [unrolled: 1-line block ×4, first 2 shown]
	v_mul_u32_u24_e32 v37, 0x10001, v37
	v_mul_u32_u24_e32 v4, 0x10001, v4
	;; [unrolled: 1-line block ×6, first 2 shown]
	v_pk_fma_f16 v41, v0, v4, v41
	v_pk_fma_f16 v11, v0, v5, v11
	;; [unrolled: 1-line block ×8, first 2 shown]
	ds_load_b128 v[4:7], v122 offset:112
	v_mul_u32_u24_e32 v40, 0x10001, v40
	v_mul_u32_u24_e32 v43, 0x10001, v43
	v_pk_fma_f16 v9, v0, v37, v9
	v_pk_fma_f16 v32, v1, v37, v32
	;; [unrolled: 1-line block ×8, first 2 shown]
	s_wait_dscnt 0x0
	v_dual_lshrrev_b32 v36, 16, v4 :: v_dual_lshrrev_b32 v37, 16, v5
	v_dual_lshrrev_b32 v39, 16, v6 :: v_dual_lshrrev_b32 v40, 16, v7
	v_and_b32_e32 v4, 0xffff, v4
	s_delay_alu instid0(VALU_DEP_3)
	v_mul_u32_u24_e32 v36, 0x10001, v36
	v_and_b32_e32 v5, 0xffff, v5
	v_mul_u32_u24_e32 v37, 0x10001, v37
	v_and_b32_e32 v6, 0xffff, v6
	v_and_b32_e32 v7, 0xffff, v7
	v_mul_u32_u24_e32 v40, 0x10001, v40
	v_mul_u32_u24_e32 v4, 0x10001, v4
	v_mul_u32_u24_e32 v5, 0x10001, v5
	v_mul_u32_u24_e32 v6, 0x10001, v6
	v_mul_u32_u24_e32 v39, 0x10001, v39
	v_mul_u32_u24_e32 v7, 0x10001, v7
	v_pk_fma_f16 v42, v2, v36, v9
	v_pk_fma_f16 v13, v2, v37, v13
	;; [unrolled: 1-line block ×5, first 2 shown]
	v_add_nc_u32_e32 v1, 0x800, v125
	v_pk_fma_f16 v41, v2, v4, v41
	v_pk_fma_f16 v11, v2, v5, v11
	v_pk_fma_f16 v15, v2, v6, v15
	v_pk_fma_f16 v33, v2, v39, v33
	v_pk_fma_f16 v35, v2, v7, v35
	v_pk_fma_f16 v0, v2, v40, v0
	v_pk_fma_f16 v38, v3, v4, v38
	v_pk_fma_f16 v34, v3, v5, v34
	v_pk_fma_f16 v10, v3, v6, v10
	v_pk_fma_f16 v12, v3, v39, v12
	v_pk_fma_f16 v14, v3, v7, v14
	ds_load_2addr_b64 v[2:5], v1 offset1:32
	ds_load_b128 v[6:9], v122 offset:128
	s_wait_dscnt 0x0
	v_dual_lshrrev_b32 v39, 16, v6 :: v_dual_lshrrev_b32 v40, 16, v7
	v_dual_lshrrev_b32 v43, 16, v8 :: v_dual_lshrrev_b32 v44, 16, v9
	v_and_b32_e32 v6, 0xffff, v6
	v_and_b32_e32 v7, 0xffff, v7
	;; [unrolled: 1-line block ×4, first 2 shown]
	v_mul_u32_u24_e32 v39, 0x10001, v39
	v_mul_u32_u24_e32 v6, 0x10001, v6
	;; [unrolled: 1-line block ×8, first 2 shown]
	v_pk_fma_f16 v41, v2, v6, v41
	v_pk_fma_f16 v42, v2, v39, v42
	v_pk_fma_f16 v11, v2, v7, v11
	v_pk_fma_f16 v13, v2, v40, v13
	v_pk_fma_f16 v15, v2, v8, v15
	v_pk_fma_f16 v33, v2, v43, v33
	v_pk_fma_f16 v35, v2, v9, v35
	v_pk_fma_f16 v0, v2, v44, v0
	v_pk_fma_f16 v2, v3, v6, v38
	v_pk_fma_f16 v34, v3, v7, v34
	v_pk_fma_f16 v10, v3, v8, v10
	v_pk_fma_f16 v14, v3, v9, v14
	ds_load_b128 v[6:9], v122 offset:144
	v_pk_fma_f16 v32, v3, v39, v32
	v_pk_fma_f16 v36, v3, v40, v36
	;; [unrolled: 1-line block ×4, first 2 shown]
	s_wait_dscnt 0x0
	v_dual_lshrrev_b32 v37, 16, v6 :: v_dual_lshrrev_b32 v38, 16, v7
	v_dual_lshrrev_b32 v39, 16, v8 :: v_dual_lshrrev_b32 v40, 16, v9
	v_and_b32_e32 v6, 0xffff, v6
	v_and_b32_e32 v7, 0xffff, v7
	;; [unrolled: 1-line block ×4, first 2 shown]
	v_mul_u32_u24_e32 v37, 0x10001, v37
	v_mul_u32_u24_e32 v6, 0x10001, v6
	;; [unrolled: 1-line block ×8, first 2 shown]
	v_pk_fma_f16 v41, v4, v6, v41
	v_pk_fma_f16 v42, v4, v37, v42
	;; [unrolled: 1-line block ×16, first 2 shown]
	ds_load_2addr_b64 v[2:5], v1 offset0:64 offset1:96
	ds_load_b128 v[6:9], v122 offset:160
	s_wait_dscnt 0x0
	v_dual_lshrrev_b32 v38, 16, v6 :: v_dual_lshrrev_b32 v39, 16, v7
	v_dual_lshrrev_b32 v40, 16, v8 :: v_dual_lshrrev_b32 v44, 16, v9
	v_and_b32_e32 v6, 0xffff, v6
	v_and_b32_e32 v7, 0xffff, v7
	;; [unrolled: 1-line block ×4, first 2 shown]
	v_mul_u32_u24_e32 v38, 0x10001, v38
	v_mul_u32_u24_e32 v6, 0x10001, v6
	;; [unrolled: 1-line block ×8, first 2 shown]
	v_pk_fma_f16 v41, v2, v6, v41
	v_pk_fma_f16 v42, v2, v38, v42
	;; [unrolled: 1-line block ×12, first 2 shown]
	ds_load_b128 v[6:9], v122 offset:176
	v_pk_fma_f16 v32, v3, v38, v32
	v_pk_fma_f16 v36, v3, v39, v36
	;; [unrolled: 1-line block ×4, first 2 shown]
	s_wait_dscnt 0x0
	v_dual_lshrrev_b32 v37, 16, v6 :: v_dual_lshrrev_b32 v38, 16, v7
	v_dual_lshrrev_b32 v39, 16, v8 :: v_dual_lshrrev_b32 v40, 16, v9
	v_and_b32_e32 v6, 0xffff, v6
	v_and_b32_e32 v7, 0xffff, v7
	;; [unrolled: 1-line block ×4, first 2 shown]
	v_mul_u32_u24_e32 v37, 0x10001, v37
	v_mul_u32_u24_e32 v6, 0x10001, v6
	;; [unrolled: 1-line block ×8, first 2 shown]
	v_pk_fma_f16 v41, v4, v6, v41
	v_pk_fma_f16 v42, v4, v37, v42
	;; [unrolled: 1-line block ×16, first 2 shown]
	ds_load_2addr_b64 v[2:5], v1 offset0:128 offset1:160
	ds_load_b128 v[6:9], v122 offset:192
	s_wait_dscnt 0x0
	v_dual_lshrrev_b32 v38, 16, v6 :: v_dual_lshrrev_b32 v39, 16, v7
	v_dual_lshrrev_b32 v40, 16, v8 :: v_dual_lshrrev_b32 v44, 16, v9
	v_and_b32_e32 v6, 0xffff, v6
	v_and_b32_e32 v7, 0xffff, v7
	v_and_b32_e32 v8, 0xffff, v8
	v_and_b32_e32 v9, 0xffff, v9
	v_mul_u32_u24_e32 v38, 0x10001, v38
	v_mul_u32_u24_e32 v6, 0x10001, v6
	;; [unrolled: 1-line block ×8, first 2 shown]
	v_pk_fma_f16 v41, v2, v6, v41
	v_pk_fma_f16 v42, v2, v38, v42
	;; [unrolled: 1-line block ×12, first 2 shown]
	ds_load_b128 v[6:9], v122 offset:208
	v_pk_fma_f16 v32, v3, v38, v32
	v_pk_fma_f16 v36, v3, v39, v36
	;; [unrolled: 1-line block ×4, first 2 shown]
	s_wait_dscnt 0x0
	v_dual_lshrrev_b32 v37, 16, v6 :: v_dual_lshrrev_b32 v38, 16, v7
	v_dual_lshrrev_b32 v39, 16, v8 :: v_dual_lshrrev_b32 v40, 16, v9
	v_and_b32_e32 v6, 0xffff, v6
	v_and_b32_e32 v7, 0xffff, v7
	;; [unrolled: 1-line block ×4, first 2 shown]
	v_mul_u32_u24_e32 v37, 0x10001, v37
	v_mul_u32_u24_e32 v6, 0x10001, v6
	;; [unrolled: 1-line block ×8, first 2 shown]
	v_pk_fma_f16 v41, v4, v6, v41
	v_pk_fma_f16 v42, v4, v37, v42
	;; [unrolled: 1-line block ×16, first 2 shown]
	ds_load_2addr_b64 v[2:5], v1 offset0:192 offset1:224
	ds_load_b128 v[6:9], v122 offset:224
	s_wait_dscnt 0x0
	v_dual_lshrrev_b32 v38, 16, v6 :: v_dual_lshrrev_b32 v39, 16, v7
	v_dual_lshrrev_b32 v40, 16, v8 :: v_dual_lshrrev_b32 v44, 16, v9
	v_and_b32_e32 v6, 0xffff, v6
	v_and_b32_e32 v7, 0xffff, v7
	;; [unrolled: 1-line block ×4, first 2 shown]
	v_mul_u32_u24_e32 v38, 0x10001, v38
	v_mul_u32_u24_e32 v6, 0x10001, v6
	;; [unrolled: 1-line block ×8, first 2 shown]
	v_pk_fma_f16 v41, v2, v6, v41
	v_pk_fma_f16 v42, v2, v38, v42
	;; [unrolled: 1-line block ×12, first 2 shown]
	ds_load_b128 v[6:9], v122 offset:240
	v_pk_fma_f16 v32, v3, v38, v32
	v_pk_fma_f16 v36, v3, v39, v36
	;; [unrolled: 1-line block ×4, first 2 shown]
	s_wait_dscnt 0x0
	v_lshrrev_b32_e32 v37, 16, v6
	v_and_b32_e32 v6, 0xffff, v6
	v_dual_lshrrev_b32 v38, 16, v7 :: v_dual_lshrrev_b32 v39, 16, v8
	v_lshrrev_b32_e32 v40, 16, v9
	v_and_b32_e32 v7, 0xffff, v7
	s_delay_alu instid0(VALU_DEP_4)
	v_mul_u32_u24_e32 v6, 0x10001, v6
	v_and_b32_e32 v8, 0xffff, v8
	v_and_b32_e32 v9, 0xffff, v9
	v_mul_u32_u24_e32 v37, 0x10001, v37
	v_mul_u32_u24_e32 v7, 0x10001, v7
	;; [unrolled: 1-line block ×7, first 2 shown]
	v_pk_fma_f16 v44, v5, v6, v2
	v_add_nc_u32_e32 v2, 0x1000, v125
	v_pk_fma_f16 v41, v4, v6, v41
	v_pk_fma_f16 v42, v4, v37, v42
	;; [unrolled: 1-line block ×15, first 2 shown]
	ds_load_2addr_b64 v[4:7], v2 offset1:32
	ds_load_b128 v[8:11], v122 offset:256
	s_wait_dscnt 0x0
	v_dual_lshrrev_b32 v38, 16, v8 :: v_dual_lshrrev_b32 v39, 16, v9
	v_dual_lshrrev_b32 v40, 16, v10 :: v_dual_lshrrev_b32 v45, 16, v11
	v_and_b32_e32 v8, 0xffff, v8
	v_and_b32_e32 v9, 0xffff, v9
	;; [unrolled: 1-line block ×4, first 2 shown]
	v_mul_u32_u24_e32 v38, 0x10001, v38
	v_mul_u32_u24_e32 v8, 0x10001, v8
	;; [unrolled: 1-line block ×8, first 2 shown]
	v_pk_fma_f16 v41, v4, v8, v41
	v_pk_fma_f16 v42, v4, v38, v42
	;; [unrolled: 1-line block ×12, first 2 shown]
	ds_load_b128 v[8:11], v122 offset:272
	v_pk_fma_f16 v32, v5, v38, v32
	v_pk_fma_f16 v36, v5, v39, v36
	;; [unrolled: 1-line block ×4, first 2 shown]
	s_wait_dscnt 0x0
	v_dual_lshrrev_b32 v5, 16, v8 :: v_dual_lshrrev_b32 v38, 16, v9
	v_dual_lshrrev_b32 v39, 16, v10 :: v_dual_lshrrev_b32 v40, 16, v11
	v_and_b32_e32 v8, 0xffff, v8
	v_and_b32_e32 v9, 0xffff, v9
	;; [unrolled: 1-line block ×4, first 2 shown]
	v_mul_u32_u24_e32 v5, 0x10001, v5
	v_mul_u32_u24_e32 v8, 0x10001, v8
	;; [unrolled: 1-line block ×8, first 2 shown]
	v_pk_fma_f16 v41, v6, v8, v41
	v_pk_fma_f16 v42, v6, v5, v42
	;; [unrolled: 1-line block ×16, first 2 shown]
	ds_load_2addr_b64 v[4:7], v2 offset0:64 offset1:96
	ds_load_b128 v[8:11], v122 offset:288
	s_wait_dscnt 0x0
	v_dual_lshrrev_b32 v38, 16, v8 :: v_dual_lshrrev_b32 v39, 16, v9
	v_dual_lshrrev_b32 v40, 16, v10 :: v_dual_lshrrev_b32 v45, 16, v11
	v_and_b32_e32 v8, 0xffff, v8
	v_and_b32_e32 v9, 0xffff, v9
	v_and_b32_e32 v10, 0xffff, v10
	v_and_b32_e32 v11, 0xffff, v11
	v_mul_u32_u24_e32 v38, 0x10001, v38
	v_mul_u32_u24_e32 v8, 0x10001, v8
	;; [unrolled: 1-line block ×8, first 2 shown]
	v_pk_fma_f16 v41, v4, v8, v41
	v_pk_fma_f16 v42, v4, v38, v42
	;; [unrolled: 1-line block ×12, first 2 shown]
	ds_load_b128 v[8:11], v122 offset:304
	v_pk_fma_f16 v32, v5, v38, v32
	v_pk_fma_f16 v36, v5, v39, v36
	;; [unrolled: 1-line block ×4, first 2 shown]
	s_wait_dscnt 0x0
	v_dual_lshrrev_b32 v5, 16, v8 :: v_dual_lshrrev_b32 v38, 16, v9
	v_dual_lshrrev_b32 v39, 16, v10 :: v_dual_lshrrev_b32 v40, 16, v11
	v_and_b32_e32 v8, 0xffff, v8
	v_and_b32_e32 v9, 0xffff, v9
	;; [unrolled: 1-line block ×4, first 2 shown]
	v_mul_u32_u24_e32 v5, 0x10001, v5
	v_mul_u32_u24_e32 v8, 0x10001, v8
	v_mul_u32_u24_e32 v9, 0x10001, v9
	v_mul_u32_u24_e32 v38, 0x10001, v38
	v_mul_u32_u24_e32 v10, 0x10001, v10
	v_mul_u32_u24_e32 v39, 0x10001, v39
	v_mul_u32_u24_e32 v11, 0x10001, v11
	v_mul_u32_u24_e32 v40, 0x10001, v40
	v_pk_fma_f16 v41, v6, v8, v41
	v_pk_fma_f16 v42, v6, v5, v42
	;; [unrolled: 1-line block ×16, first 2 shown]
	ds_load_2addr_b64 v[4:7], v2 offset0:128 offset1:160
	ds_load_b128 v[8:11], v122 offset:320
	s_wait_dscnt 0x0
	v_dual_lshrrev_b32 v38, 16, v8 :: v_dual_lshrrev_b32 v39, 16, v9
	v_dual_lshrrev_b32 v40, 16, v10 :: v_dual_lshrrev_b32 v45, 16, v11
	v_and_b32_e32 v8, 0xffff, v8
	v_and_b32_e32 v9, 0xffff, v9
	;; [unrolled: 1-line block ×4, first 2 shown]
	v_mul_u32_u24_e32 v38, 0x10001, v38
	v_mul_u32_u24_e32 v8, 0x10001, v8
	;; [unrolled: 1-line block ×8, first 2 shown]
	v_pk_fma_f16 v41, v4, v8, v41
	v_pk_fma_f16 v42, v4, v38, v42
	;; [unrolled: 1-line block ×12, first 2 shown]
	ds_load_b128 v[8:11], v122 offset:336
	v_pk_fma_f16 v32, v5, v38, v32
	v_pk_fma_f16 v36, v5, v39, v36
	;; [unrolled: 1-line block ×4, first 2 shown]
	s_wait_dscnt 0x0
	v_dual_lshrrev_b32 v5, 16, v8 :: v_dual_lshrrev_b32 v38, 16, v9
	v_dual_lshrrev_b32 v39, 16, v10 :: v_dual_lshrrev_b32 v40, 16, v11
	v_and_b32_e32 v8, 0xffff, v8
	v_and_b32_e32 v9, 0xffff, v9
	;; [unrolled: 1-line block ×4, first 2 shown]
	v_mul_u32_u24_e32 v5, 0x10001, v5
	v_mul_u32_u24_e32 v8, 0x10001, v8
	;; [unrolled: 1-line block ×8, first 2 shown]
	v_pk_fma_f16 v41, v6, v8, v41
	v_pk_fma_f16 v42, v6, v5, v42
	;; [unrolled: 1-line block ×16, first 2 shown]
	ds_load_2addr_b64 v[4:7], v2 offset0:192 offset1:224
	ds_load_b128 v[8:11], v122 offset:352
	s_wait_dscnt 0x0
	v_dual_lshrrev_b32 v38, 16, v8 :: v_dual_lshrrev_b32 v39, 16, v9
	v_dual_lshrrev_b32 v40, 16, v10 :: v_dual_lshrrev_b32 v45, 16, v11
	v_and_b32_e32 v8, 0xffff, v8
	v_and_b32_e32 v9, 0xffff, v9
	v_and_b32_e32 v10, 0xffff, v10
	v_and_b32_e32 v11, 0xffff, v11
	v_mul_u32_u24_e32 v38, 0x10001, v38
	v_mul_u32_u24_e32 v8, 0x10001, v8
	;; [unrolled: 1-line block ×8, first 2 shown]
	v_pk_fma_f16 v41, v4, v8, v41
	v_pk_fma_f16 v42, v4, v38, v42
	;; [unrolled: 1-line block ×12, first 2 shown]
	ds_load_b128 v[8:11], v122 offset:368
	v_pk_fma_f16 v12, v5, v40, v12
	v_pk_fma_f16 v32, v5, v38, v32
	;; [unrolled: 1-line block ×4, first 2 shown]
	s_wait_dscnt 0x0
	v_dual_lshrrev_b32 v40, 16, v11 :: v_dual_lshrrev_b32 v5, 16, v8
	v_dual_lshrrev_b32 v38, 16, v9 :: v_dual_lshrrev_b32 v39, 16, v10
	v_and_b32_e32 v8, 0xffff, v8
	v_and_b32_e32 v9, 0xffff, v9
	;; [unrolled: 1-line block ×4, first 2 shown]
	v_mul_u32_u24_e32 v40, 0x10001, v40
	v_mul_u32_u24_e32 v8, 0x10001, v8
	;; [unrolled: 1-line block ×8, first 2 shown]
	v_pk_fma_f16 v44, v6, v40, v0
	v_add_nc_u32_e32 v0, 0x1800, v125
	v_pk_fma_f16 v41, v6, v8, v41
	v_pk_fma_f16 v42, v6, v5, v42
	;; [unrolled: 1-line block ×15, first 2 shown]
	ds_load_2addr_b64 v[4:7], v0 offset1:32
	ds_load_b128 v[8:11], v122 offset:384
	s_wait_dscnt 0x0
	v_dual_lshrrev_b32 v38, 16, v8 :: v_dual_lshrrev_b32 v39, 16, v9
	v_dual_lshrrev_b32 v40, 16, v10 :: v_dual_lshrrev_b32 v46, 16, v11
	v_and_b32_e32 v8, 0xffff, v8
	v_and_b32_e32 v9, 0xffff, v9
	;; [unrolled: 1-line block ×4, first 2 shown]
	v_mul_u32_u24_e32 v38, 0x10001, v38
	v_mul_u32_u24_e32 v8, 0x10001, v8
	;; [unrolled: 1-line block ×8, first 2 shown]
	v_pk_fma_f16 v41, v4, v8, v41
	v_pk_fma_f16 v42, v4, v38, v42
	;; [unrolled: 1-line block ×12, first 2 shown]
	ds_load_b128 v[8:11], v122 offset:400
	v_pk_fma_f16 v32, v5, v38, v32
	v_pk_fma_f16 v36, v5, v39, v36
	;; [unrolled: 1-line block ×4, first 2 shown]
	s_wait_dscnt 0x0
	v_dual_lshrrev_b32 v5, 16, v8 :: v_dual_lshrrev_b32 v38, 16, v9
	v_dual_lshrrev_b32 v39, 16, v10 :: v_dual_lshrrev_b32 v40, 16, v11
	v_and_b32_e32 v8, 0xffff, v8
	v_and_b32_e32 v9, 0xffff, v9
	;; [unrolled: 1-line block ×4, first 2 shown]
	v_mul_u32_u24_e32 v5, 0x10001, v5
	v_mul_u32_u24_e32 v8, 0x10001, v8
	;; [unrolled: 1-line block ×8, first 2 shown]
	v_pk_fma_f16 v41, v6, v8, v41
	v_pk_fma_f16 v42, v6, v5, v42
	;; [unrolled: 1-line block ×16, first 2 shown]
	ds_load_2addr_b64 v[4:7], v0 offset0:64 offset1:96
	ds_load_b128 v[8:11], v122 offset:416
	s_wait_dscnt 0x0
	v_dual_lshrrev_b32 v38, 16, v8 :: v_dual_lshrrev_b32 v39, 16, v9
	v_dual_lshrrev_b32 v40, 16, v10 :: v_dual_lshrrev_b32 v46, 16, v11
	v_and_b32_e32 v8, 0xffff, v8
	v_and_b32_e32 v9, 0xffff, v9
	;; [unrolled: 1-line block ×4, first 2 shown]
	v_mul_u32_u24_e32 v38, 0x10001, v38
	v_mul_u32_u24_e32 v8, 0x10001, v8
	v_mul_u32_u24_e32 v9, 0x10001, v9
	v_mul_u32_u24_e32 v10, 0x10001, v10
	v_mul_u32_u24_e32 v11, 0x10001, v11
	v_mul_u32_u24_e32 v39, 0x10001, v39
	v_pk_fma_f16 v41, v4, v8, v41
	v_pk_fma_f16 v43, v4, v9, v43
	;; [unrolled: 1-line block ×8, first 2 shown]
	ds_load_b128 v[8:11], v122 offset:432
	v_mul_u32_u24_e32 v40, 0x10001, v40
	v_mul_u32_u24_e32 v46, 0x10001, v46
	v_pk_fma_f16 v42, v4, v38, v42
	v_pk_fma_f16 v13, v4, v39, v13
	;; [unrolled: 1-line block ×8, first 2 shown]
	s_wait_dscnt 0x0
	v_dual_lshrrev_b32 v5, 16, v8 :: v_dual_lshrrev_b32 v38, 16, v9
	v_dual_lshrrev_b32 v39, 16, v10 :: v_dual_lshrrev_b32 v40, 16, v11
	v_and_b32_e32 v8, 0xffff, v8
	v_and_b32_e32 v9, 0xffff, v9
	;; [unrolled: 1-line block ×4, first 2 shown]
	v_mul_u32_u24_e32 v5, 0x10001, v5
	v_mul_u32_u24_e32 v8, 0x10001, v8
	;; [unrolled: 1-line block ×8, first 2 shown]
	v_pk_fma_f16 v41, v6, v8, v41
	v_pk_fma_f16 v42, v6, v5, v42
	;; [unrolled: 1-line block ×16, first 2 shown]
	ds_load_2addr_b64 v[4:7], v0 offset0:128 offset1:160
	ds_load_b128 v[8:11], v122 offset:448
	s_wait_dscnt 0x0
	v_dual_lshrrev_b32 v38, 16, v8 :: v_dual_lshrrev_b32 v39, 16, v9
	v_dual_lshrrev_b32 v40, 16, v10 :: v_dual_lshrrev_b32 v46, 16, v11
	v_and_b32_e32 v8, 0xffff, v8
	v_and_b32_e32 v9, 0xffff, v9
	;; [unrolled: 1-line block ×4, first 2 shown]
	v_mul_u32_u24_e32 v38, 0x10001, v38
	v_mul_u32_u24_e32 v8, 0x10001, v8
	;; [unrolled: 1-line block ×6, first 2 shown]
	v_pk_fma_f16 v41, v4, v8, v41
	v_pk_fma_f16 v43, v4, v9, v43
	;; [unrolled: 1-line block ×8, first 2 shown]
	ds_load_b128 v[8:11], v122 offset:464
	v_mul_u32_u24_e32 v40, 0x10001, v40
	v_mul_u32_u24_e32 v46, 0x10001, v46
	v_pk_fma_f16 v42, v4, v38, v42
	v_pk_fma_f16 v13, v4, v39, v13
	;; [unrolled: 1-line block ×8, first 2 shown]
	s_wait_dscnt 0x0
	v_dual_lshrrev_b32 v5, 16, v8 :: v_dual_lshrrev_b32 v38, 16, v9
	v_dual_lshrrev_b32 v39, 16, v10 :: v_dual_lshrrev_b32 v40, 16, v11
	v_and_b32_e32 v8, 0xffff, v8
	v_and_b32_e32 v9, 0xffff, v9
	;; [unrolled: 1-line block ×4, first 2 shown]
	v_mul_u32_u24_e32 v5, 0x10001, v5
	v_mul_u32_u24_e32 v8, 0x10001, v8
	;; [unrolled: 1-line block ×8, first 2 shown]
	v_pk_fma_f16 v41, v6, v8, v41
	v_pk_fma_f16 v42, v6, v5, v42
	;; [unrolled: 1-line block ×16, first 2 shown]
	ds_load_2addr_b64 v[32:35], v0 offset0:192 offset1:224
	ds_load_b128 v[4:7], v122 offset:480
	s_wait_dscnt 0x0
	v_dual_lshrrev_b32 v14, 16, v4 :: v_dual_lshrrev_b32 v37, 16, v5
	v_dual_lshrrev_b32 v38, 16, v6 :: v_dual_lshrrev_b32 v39, 16, v7
	v_and_b32_e32 v4, 0xffff, v4
	v_and_b32_e32 v5, 0xffff, v5
	;; [unrolled: 1-line block ×4, first 2 shown]
	v_mul_u32_u24_e32 v14, 0x10001, v14
	v_mul_u32_u24_e32 v4, 0x10001, v4
	;; [unrolled: 1-line block ×8, first 2 shown]
	v_pk_fma_f16 v40, v32, v4, v41
	v_pk_fma_f16 v41, v32, v14, v42
	;; [unrolled: 1-line block ×14, first 2 shown]
	ds_load_b128 v[4:7], v122 offset:496
	v_pk_fma_f16 v39, v33, v39, v3
	v_pk_fma_f16 v38, v33, v38, v12
	s_wait_dscnt 0x0
	s_barrier_signal -1
	s_barrier_wait -1
	v_dual_lshrrev_b32 v3, 16, v4 :: v_dual_lshrrev_b32 v8, 16, v5
	v_lshrrev_b32_e32 v9, 16, v6
	v_and_b32_e32 v4, 0xffff, v4
	v_lshrrev_b32_e32 v10, 16, v7
	s_delay_alu instid0(VALU_DEP_4)
	v_mul_u32_u24_e32 v12, 0x10001, v3
	v_and_b32_e32 v3, 0xffff, v5
	v_mul_u32_u24_e32 v101, 0x10001, v8
	v_mul_u32_u24_e32 v11, 0x10001, v4
	;; [unrolled: 1-line block ×3, first 2 shown]
	v_pk_fma_f16 v4, v34, v12, v41
	v_mul_u32_u24_e32 v33, 0x10001, v3
	v_and_b32_e32 v3, 0xffff, v6
	v_pk_fma_f16 v12, v35, v12, v14
	v_pk_fma_f16 v14, v35, v101, v36
	v_mul_u32_u24_e32 v105, 0x10001, v10
	v_pk_fma_f16 v5, v34, v33, v42
	v_mul_u32_u24_e32 v102, 0x10001, v3
	v_and_b32_e32 v3, 0xffff, v7
	v_pk_fma_f16 v6, v34, v101, v13
	v_pk_fma_f16 v8, v34, v103, v43
	;; [unrolled: 1-line block ×5, first 2 shown]
	v_add_nc_u64_e32 v[36:37], s[38:39], v[78:79]
	v_mul_u32_u24_e32 v104, 0x10001, v3
	v_pk_fma_f16 v3, v34, v11, v40
	v_pk_fma_f16 v32, v35, v103, v38
	;; [unrolled: 1-line block ×5, first 2 shown]
	v_add_nc_u64_e32 v[36:37], v[36:37], v[70:71]
	v_pk_fma_f16 v34, v35, v105, v39
	v_pk_fma_f16 v33, v35, v104, v47
	global_load_b128 v[36:39], v[36:37], off
	s_wait_loadcnt 0x0
	ds_store_b128 v123, v[36:39]
	v_add_nc_u64_e32 v[36:37], s[38:39], v[80:81]
	s_delay_alu instid0(VALU_DEP_1)
	v_add_nc_u64_e32 v[36:37], v[36:37], v[70:71]
	global_load_b128 v[36:39], v[36:37], off
	s_wait_loadcnt 0x0
	ds_store_b128 v124, v[36:39]
	s_wait_dscnt 0x0
	s_barrier_signal -1
	s_barrier_wait -1
	ds_load_2addr_b64 v[36:39], v125 offset1:32
	ds_load_b128 v[40:43], v122 offset:512
	ds_load_b128 v[44:47], v122 offset:528
	;; [unrolled: 1-line block ×4, first 2 shown]
	s_wait_dscnt 0x3
	v_dual_lshrrev_b32 v35, 16, v40 :: v_dual_lshrrev_b32 v101, 16, v41
	v_dual_lshrrev_b32 v110, 16, v42 :: v_dual_lshrrev_b32 v111, 16, v43
	v_and_b32_e32 v40, 0xffff, v40
	s_delay_alu instid0(VALU_DEP_3)
	v_mul_u32_u24_e32 v35, 0x10001, v35
	v_and_b32_e32 v41, 0xffff, v41
	v_and_b32_e32 v42, 0xffff, v42
	;; [unrolled: 1-line block ×3, first 2 shown]
	v_mul_u32_u24_e32 v40, 0x10001, v40
	v_mul_u32_u24_e32 v101, 0x10001, v101
	;; [unrolled: 1-line block ×6, first 2 shown]
	v_pk_fma_f16 v4, v36, v35, v4
	v_pk_fma_f16 v12, v37, v35, v12
	s_wait_dscnt 0x2
	v_lshrrev_b32_e32 v35, 16, v44
	v_mul_u32_u24_e32 v111, 0x10001, v111
	v_pk_fma_f16 v3, v36, v40, v3
	v_pk_fma_f16 v5, v36, v41, v5
	;; [unrolled: 1-line block ×9, first 2 shown]
	v_lshrrev_b32_e32 v36, 16, v45
	v_and_b32_e32 v42, 0xffff, v45
	v_and_b32_e32 v43, 0xffff, v46
	v_pk_fma_f16 v11, v37, v40, v11
	v_pk_fma_f16 v13, v37, v41, v13
	;; [unrolled: 1-line block ×5, first 2 shown]
	v_lshrrev_b32_e32 v37, 16, v46
	v_mul_u32_u24_e32 v35, 0x10001, v35
	v_mul_u32_u24_e32 v42, 0x10001, v42
	;; [unrolled: 1-line block ×4, first 2 shown]
	v_lshrrev_b32_e32 v40, 16, v47
	v_and_b32_e32 v41, 0xffff, v44
	v_and_b32_e32 v44, 0xffff, v47
	v_pk_fma_f16 v45, v38, v35, v4
	v_pk_fma_f16 v46, v38, v42, v5
	;; [unrolled: 1-line block ×4, first 2 shown]
	ds_load_2addr_b64 v[4:7], v125 offset0:64 offset1:96
	v_mul_u32_u24_e32 v41, 0x10001, v41
	v_mul_u32_u24_e32 v37, 0x10001, v37
	;; [unrolled: 1-line block ×3, first 2 shown]
	v_pk_fma_f16 v12, v39, v35, v12
	s_wait_dscnt 0x2
	v_lshrrev_b32_e32 v35, 16, v102
	v_mul_u32_u24_e32 v40, 0x10001, v40
	v_pk_fma_f16 v3, v38, v41, v3
	v_pk_fma_f16 v8, v38, v37, v8
	;; [unrolled: 1-line block ×11, first 2 shown]
	v_dual_lshrrev_b32 v36, 16, v103 :: v_dual_lshrrev_b32 v37, 16, v104
	v_lshrrev_b32_e32 v38, 16, v105
	v_and_b32_e32 v39, 0xffff, v102
	v_and_b32_e32 v40, 0xffff, v103
	;; [unrolled: 1-line block ×4, first 2 shown]
	v_mul_u32_u24_e32 v35, 0x10001, v35
	v_mul_u32_u24_e32 v39, 0x10001, v39
	;; [unrolled: 1-line block ×8, first 2 shown]
	s_wait_dscnt 0x0
	v_pk_fma_f16 v3, v4, v39, v3
	v_pk_fma_f16 v43, v4, v35, v45
	;; [unrolled: 1-line block ×16, first 2 shown]
	v_dual_lshrrev_b32 v33, 16, v106 :: v_dual_lshrrev_b32 v34, 16, v107
	v_dual_lshrrev_b32 v35, 16, v108 :: v_dual_lshrrev_b32 v36, 16, v109
	v_and_b32_e32 v37, 0xffff, v106
	v_and_b32_e32 v38, 0xffff, v107
	v_and_b32_e32 v39, 0xffff, v108
	v_and_b32_e32 v40, 0xffff, v109
	v_mul_u32_u24_e32 v33, 0x10001, v33
	v_mul_u32_u24_e32 v37, 0x10001, v37
	v_mul_u32_u24_e32 v38, 0x10001, v38
	v_mul_u32_u24_e32 v34, 0x10001, v34
	v_mul_u32_u24_e32 v39, 0x10001, v39
	v_mul_u32_u24_e32 v35, 0x10001, v35
	v_mul_u32_u24_e32 v40, 0x10001, v40
	v_mul_u32_u24_e32 v36, 0x10001, v36
	v_pk_fma_f16 v3, v6, v37, v3
	v_pk_fma_f16 v41, v6, v33, v43
	;; [unrolled: 1-line block ×16, first 2 shown]
	ds_load_2addr_b64 v[4:7], v125 offset0:128 offset1:160
	ds_load_b128 v[8:11], v122 offset:576
	s_wait_dscnt 0x0
	v_dual_lshrrev_b32 v35, 16, v8 :: v_dual_lshrrev_b32 v36, 16, v9
	v_dual_lshrrev_b32 v38, 16, v10 :: v_dual_lshrrev_b32 v39, 16, v11
	v_and_b32_e32 v8, 0xffff, v8
	v_and_b32_e32 v9, 0xffff, v9
	;; [unrolled: 1-line block ×4, first 2 shown]
	v_mul_u32_u24_e32 v35, 0x10001, v35
	v_mul_u32_u24_e32 v8, 0x10001, v8
	;; [unrolled: 1-line block ×7, first 2 shown]
	v_pk_fma_f16 v3, v4, v8, v3
	v_pk_fma_f16 v40, v4, v35, v41
	;; [unrolled: 1-line block ×11, first 2 shown]
	ds_load_b128 v[8:11], v122 offset:592
	v_mul_u32_u24_e32 v39, 0x10001, v39
	v_pk_fma_f16 v33, v5, v35, v33
	v_pk_fma_f16 v13, v5, v36, v13
	;; [unrolled: 1-line block ×3, first 2 shown]
	s_delay_alu instid0(VALU_DEP_4)
	v_pk_fma_f16 v5, v5, v39, v34
	v_pk_fma_f16 v4, v4, v39, v47
	s_wait_dscnt 0x0
	v_dual_lshrrev_b32 v34, 16, v8 :: v_dual_lshrrev_b32 v35, 16, v9
	v_dual_lshrrev_b32 v36, 16, v10 :: v_dual_lshrrev_b32 v38, 16, v11
	v_and_b32_e32 v8, 0xffff, v8
	v_and_b32_e32 v9, 0xffff, v9
	;; [unrolled: 1-line block ×4, first 2 shown]
	v_mul_u32_u24_e32 v34, 0x10001, v34
	v_mul_u32_u24_e32 v8, 0x10001, v8
	;; [unrolled: 1-line block ×8, first 2 shown]
	v_pk_fma_f16 v3, v6, v8, v3
	v_pk_fma_f16 v39, v6, v34, v40
	;; [unrolled: 1-line block ×16, first 2 shown]
	ds_load_2addr_b64 v[4:7], v125 offset0:192 offset1:224
	ds_load_b128 v[8:11], v122 offset:608
	s_wait_dscnt 0x0
	v_dual_lshrrev_b32 v35, 16, v8 :: v_dual_lshrrev_b32 v36, 16, v9
	v_dual_lshrrev_b32 v38, 16, v10 :: v_dual_lshrrev_b32 v46, 16, v11
	v_and_b32_e32 v8, 0xffff, v8
	v_and_b32_e32 v9, 0xffff, v9
	;; [unrolled: 1-line block ×4, first 2 shown]
	v_mul_u32_u24_e32 v35, 0x10001, v35
	v_mul_u32_u24_e32 v8, 0x10001, v8
	;; [unrolled: 1-line block ×6, first 2 shown]
	v_pk_fma_f16 v3, v4, v8, v3
	v_pk_fma_f16 v40, v4, v9, v40
	;; [unrolled: 1-line block ×8, first 2 shown]
	ds_load_b128 v[8:11], v122 offset:624
	v_mul_u32_u24_e32 v38, 0x10001, v38
	v_mul_u32_u24_e32 v46, 0x10001, v46
	v_pk_fma_f16 v39, v4, v35, v39
	v_pk_fma_f16 v41, v4, v36, v41
	;; [unrolled: 1-line block ×8, first 2 shown]
	s_wait_dscnt 0x0
	v_dual_lshrrev_b32 v34, 16, v8 :: v_dual_lshrrev_b32 v35, 16, v9
	v_dual_lshrrev_b32 v36, 16, v10 :: v_dual_lshrrev_b32 v38, 16, v11
	v_and_b32_e32 v8, 0xffff, v8
	v_and_b32_e32 v9, 0xffff, v9
	;; [unrolled: 1-line block ×4, first 2 shown]
	v_mul_u32_u24_e32 v34, 0x10001, v34
	v_mul_u32_u24_e32 v8, 0x10001, v8
	;; [unrolled: 1-line block ×8, first 2 shown]
	v_pk_fma_f16 v3, v6, v8, v3
	v_pk_fma_f16 v39, v6, v34, v39
	;; [unrolled: 1-line block ×16, first 2 shown]
	ds_load_2addr_b64 v[4:7], v1 offset1:32
	ds_load_b128 v[8:11], v122 offset:640
	s_wait_dscnt 0x0
	v_dual_lshrrev_b32 v35, 16, v8 :: v_dual_lshrrev_b32 v36, 16, v9
	v_dual_lshrrev_b32 v38, 16, v10 :: v_dual_lshrrev_b32 v46, 16, v11
	v_and_b32_e32 v8, 0xffff, v8
	v_and_b32_e32 v9, 0xffff, v9
	;; [unrolled: 1-line block ×4, first 2 shown]
	v_mul_u32_u24_e32 v35, 0x10001, v35
	v_mul_u32_u24_e32 v8, 0x10001, v8
	;; [unrolled: 1-line block ×6, first 2 shown]
	v_pk_fma_f16 v3, v4, v8, v3
	v_pk_fma_f16 v40, v4, v9, v40
	;; [unrolled: 1-line block ×8, first 2 shown]
	ds_load_b128 v[8:11], v122 offset:656
	v_mul_u32_u24_e32 v38, 0x10001, v38
	v_mul_u32_u24_e32 v46, 0x10001, v46
	v_pk_fma_f16 v39, v4, v35, v39
	v_pk_fma_f16 v41, v4, v36, v41
	;; [unrolled: 1-line block ×8, first 2 shown]
	s_wait_dscnt 0x0
	v_dual_lshrrev_b32 v34, 16, v8 :: v_dual_lshrrev_b32 v35, 16, v9
	v_dual_lshrrev_b32 v36, 16, v10 :: v_dual_lshrrev_b32 v38, 16, v11
	v_and_b32_e32 v8, 0xffff, v8
	v_and_b32_e32 v9, 0xffff, v9
	;; [unrolled: 1-line block ×4, first 2 shown]
	v_mul_u32_u24_e32 v34, 0x10001, v34
	v_mul_u32_u24_e32 v8, 0x10001, v8
	;; [unrolled: 1-line block ×8, first 2 shown]
	v_pk_fma_f16 v3, v6, v8, v3
	v_pk_fma_f16 v39, v6, v34, v39
	;; [unrolled: 1-line block ×16, first 2 shown]
	ds_load_2addr_b64 v[4:7], v1 offset0:64 offset1:96
	ds_load_b128 v[8:11], v122 offset:672
	s_wait_dscnt 0x0
	v_dual_lshrrev_b32 v35, 16, v8 :: v_dual_lshrrev_b32 v36, 16, v9
	v_dual_lshrrev_b32 v38, 16, v10 :: v_dual_lshrrev_b32 v46, 16, v11
	v_and_b32_e32 v8, 0xffff, v8
	v_and_b32_e32 v9, 0xffff, v9
	;; [unrolled: 1-line block ×4, first 2 shown]
	v_mul_u32_u24_e32 v35, 0x10001, v35
	v_mul_u32_u24_e32 v8, 0x10001, v8
	v_mul_u32_u24_e32 v9, 0x10001, v9
	v_mul_u32_u24_e32 v10, 0x10001, v10
	v_mul_u32_u24_e32 v11, 0x10001, v11
	v_mul_u32_u24_e32 v36, 0x10001, v36
	v_pk_fma_f16 v3, v4, v8, v3
	v_pk_fma_f16 v40, v4, v9, v40
	;; [unrolled: 1-line block ×8, first 2 shown]
	ds_load_b128 v[8:11], v122 offset:688
	v_mul_u32_u24_e32 v38, 0x10001, v38
	v_mul_u32_u24_e32 v46, 0x10001, v46
	v_pk_fma_f16 v39, v4, v35, v39
	v_pk_fma_f16 v41, v4, v36, v41
	;; [unrolled: 1-line block ×8, first 2 shown]
	s_wait_dscnt 0x0
	v_dual_lshrrev_b32 v34, 16, v8 :: v_dual_lshrrev_b32 v35, 16, v9
	v_dual_lshrrev_b32 v36, 16, v10 :: v_dual_lshrrev_b32 v38, 16, v11
	v_and_b32_e32 v8, 0xffff, v8
	v_and_b32_e32 v9, 0xffff, v9
	;; [unrolled: 1-line block ×4, first 2 shown]
	v_mul_u32_u24_e32 v34, 0x10001, v34
	v_mul_u32_u24_e32 v8, 0x10001, v8
	v_mul_u32_u24_e32 v9, 0x10001, v9
	v_mul_u32_u24_e32 v35, 0x10001, v35
	v_mul_u32_u24_e32 v10, 0x10001, v10
	v_mul_u32_u24_e32 v36, 0x10001, v36
	v_mul_u32_u24_e32 v11, 0x10001, v11
	v_mul_u32_u24_e32 v38, 0x10001, v38
	v_pk_fma_f16 v3, v6, v8, v3
	v_pk_fma_f16 v39, v6, v34, v39
	;; [unrolled: 1-line block ×16, first 2 shown]
	ds_load_2addr_b64 v[4:7], v1 offset0:128 offset1:160
	ds_load_b128 v[8:11], v122 offset:704
	s_wait_dscnt 0x0
	v_dual_lshrrev_b32 v35, 16, v8 :: v_dual_lshrrev_b32 v36, 16, v9
	v_dual_lshrrev_b32 v38, 16, v10 :: v_dual_lshrrev_b32 v46, 16, v11
	v_and_b32_e32 v8, 0xffff, v8
	v_and_b32_e32 v9, 0xffff, v9
	v_and_b32_e32 v10, 0xffff, v10
	v_and_b32_e32 v11, 0xffff, v11
	v_mul_u32_u24_e32 v35, 0x10001, v35
	v_mul_u32_u24_e32 v8, 0x10001, v8
	;; [unrolled: 1-line block ×6, first 2 shown]
	v_pk_fma_f16 v3, v4, v8, v3
	v_pk_fma_f16 v40, v4, v9, v40
	;; [unrolled: 1-line block ×8, first 2 shown]
	ds_load_b128 v[8:11], v122 offset:720
	v_mul_u32_u24_e32 v38, 0x10001, v38
	v_mul_u32_u24_e32 v46, 0x10001, v46
	v_pk_fma_f16 v39, v4, v35, v39
	v_pk_fma_f16 v41, v4, v36, v41
	;; [unrolled: 1-line block ×8, first 2 shown]
	s_wait_dscnt 0x0
	v_dual_lshrrev_b32 v34, 16, v8 :: v_dual_lshrrev_b32 v35, 16, v9
	v_dual_lshrrev_b32 v36, 16, v10 :: v_dual_lshrrev_b32 v38, 16, v11
	v_and_b32_e32 v8, 0xffff, v8
	v_and_b32_e32 v9, 0xffff, v9
	;; [unrolled: 1-line block ×4, first 2 shown]
	v_mul_u32_u24_e32 v34, 0x10001, v34
	v_mul_u32_u24_e32 v8, 0x10001, v8
	;; [unrolled: 1-line block ×8, first 2 shown]
	v_pk_fma_f16 v3, v6, v8, v3
	v_pk_fma_f16 v39, v6, v34, v39
	;; [unrolled: 1-line block ×16, first 2 shown]
	ds_load_2addr_b64 v[4:7], v1 offset0:192 offset1:224
	ds_load_b128 v[8:11], v122 offset:736
	s_wait_dscnt 0x0
	v_dual_lshrrev_b32 v1, 16, v8 :: v_dual_lshrrev_b32 v35, 16, v9
	v_dual_lshrrev_b32 v36, 16, v10 :: v_dual_lshrrev_b32 v38, 16, v11
	v_and_b32_e32 v8, 0xffff, v8
	v_and_b32_e32 v9, 0xffff, v9
	v_and_b32_e32 v10, 0xffff, v10
	v_and_b32_e32 v11, 0xffff, v11
	v_mul_u32_u24_e32 v1, 0x10001, v1
	v_mul_u32_u24_e32 v8, 0x10001, v8
	;; [unrolled: 1-line block ×6, first 2 shown]
	v_pk_fma_f16 v3, v4, v8, v3
	v_pk_fma_f16 v40, v4, v9, v40
	v_pk_fma_f16 v42, v4, v10, v42
	v_pk_fma_f16 v44, v4, v11, v44
	v_pk_fma_f16 v37, v5, v8, v37
	v_pk_fma_f16 v12, v5, v9, v12
	v_pk_fma_f16 v14, v5, v10, v14
	v_pk_fma_f16 v32, v5, v11, v32
	ds_load_b128 v[8:11], v122 offset:752
	v_mul_u32_u24_e32 v36, 0x10001, v36
	v_pk_fma_f16 v39, v4, v1, v39
	v_pk_fma_f16 v1, v5, v1, v33
	;; [unrolled: 1-line block ×6, first 2 shown]
	s_wait_dscnt 0x0
	v_lshrrev_b32_e32 v33, 16, v8
	v_mul_u32_u24_e32 v38, 0x10001, v38
	v_dual_lshrrev_b32 v35, 16, v10 :: v_dual_lshrrev_b32 v36, 16, v11
	v_and_b32_e32 v8, 0xffff, v8
	v_and_b32_e32 v10, 0xffff, v10
	s_delay_alu instid0(VALU_DEP_4)
	v_pk_fma_f16 v5, v5, v38, v34
	v_lshrrev_b32_e32 v34, 16, v9
	v_and_b32_e32 v9, 0xffff, v9
	v_and_b32_e32 v11, 0xffff, v11
	v_pk_fma_f16 v4, v4, v38, v45
	v_mul_u32_u24_e32 v8, 0x10001, v8
	v_mul_u32_u24_e32 v33, 0x10001, v33
	;; [unrolled: 1-line block ×8, first 2 shown]
	v_pk_fma_f16 v3, v6, v8, v3
	v_pk_fma_f16 v38, v6, v33, v39
	;; [unrolled: 1-line block ×16, first 2 shown]
	ds_load_2addr_b64 v[4:7], v2 offset1:32
	ds_load_b128 v[8:11], v122 offset:768
	s_wait_dscnt 0x0
	v_dual_lshrrev_b32 v34, 16, v8 :: v_dual_lshrrev_b32 v35, 16, v9
	v_dual_lshrrev_b32 v36, 16, v10 :: v_dual_lshrrev_b32 v45, 16, v11
	v_and_b32_e32 v8, 0xffff, v8
	v_and_b32_e32 v9, 0xffff, v9
	v_and_b32_e32 v10, 0xffff, v10
	v_and_b32_e32 v11, 0xffff, v11
	v_mul_u32_u24_e32 v34, 0x10001, v34
	v_mul_u32_u24_e32 v8, 0x10001, v8
	;; [unrolled: 1-line block ×6, first 2 shown]
	v_pk_fma_f16 v3, v4, v8, v3
	v_pk_fma_f16 v39, v4, v9, v39
	;; [unrolled: 1-line block ×8, first 2 shown]
	ds_load_b128 v[8:11], v122 offset:784
	v_mul_u32_u24_e32 v36, 0x10001, v36
	v_mul_u32_u24_e32 v45, 0x10001, v45
	v_pk_fma_f16 v38, v4, v34, v38
	v_pk_fma_f16 v40, v4, v35, v40
	;; [unrolled: 1-line block ×8, first 2 shown]
	s_wait_dscnt 0x0
	v_dual_lshrrev_b32 v33, 16, v8 :: v_dual_lshrrev_b32 v34, 16, v9
	v_dual_lshrrev_b32 v35, 16, v10 :: v_dual_lshrrev_b32 v36, 16, v11
	v_and_b32_e32 v8, 0xffff, v8
	v_and_b32_e32 v9, 0xffff, v9
	v_and_b32_e32 v10, 0xffff, v10
	v_and_b32_e32 v11, 0xffff, v11
	v_mul_u32_u24_e32 v33, 0x10001, v33
	v_mul_u32_u24_e32 v8, 0x10001, v8
	;; [unrolled: 1-line block ×8, first 2 shown]
	v_pk_fma_f16 v3, v6, v8, v3
	v_pk_fma_f16 v38, v6, v33, v38
	;; [unrolled: 1-line block ×16, first 2 shown]
	ds_load_2addr_b64 v[4:7], v2 offset0:64 offset1:96
	ds_load_b128 v[8:11], v122 offset:800
	s_wait_dscnt 0x0
	v_dual_lshrrev_b32 v34, 16, v8 :: v_dual_lshrrev_b32 v35, 16, v9
	v_dual_lshrrev_b32 v36, 16, v10 :: v_dual_lshrrev_b32 v45, 16, v11
	v_and_b32_e32 v8, 0xffff, v8
	v_and_b32_e32 v9, 0xffff, v9
	;; [unrolled: 1-line block ×4, first 2 shown]
	v_mul_u32_u24_e32 v34, 0x10001, v34
	v_mul_u32_u24_e32 v8, 0x10001, v8
	;; [unrolled: 1-line block ×6, first 2 shown]
	v_pk_fma_f16 v3, v4, v8, v3
	v_pk_fma_f16 v39, v4, v9, v39
	;; [unrolled: 1-line block ×8, first 2 shown]
	ds_load_b128 v[8:11], v122 offset:816
	v_mul_u32_u24_e32 v36, 0x10001, v36
	v_mul_u32_u24_e32 v45, 0x10001, v45
	v_pk_fma_f16 v38, v4, v34, v38
	v_pk_fma_f16 v40, v4, v35, v40
	;; [unrolled: 1-line block ×8, first 2 shown]
	s_wait_dscnt 0x0
	v_dual_lshrrev_b32 v33, 16, v8 :: v_dual_lshrrev_b32 v34, 16, v9
	v_dual_lshrrev_b32 v35, 16, v10 :: v_dual_lshrrev_b32 v36, 16, v11
	v_and_b32_e32 v8, 0xffff, v8
	v_and_b32_e32 v9, 0xffff, v9
	;; [unrolled: 1-line block ×4, first 2 shown]
	v_mul_u32_u24_e32 v33, 0x10001, v33
	v_mul_u32_u24_e32 v8, 0x10001, v8
	;; [unrolled: 1-line block ×8, first 2 shown]
	v_pk_fma_f16 v3, v6, v8, v3
	v_pk_fma_f16 v38, v6, v33, v38
	;; [unrolled: 1-line block ×16, first 2 shown]
	ds_load_2addr_b64 v[4:7], v2 offset0:128 offset1:160
	ds_load_b128 v[8:11], v122 offset:832
	s_wait_dscnt 0x0
	v_dual_lshrrev_b32 v34, 16, v8 :: v_dual_lshrrev_b32 v35, 16, v9
	v_dual_lshrrev_b32 v36, 16, v10 :: v_dual_lshrrev_b32 v45, 16, v11
	v_and_b32_e32 v8, 0xffff, v8
	v_and_b32_e32 v9, 0xffff, v9
	;; [unrolled: 1-line block ×4, first 2 shown]
	v_mul_u32_u24_e32 v34, 0x10001, v34
	v_mul_u32_u24_e32 v8, 0x10001, v8
	;; [unrolled: 1-line block ×6, first 2 shown]
	v_pk_fma_f16 v3, v4, v8, v3
	v_pk_fma_f16 v39, v4, v9, v39
	;; [unrolled: 1-line block ×8, first 2 shown]
	ds_load_b128 v[8:11], v122 offset:848
	v_mul_u32_u24_e32 v36, 0x10001, v36
	v_mul_u32_u24_e32 v45, 0x10001, v45
	v_pk_fma_f16 v38, v4, v34, v38
	v_pk_fma_f16 v40, v4, v35, v40
	;; [unrolled: 1-line block ×8, first 2 shown]
	s_wait_dscnt 0x0
	v_dual_lshrrev_b32 v33, 16, v8 :: v_dual_lshrrev_b32 v34, 16, v9
	v_dual_lshrrev_b32 v35, 16, v10 :: v_dual_lshrrev_b32 v36, 16, v11
	v_and_b32_e32 v8, 0xffff, v8
	v_and_b32_e32 v9, 0xffff, v9
	;; [unrolled: 1-line block ×4, first 2 shown]
	v_mul_u32_u24_e32 v33, 0x10001, v33
	v_mul_u32_u24_e32 v8, 0x10001, v8
	;; [unrolled: 1-line block ×8, first 2 shown]
	v_pk_fma_f16 v44, v6, v8, v3
	v_pk_fma_f16 v38, v6, v33, v38
	;; [unrolled: 1-line block ×16, first 2 shown]
	ds_load_2addr_b64 v[2:5], v2 offset0:192 offset1:224
	ds_load_b128 v[6:9], v122 offset:864
	s_wait_dscnt 0x0
	v_dual_lshrrev_b32 v32, 16, v6 :: v_dual_lshrrev_b32 v33, 16, v7
	v_dual_lshrrev_b32 v34, 16, v8 :: v_dual_lshrrev_b32 v35, 16, v9
	v_and_b32_e32 v6, 0xffff, v6
	v_and_b32_e32 v7, 0xffff, v7
	;; [unrolled: 1-line block ×4, first 2 shown]
	v_mul_u32_u24_e32 v32, 0x10001, v32
	v_mul_u32_u24_e32 v6, 0x10001, v6
	;; [unrolled: 1-line block ×6, first 2 shown]
	v_pk_fma_f16 v36, v2, v6, v44
	v_pk_fma_f16 v39, v2, v7, v39
	;; [unrolled: 1-line block ×8, first 2 shown]
	ds_load_b128 v[6:9], v122 offset:880
	v_mul_u32_u24_e32 v34, 0x10001, v34
	v_mul_u32_u24_e32 v35, 0x10001, v35
	v_pk_fma_f16 v38, v2, v32, v38
	v_pk_fma_f16 v40, v2, v33, v40
	;; [unrolled: 1-line block ×8, first 2 shown]
	s_wait_dscnt 0x0
	v_dual_lshrrev_b32 v15, 16, v6 :: v_dual_lshrrev_b32 v32, 16, v7
	v_dual_lshrrev_b32 v33, 16, v8 :: v_dual_lshrrev_b32 v34, 16, v9
	v_and_b32_e32 v6, 0xffff, v6
	v_and_b32_e32 v7, 0xffff, v7
	;; [unrolled: 1-line block ×4, first 2 shown]
	v_mul_u32_u24_e32 v15, 0x10001, v15
	v_mul_u32_u24_e32 v6, 0x10001, v6
	;; [unrolled: 1-line block ×8, first 2 shown]
	v_pk_fma_f16 v35, v4, v6, v36
	v_pk_fma_f16 v36, v4, v15, v38
	;; [unrolled: 1-line block ×16, first 2 shown]
	ds_load_2addr_b64 v[2:5], v0 offset1:32
	ds_load_b128 v[6:9], v122 offset:896
	s_wait_dscnt 0x0
	v_dual_lshrrev_b32 v32, 16, v6 :: v_dual_lshrrev_b32 v33, 16, v7
	v_dual_lshrrev_b32 v34, 16, v8 :: v_dual_lshrrev_b32 v44, 16, v9
	v_and_b32_e32 v6, 0xffff, v6
	v_and_b32_e32 v7, 0xffff, v7
	;; [unrolled: 1-line block ×4, first 2 shown]
	v_mul_u32_u24_e32 v32, 0x10001, v32
	v_mul_u32_u24_e32 v6, 0x10001, v6
	;; [unrolled: 1-line block ×6, first 2 shown]
	v_pk_fma_f16 v35, v2, v6, v35
	v_pk_fma_f16 v38, v2, v7, v38
	;; [unrolled: 1-line block ×8, first 2 shown]
	ds_load_b128 v[6:9], v122 offset:912
	v_mul_u32_u24_e32 v34, 0x10001, v34
	v_mul_u32_u24_e32 v44, 0x10001, v44
	v_pk_fma_f16 v36, v2, v32, v36
	v_pk_fma_f16 v39, v2, v33, v39
	;; [unrolled: 1-line block ×8, first 2 shown]
	s_wait_dscnt 0x0
	v_dual_lshrrev_b32 v15, 16, v6 :: v_dual_lshrrev_b32 v32, 16, v7
	v_dual_lshrrev_b32 v33, 16, v8 :: v_dual_lshrrev_b32 v34, 16, v9
	v_and_b32_e32 v6, 0xffff, v6
	v_and_b32_e32 v7, 0xffff, v7
	;; [unrolled: 1-line block ×4, first 2 shown]
	v_mul_u32_u24_e32 v15, 0x10001, v15
	v_mul_u32_u24_e32 v6, 0x10001, v6
	;; [unrolled: 1-line block ×8, first 2 shown]
	v_pk_fma_f16 v35, v4, v6, v35
	v_pk_fma_f16 v36, v4, v15, v36
	;; [unrolled: 1-line block ×16, first 2 shown]
	ds_load_2addr_b64 v[2:5], v0 offset0:64 offset1:96
	ds_load_b128 v[6:9], v122 offset:928
	s_wait_dscnt 0x0
	v_dual_lshrrev_b32 v32, 16, v6 :: v_dual_lshrrev_b32 v33, 16, v7
	v_dual_lshrrev_b32 v34, 16, v8 :: v_dual_lshrrev_b32 v44, 16, v9
	v_and_b32_e32 v6, 0xffff, v6
	v_and_b32_e32 v7, 0xffff, v7
	;; [unrolled: 1-line block ×4, first 2 shown]
	v_mul_u32_u24_e32 v32, 0x10001, v32
	v_mul_u32_u24_e32 v6, 0x10001, v6
	;; [unrolled: 1-line block ×6, first 2 shown]
	v_pk_fma_f16 v35, v2, v6, v35
	v_pk_fma_f16 v38, v2, v7, v38
	;; [unrolled: 1-line block ×8, first 2 shown]
	ds_load_b128 v[6:9], v122 offset:944
	v_mul_u32_u24_e32 v34, 0x10001, v34
	v_mul_u32_u24_e32 v44, 0x10001, v44
	v_pk_fma_f16 v36, v2, v32, v36
	v_pk_fma_f16 v39, v2, v33, v39
	;; [unrolled: 1-line block ×8, first 2 shown]
	s_wait_dscnt 0x0
	v_dual_lshrrev_b32 v15, 16, v6 :: v_dual_lshrrev_b32 v32, 16, v7
	v_dual_lshrrev_b32 v33, 16, v8 :: v_dual_lshrrev_b32 v34, 16, v9
	v_and_b32_e32 v6, 0xffff, v6
	v_and_b32_e32 v7, 0xffff, v7
	;; [unrolled: 1-line block ×4, first 2 shown]
	v_mul_u32_u24_e32 v15, 0x10001, v15
	v_mul_u32_u24_e32 v6, 0x10001, v6
	;; [unrolled: 1-line block ×8, first 2 shown]
	v_pk_fma_f16 v35, v4, v6, v35
	v_pk_fma_f16 v36, v4, v15, v36
	;; [unrolled: 1-line block ×16, first 2 shown]
	ds_load_2addr_b64 v[2:5], v0 offset0:128 offset1:160
	ds_load_b128 v[6:9], v122 offset:960
	s_wait_dscnt 0x0
	v_dual_lshrrev_b32 v32, 16, v6 :: v_dual_lshrrev_b32 v33, 16, v7
	v_dual_lshrrev_b32 v34, 16, v8 :: v_dual_lshrrev_b32 v44, 16, v9
	v_and_b32_e32 v6, 0xffff, v6
	v_and_b32_e32 v7, 0xffff, v7
	;; [unrolled: 1-line block ×4, first 2 shown]
	v_mul_u32_u24_e32 v32, 0x10001, v32
	v_mul_u32_u24_e32 v6, 0x10001, v6
	;; [unrolled: 1-line block ×6, first 2 shown]
	v_pk_fma_f16 v35, v2, v6, v35
	v_pk_fma_f16 v38, v2, v7, v38
	;; [unrolled: 1-line block ×8, first 2 shown]
	ds_load_b128 v[6:9], v122 offset:976
	v_mul_u32_u24_e32 v34, 0x10001, v34
	v_mul_u32_u24_e32 v44, 0x10001, v44
	v_pk_fma_f16 v36, v2, v32, v36
	v_pk_fma_f16 v39, v2, v33, v39
	;; [unrolled: 1-line block ×8, first 2 shown]
	s_wait_dscnt 0x0
	v_dual_lshrrev_b32 v15, 16, v6 :: v_dual_lshrrev_b32 v32, 16, v7
	v_dual_lshrrev_b32 v33, 16, v8 :: v_dual_lshrrev_b32 v34, 16, v9
	v_and_b32_e32 v6, 0xffff, v6
	v_and_b32_e32 v7, 0xffff, v7
	;; [unrolled: 1-line block ×4, first 2 shown]
	v_mul_u32_u24_e32 v15, 0x10001, v15
	v_mul_u32_u24_e32 v6, 0x10001, v6
	;; [unrolled: 1-line block ×8, first 2 shown]
	v_pk_fma_f16 v35, v4, v6, v35
	v_pk_fma_f16 v36, v4, v15, v36
	;; [unrolled: 1-line block ×16, first 2 shown]
	ds_load_2addr_b64 v[0:3], v0 offset0:192 offset1:224
	ds_load_b128 v[4:7], v122 offset:992
	s_wait_dscnt 0x0
	v_dual_lshrrev_b32 v14, 16, v4 :: v_dual_lshrrev_b32 v32, 16, v5
	v_dual_lshrrev_b32 v33, 16, v6 :: v_dual_lshrrev_b32 v34, 16, v7
	v_and_b32_e32 v4, 0xffff, v4
	v_and_b32_e32 v5, 0xffff, v5
	;; [unrolled: 1-line block ×4, first 2 shown]
	v_mul_u32_u24_e32 v14, 0x10001, v14
	v_mul_u32_u24_e32 v4, 0x10001, v4
	v_mul_u32_u24_e32 v5, 0x10001, v5
	v_mul_u32_u24_e32 v6, 0x10001, v6
	v_mul_u32_u24_e32 v7, 0x10001, v7
	v_mul_u32_u24_e32 v32, 0x10001, v32
	v_pk_fma_f16 v35, v0, v4, v35
	v_pk_fma_f16 v38, v0, v5, v38
	;; [unrolled: 1-line block ×8, first 2 shown]
	ds_load_b128 v[4:7], v122 offset:1008
	s_wait_dscnt 0x0
	s_barrier_signal -1
	s_barrier_wait -1
	s_load_b32 s15, s[24:25], 0x4
	v_mul_u32_u24_e32 v33, 0x10001, v33
	v_mul_u32_u24_e32 v34, 0x10001, v34
	v_pk_fma_f16 v36, v0, v14, v36
	v_pk_fma_f16 v39, v0, v32, v39
	;; [unrolled: 1-line block ×8, first 2 shown]
	v_dual_lshrrev_b32 v11, 16, v4 :: v_dual_lshrrev_b32 v15, 16, v5
	v_dual_lshrrev_b32 v32, 16, v6 :: v_dual_lshrrev_b32 v33, 16, v7
	v_and_b32_e32 v4, 0xffff, v4
	v_and_b32_e32 v5, 0xffff, v5
	;; [unrolled: 1-line block ×4, first 2 shown]
	v_mul_u32_u24_e32 v11, 0x10001, v11
	v_mul_u32_u24_e32 v4, 0x10001, v4
	;; [unrolled: 1-line block ×8, first 2 shown]
	s_wait_kmcnt 0x0
	s_lshl_b32 s15, s15, 6
	v_pk_fma_f16 v115, v2, v4, v35
	v_pk_fma_f16 v113, v2, v11, v36
	;; [unrolled: 1-line block ×16, first 2 shown]
	s_add_co_i32 s14, s15, s14
	s_delay_alu instid0(SALU_CYCLE_1)
	s_cmp_lt_i32 s14, s3
	s_cbranch_scc0 .LBB86_115
; %bb.112:                              ;   in Loop: Header=BB86_8 Depth=1
	v_dual_mov_b32 v134, v24 :: v_dual_mov_b32 v135, v25
	v_dual_mov_b32 v133, v26 :: v_dual_mov_b32 v132, v27
	;; [unrolled: 1-line block ×4, first 2 shown]
	s_branch .LBB86_8
.LBB86_113:                             ;   in Loop: Header=BB86_8 Depth=1
	v_mov_b32_e32 v0, 0
	v_cmp_ngt_f32_e64 s35, 0x3f200000, |v151|
                                        ; implicit-def: $vgpr3
	s_and_saveexec_b32 s38, s35
	s_delay_alu instid0(SALU_CYCLE_1)
	s_xor_b32 s35, exec_lo, s38
	s_cbranch_execz .LBB86_15
	s_branch .LBB86_14
.LBB86_114:
	v_dual_mov_b32 v24, 0xfeffffff :: v_dual_mov_b32 v115, 0
	v_dual_mov_b32 v21, 0 :: v_dual_mov_b32 v20, 0
	;; [unrolled: 1-line block ×3, first 2 shown]
	s_delay_alu instid0(VALU_DEP_3)
	v_dual_mov_b32 v25, v24 :: v_dual_mov_b32 v26, v24
	v_dual_mov_b32 v27, v24 :: v_dual_mov_b32 v28, v24
	;; [unrolled: 1-line block ×12, first 2 shown]
	v_mov_b32_e32 v102, 0
.LBB86_115:
	s_cmp_gt_i32 s2, s14
	s_cbranch_scc1 .LBB86_118
; %bb.116:
	v_mbcnt_lo_u32_b32 v0, -1, 0
	v_mov_b32_e32 v42, 32
	s_delay_alu instid0(VALU_DEP_2)
	v_xor_b32_e32 v47, 16, v0
	v_xor_b32_e32 v46, 8, v0
	;; [unrolled: 1-line block ×5, first 2 shown]
	s_cbranch_execz .LBB86_119
; %bb.117:
	v_mov_b32_e32 v96, v0
	s_branch .LBB86_257
.LBB86_118:
                                        ; implicit-def: $vgpr0
                                        ; implicit-def: $vgpr42
                                        ; implicit-def: $vgpr47
                                        ; implicit-def: $vgpr46
                                        ; implicit-def: $vgpr45
                                        ; implicit-def: $vgpr44
                                        ; implicit-def: $vgpr43
.LBB86_119:
	v_lshl_add_u32 v6, v98, 2, v117
	s_ashr_i32 s15, s14, 31
	s_ashr_i32 s29, s28, 31
	v_dual_mov_b32 v0, 0 :: v_dual_lshlrev_b32 v1, 20, v96
	s_delay_alu instid0(VALU_DEP_2)
	v_mul_lo_u32 v4, s28, v6
	s_mul_u64 s[24:25], s[14:15], s[28:29]
	v_mov_b32_e32 v37, 0
	s_lshl_b64 s[24:25], s[24:25], 2
	v_add_nc_u64_e32 v[38:39], src_flat_scratch_base_lo, v[0:1]
	s_add_nc_u64 s[38:39], s[6:7], s[24:25]
	s_mov_b32 s24, 0
	s_sub_co_i32 s7, s2, s14
	s_mov_b32 s25, s24
	s_mov_b32 s26, s24
	s_delay_alu instid0(SALU_CYCLE_1)
	v_dual_lshlrev_b32 v36, 2, v68 :: v_dual_mov_b32 v34, s26
	v_ashrrev_i32_e32 v5, 31, v4
	v_cmp_gt_i32_e32 vcc_lo, s7, v6
	v_dual_mov_b32 v33, s25 :: v_dual_mov_b32 v32, s24
	s_clause 0x1
	scratch_store_b32 off, v37, off
	scratch_store_b96 off, v[32:34], off offset:4
	v_lshl_add_u64 v[2:3], v[4:5], 2, s[38:39]
	v_lshl_add_u32 v4, s28, 5, v4
	v_add_nc_u32_e32 v7, 32, v6
	v_mad_u32_u24 v8, 0x90, v6, v36
	v_mov_b32_e32 v6, v37
	v_add_nc_u64_e32 v[40:41], v[2:3], v[36:37]
	v_ashrrev_i32_e32 v5, 31, v4
	v_cmp_gt_i32_e64 s2, s7, v7
	v_dual_mov_b32 v7, v37 :: v_dual_mov_b32 v44, v37
	v_mov_b32_e32 v9, v37
	s_delay_alu instid0(VALU_DEP_4) | instskip(SKIP_2) | instid1(VALU_DEP_3)
	v_lshl_add_u64 v[4:5], v[4:5], 2, s[38:39]
	v_dual_cndmask_b32 v1, v39, v41 :: v_dual_cndmask_b32 v0, v38, v40
	v_dual_mov_b32 v14, v37 :: v_dual_mov_b32 v15, v37
	v_add_nc_u64_e32 v[42:43], v[4:5], v[36:37]
	v_mov_b32_e32 v36, v37
	flat_load_b128 v[0:3], v[0:1]
	s_clause 0x1
	scratch_store_b32 off, v37, off
	scratch_store_b96 off, v[32:34], off offset:4
	v_add_nc_u64_e32 v[40:41], 0x80, v[40:41]
	v_dual_cndmask_b32 v5, v39, v43, s2 :: v_dual_cndmask_b32 v4, v38, v42, s2
	v_add_nc_u64_e32 v[42:43], 0x80, v[42:43]
	s_delay_alu instid0(VALU_DEP_3) | instskip(NEXT) | instid1(VALU_DEP_2)
	v_dual_cndmask_b32 v41, v39, v41 :: v_dual_cndmask_b32 v40, v38, v40
	v_dual_cndmask_b32 v43, v39, v43, s2 :: v_dual_cndmask_b32 v42, v38, v42, s2
	s_wait_loadcnt_dscnt 0x0
	ds_store_b128 v8, v[0:3] offset:16384
	flat_load_b128 v[2:5], v[4:5]
	s_wait_xcnt 0x3
	v_mul_u32_u24_e32 v0, 0x90, v48
	v_mov_b32_e32 v1, v37
	s_wait_loadcnt_dscnt 0x0
	ds_store_b128 v8, v[2:5] offset:20992
	s_wait_storecnt_dscnt 0x0
	s_barrier_signal -1
	s_barrier_wait -1
	ds_load_b128 v[10:13], v0 offset:16384
	ds_load_b128 v[70:73], v49
	ds_load_b128 v[74:77], v49 offset:256
	ds_load_b128 v[78:81], v49 offset:512
	;; [unrolled: 1-line block ×8, first 2 shown]
	v_dual_mov_b32 v2, v37 :: v_dual_mov_b32 v3, v37
	s_wait_xcnt 0x0
	v_dual_mov_b32 v4, v37 :: v_dual_mov_b32 v5, v37
	s_wait_dscnt 0x8
	;;#ASMSTART
	v_dot2_f32_f16 v36, v10, v70, v36
	;;#ASMEND
	;;#ASMSTART
	v_dot2_f32_f16 v36, v11, v71, v36
	;;#ASMEND
	;;#ASMSTART
	v_dot2_f32_f16 v36, v12, v72, v36
	;;#ASMEND
	;;#ASMSTART
	v_dot2_f32_f16 v36, v13, v73, v36
	;;#ASMEND
	s_wait_dscnt 0x7
	;;#ASMSTART
	v_dot2_f32_f16 v1, v10, v74, v1
	;;#ASMEND
	;;#ASMSTART
	v_dot2_f32_f16 v1, v11, v75, v1
	;;#ASMEND
	;;#ASMSTART
	v_dot2_f32_f16 v1, v12, v76, v1
	;;#ASMEND
	;;#ASMSTART
	v_dot2_f32_f16 v1, v13, v77, v1
	;;#ASMEND
	;; [unrolled: 13-line block ×8, first 2 shown]
	;;#ASMSTART
	v_dot2_f32_f16 v44, v122, v70, v44
	;;#ASMEND
	;;#ASMSTART
	v_dot2_f32_f16 v44, v123, v71, v44
	;;#ASMEND
	;; [unrolled: 3-line block ×7, first 2 shown]
	v_dual_mov_b32 v10, v37 :: v_dual_mov_b32 v11, v37
	;;#ASMSTART
	v_dot2_f32_f16 v9, v125, v77, v9
	;;#ASMEND
	;;#ASMSTART
	v_dot2_f32_f16 v10, v122, v78, v10
	;;#ASMEND
	;; [unrolled: 3-line block ×8, first 2 shown]
	v_dual_mov_b32 v12, v37 :: v_dual_mov_b32 v13, v37
	;;#ASMSTART
	v_dot2_f32_f16 v11, v125, v121, v11
	;;#ASMEND
	;;#ASMSTART
	v_dot2_f32_f16 v12, v122, v126, v12
	;;#ASMEND
	;; [unrolled: 3-line block ×17, first 2 shown]
	ds_load_b128 v[70:73], v0 offset:16400
	ds_load_b128 v[74:77], v49 offset:16
	;; [unrolled: 1-line block ×10, first 2 shown]
	s_wait_dscnt 0x8
	;;#ASMSTART
	v_dot2_f32_f16 v36, v70, v74, v36
	;;#ASMEND
	;;#ASMSTART
	v_dot2_f32_f16 v36, v71, v75, v36
	;;#ASMEND
	;;#ASMSTART
	v_dot2_f32_f16 v36, v72, v76, v36
	;;#ASMEND
	;;#ASMSTART
	v_dot2_f32_f16 v36, v73, v77, v36
	;;#ASMEND
	s_wait_dscnt 0x7
	;;#ASMSTART
	v_dot2_f32_f16 v1, v70, v78, v1
	;;#ASMEND
	;;#ASMSTART
	v_dot2_f32_f16 v1, v71, v79, v1
	;;#ASMEND
	;;#ASMSTART
	v_dot2_f32_f16 v1, v72, v80, v1
	;;#ASMEND
	;;#ASMSTART
	v_dot2_f32_f16 v1, v73, v81, v1
	;;#ASMEND
	;; [unrolled: 13-line block ×8, first 2 shown]
	;;#ASMSTART
	v_dot2_f32_f16 v44, v126, v74, v44
	;;#ASMEND
	;;#ASMSTART
	v_dot2_f32_f16 v44, v127, v75, v44
	;;#ASMEND
	;; [unrolled: 3-line block ×32, first 2 shown]
	ds_load_b128 v[70:73], v0 offset:16416
	ds_load_b128 v[74:77], v49 offset:32
	ds_load_b128 v[78:81], v49 offset:288
	ds_load_b128 v[118:121], v49 offset:544
	ds_load_b128 v[122:125], v49 offset:800
	ds_load_b128 v[126:129], v0 offset:21024
	ds_load_b128 v[130:133], v49 offset:1056
	ds_load_b128 v[134:137], v49 offset:1312
	ds_load_b128 v[138:141], v49 offset:1568
	ds_load_b128 v[142:145], v49 offset:1824
	s_wait_dscnt 0x8
	;;#ASMSTART
	v_dot2_f32_f16 v36, v70, v74, v36
	;;#ASMEND
	;;#ASMSTART
	v_dot2_f32_f16 v36, v71, v75, v36
	;;#ASMEND
	;;#ASMSTART
	v_dot2_f32_f16 v36, v72, v76, v36
	;;#ASMEND
	;;#ASMSTART
	v_dot2_f32_f16 v36, v73, v77, v36
	;;#ASMEND
	s_wait_dscnt 0x7
	;;#ASMSTART
	v_dot2_f32_f16 v1, v70, v78, v1
	;;#ASMEND
	;;#ASMSTART
	v_dot2_f32_f16 v1, v71, v79, v1
	;;#ASMEND
	;;#ASMSTART
	v_dot2_f32_f16 v1, v72, v80, v1
	;;#ASMEND
	;;#ASMSTART
	v_dot2_f32_f16 v1, v73, v81, v1
	;;#ASMEND
	s_wait_dscnt 0x6
	;;#ASMSTART
	v_dot2_f32_f16 v2, v70, v118, v2
	;;#ASMEND
	;;#ASMSTART
	v_dot2_f32_f16 v2, v71, v119, v2
	;;#ASMEND
	;;#ASMSTART
	v_dot2_f32_f16 v2, v72, v120, v2
	;;#ASMEND
	;;#ASMSTART
	v_dot2_f32_f16 v2, v73, v121, v2
	;;#ASMEND
	s_wait_dscnt 0x5
	;;#ASMSTART
	v_dot2_f32_f16 v3, v70, v122, v3
	;;#ASMEND
	;;#ASMSTART
	v_dot2_f32_f16 v3, v71, v123, v3
	;;#ASMEND
	;;#ASMSTART
	v_dot2_f32_f16 v3, v72, v124, v3
	;;#ASMEND
	;;#ASMSTART
	v_dot2_f32_f16 v3, v73, v125, v3
	;;#ASMEND
	s_wait_dscnt 0x3
	;;#ASMSTART
	v_dot2_f32_f16 v4, v70, v130, v4
	;;#ASMEND
	;;#ASMSTART
	v_dot2_f32_f16 v4, v71, v131, v4
	;;#ASMEND
	;;#ASMSTART
	v_dot2_f32_f16 v4, v72, v132, v4
	;;#ASMEND
	;;#ASMSTART
	v_dot2_f32_f16 v4, v73, v133, v4
	;;#ASMEND
	s_wait_dscnt 0x2
	;;#ASMSTART
	v_dot2_f32_f16 v5, v70, v134, v5
	;;#ASMEND
	;;#ASMSTART
	v_dot2_f32_f16 v5, v71, v135, v5
	;;#ASMEND
	;;#ASMSTART
	v_dot2_f32_f16 v5, v72, v136, v5
	;;#ASMEND
	;;#ASMSTART
	v_dot2_f32_f16 v5, v73, v137, v5
	;;#ASMEND
	s_wait_dscnt 0x1
	;;#ASMSTART
	v_dot2_f32_f16 v6, v70, v138, v6
	;;#ASMEND
	;;#ASMSTART
	v_dot2_f32_f16 v6, v71, v139, v6
	;;#ASMEND
	;;#ASMSTART
	v_dot2_f32_f16 v6, v72, v140, v6
	;;#ASMEND
	;;#ASMSTART
	v_dot2_f32_f16 v6, v73, v141, v6
	;;#ASMEND
	s_wait_dscnt 0x0
	;;#ASMSTART
	v_dot2_f32_f16 v7, v70, v142, v7
	;;#ASMEND
	;;#ASMSTART
	v_dot2_f32_f16 v7, v71, v143, v7
	;;#ASMEND
	;;#ASMSTART
	v_dot2_f32_f16 v7, v72, v144, v7
	;;#ASMEND
	;;#ASMSTART
	v_dot2_f32_f16 v7, v73, v145, v7
	;;#ASMEND
	;;#ASMSTART
	v_dot2_f32_f16 v44, v126, v74, v44
	;;#ASMEND
	;;#ASMSTART
	v_dot2_f32_f16 v44, v127, v75, v44
	;;#ASMEND
	;; [unrolled: 3-line block ×32, first 2 shown]
	ds_load_b128 v[70:73], v0 offset:16432
	ds_load_b128 v[74:77], v49 offset:48
	ds_load_b128 v[78:81], v49 offset:304
	ds_load_b128 v[118:121], v49 offset:560
	ds_load_b128 v[122:125], v49 offset:816
	ds_load_b128 v[126:129], v0 offset:21040
	ds_load_b128 v[130:133], v49 offset:1072
	ds_load_b128 v[134:137], v49 offset:1328
	ds_load_b128 v[138:141], v49 offset:1584
	ds_load_b128 v[142:145], v49 offset:1840
	s_wait_dscnt 0x8
	;;#ASMSTART
	v_dot2_f32_f16 v36, v70, v74, v36
	;;#ASMEND
	;;#ASMSTART
	v_dot2_f32_f16 v36, v71, v75, v36
	;;#ASMEND
	;;#ASMSTART
	v_dot2_f32_f16 v36, v72, v76, v36
	;;#ASMEND
	;;#ASMSTART
	v_dot2_f32_f16 v36, v73, v77, v36
	;;#ASMEND
	s_wait_dscnt 0x7
	;;#ASMSTART
	v_dot2_f32_f16 v1, v70, v78, v1
	;;#ASMEND
	;;#ASMSTART
	v_dot2_f32_f16 v1, v71, v79, v1
	;;#ASMEND
	;;#ASMSTART
	v_dot2_f32_f16 v1, v72, v80, v1
	;;#ASMEND
	;;#ASMSTART
	v_dot2_f32_f16 v1, v73, v81, v1
	;;#ASMEND
	;; [unrolled: 13-line block ×8, first 2 shown]
	;;#ASMSTART
	v_dot2_f32_f16 v44, v126, v74, v44
	;;#ASMEND
	;;#ASMSTART
	v_dot2_f32_f16 v44, v127, v75, v44
	;;#ASMEND
	;; [unrolled: 3-line block ×32, first 2 shown]
	ds_load_b128 v[70:73], v0 offset:16448
	ds_load_b128 v[74:77], v49 offset:64
	;; [unrolled: 1-line block ×10, first 2 shown]
	s_wait_dscnt 0x8
	;;#ASMSTART
	v_dot2_f32_f16 v36, v70, v74, v36
	;;#ASMEND
	;;#ASMSTART
	v_dot2_f32_f16 v36, v71, v75, v36
	;;#ASMEND
	;;#ASMSTART
	v_dot2_f32_f16 v36, v72, v76, v36
	;;#ASMEND
	;;#ASMSTART
	v_dot2_f32_f16 v36, v73, v77, v36
	;;#ASMEND
	s_wait_dscnt 0x7
	;;#ASMSTART
	v_dot2_f32_f16 v1, v70, v78, v1
	;;#ASMEND
	;;#ASMSTART
	v_dot2_f32_f16 v1, v71, v79, v1
	;;#ASMEND
	;;#ASMSTART
	v_dot2_f32_f16 v1, v72, v80, v1
	;;#ASMEND
	;;#ASMSTART
	v_dot2_f32_f16 v1, v73, v81, v1
	;;#ASMEND
	;; [unrolled: 13-line block ×8, first 2 shown]
	;;#ASMSTART
	v_dot2_f32_f16 v44, v126, v74, v44
	;;#ASMEND
	;;#ASMSTART
	v_dot2_f32_f16 v44, v127, v75, v44
	;;#ASMEND
	;; [unrolled: 3-line block ×32, first 2 shown]
	ds_load_b128 v[70:73], v0 offset:16464
	ds_load_b128 v[74:77], v49 offset:80
	;; [unrolled: 1-line block ×10, first 2 shown]
	s_wait_dscnt 0x8
	;;#ASMSTART
	v_dot2_f32_f16 v36, v70, v74, v36
	;;#ASMEND
	;;#ASMSTART
	v_dot2_f32_f16 v36, v71, v75, v36
	;;#ASMEND
	;;#ASMSTART
	v_dot2_f32_f16 v36, v72, v76, v36
	;;#ASMEND
	;;#ASMSTART
	v_dot2_f32_f16 v36, v73, v77, v36
	;;#ASMEND
	s_wait_dscnt 0x7
	;;#ASMSTART
	v_dot2_f32_f16 v1, v70, v78, v1
	;;#ASMEND
	;;#ASMSTART
	v_dot2_f32_f16 v1, v71, v79, v1
	;;#ASMEND
	;;#ASMSTART
	v_dot2_f32_f16 v1, v72, v80, v1
	;;#ASMEND
	;;#ASMSTART
	v_dot2_f32_f16 v1, v73, v81, v1
	;;#ASMEND
	;; [unrolled: 13-line block ×8, first 2 shown]
	;;#ASMSTART
	v_dot2_f32_f16 v44, v126, v74, v44
	;;#ASMEND
	;;#ASMSTART
	v_dot2_f32_f16 v44, v127, v75, v44
	;;#ASMEND
	;;#ASMSTART
	v_dot2_f32_f16 v44, v128, v76, v44
	;;#ASMEND
	;;#ASMSTART
	v_dot2_f32_f16 v44, v129, v77, v44
	;;#ASMEND
	;;#ASMSTART
	v_dot2_f32_f16 v9, v126, v78, v9
	;;#ASMEND
	;;#ASMSTART
	v_dot2_f32_f16 v9, v127, v79, v9
	;;#ASMEND
	;;#ASMSTART
	v_dot2_f32_f16 v9, v128, v80, v9
	;;#ASMEND
	;;#ASMSTART
	v_dot2_f32_f16 v9, v129, v81, v9
	;;#ASMEND
	;;#ASMSTART
	v_dot2_f32_f16 v10, v126, v118, v10
	;;#ASMEND
	;;#ASMSTART
	v_dot2_f32_f16 v10, v127, v119, v10
	;;#ASMEND
	;;#ASMSTART
	v_dot2_f32_f16 v10, v128, v120, v10
	;;#ASMEND
	;;#ASMSTART
	v_dot2_f32_f16 v10, v129, v121, v10
	;;#ASMEND
	;;#ASMSTART
	v_dot2_f32_f16 v11, v126, v122, v11
	;;#ASMEND
	;;#ASMSTART
	v_dot2_f32_f16 v11, v127, v123, v11
	;;#ASMEND
	;;#ASMSTART
	v_dot2_f32_f16 v11, v128, v124, v11
	;;#ASMEND
	;;#ASMSTART
	v_dot2_f32_f16 v11, v129, v125, v11
	;;#ASMEND
	;;#ASMSTART
	v_dot2_f32_f16 v12, v126, v130, v12
	;;#ASMEND
	;;#ASMSTART
	v_dot2_f32_f16 v12, v127, v131, v12
	;;#ASMEND
	;;#ASMSTART
	v_dot2_f32_f16 v12, v128, v132, v12
	;;#ASMEND
	;;#ASMSTART
	v_dot2_f32_f16 v12, v129, v133, v12
	;;#ASMEND
	;;#ASMSTART
	v_dot2_f32_f16 v13, v126, v134, v13
	;;#ASMEND
	;;#ASMSTART
	v_dot2_f32_f16 v13, v127, v135, v13
	;;#ASMEND
	;;#ASMSTART
	v_dot2_f32_f16 v13, v128, v136, v13
	;;#ASMEND
	;;#ASMSTART
	v_dot2_f32_f16 v13, v129, v137, v13
	;;#ASMEND
	;;#ASMSTART
	v_dot2_f32_f16 v14, v126, v138, v14
	;;#ASMEND
	;;#ASMSTART
	v_dot2_f32_f16 v14, v127, v139, v14
	;;#ASMEND
	;;#ASMSTART
	v_dot2_f32_f16 v14, v128, v140, v14
	;;#ASMEND
	;;#ASMSTART
	v_dot2_f32_f16 v14, v129, v141, v14
	;;#ASMEND
	;;#ASMSTART
	v_dot2_f32_f16 v15, v126, v142, v15
	;;#ASMEND
	;;#ASMSTART
	v_dot2_f32_f16 v15, v127, v143, v15
	;;#ASMEND
	;;#ASMSTART
	v_dot2_f32_f16 v15, v128, v144, v15
	;;#ASMEND
	;;#ASMSTART
	v_dot2_f32_f16 v15, v129, v145, v15
	;;#ASMEND
	ds_load_b128 v[70:73], v0 offset:16480
	ds_load_b128 v[74:77], v49 offset:96
	ds_load_b128 v[78:81], v49 offset:352
	ds_load_b128 v[118:121], v49 offset:608
	ds_load_b128 v[122:125], v49 offset:864
	ds_load_b128 v[126:129], v0 offset:21088
	ds_load_b128 v[130:133], v49 offset:1120
	ds_load_b128 v[134:137], v49 offset:1376
	ds_load_b128 v[138:141], v49 offset:1632
	ds_load_b128 v[142:145], v49 offset:1888
	s_wait_dscnt 0x8
	;;#ASMSTART
	v_dot2_f32_f16 v36, v70, v74, v36
	;;#ASMEND
	;;#ASMSTART
	v_dot2_f32_f16 v36, v71, v75, v36
	;;#ASMEND
	;;#ASMSTART
	v_dot2_f32_f16 v36, v72, v76, v36
	;;#ASMEND
	;;#ASMSTART
	v_dot2_f32_f16 v36, v73, v77, v36
	;;#ASMEND
	s_wait_dscnt 0x7
	;;#ASMSTART
	v_dot2_f32_f16 v1, v70, v78, v1
	;;#ASMEND
	;;#ASMSTART
	v_dot2_f32_f16 v1, v71, v79, v1
	;;#ASMEND
	;;#ASMSTART
	v_dot2_f32_f16 v1, v72, v80, v1
	;;#ASMEND
	;;#ASMSTART
	v_dot2_f32_f16 v1, v73, v81, v1
	;;#ASMEND
	;; [unrolled: 13-line block ×8, first 2 shown]
	;;#ASMSTART
	v_dot2_f32_f16 v44, v126, v74, v44
	;;#ASMEND
	;;#ASMSTART
	v_dot2_f32_f16 v44, v127, v75, v44
	;;#ASMEND
	;; [unrolled: 3-line block ×32, first 2 shown]
	ds_load_b128 v[70:73], v0 offset:16496
	ds_load_b128 v[74:77], v49 offset:112
	;; [unrolled: 1-line block ×10, first 2 shown]
	s_wait_dscnt 0x8
	;;#ASMSTART
	v_dot2_f32_f16 v36, v70, v74, v36
	;;#ASMEND
	;;#ASMSTART
	v_dot2_f32_f16 v36, v71, v75, v36
	;;#ASMEND
	;;#ASMSTART
	v_dot2_f32_f16 v36, v72, v76, v36
	;;#ASMEND
	;;#ASMSTART
	v_dot2_f32_f16 v36, v73, v77, v36
	;;#ASMEND
	s_wait_dscnt 0x7
	;;#ASMSTART
	v_dot2_f32_f16 v1, v70, v78, v1
	;;#ASMEND
	;;#ASMSTART
	v_dot2_f32_f16 v1, v71, v79, v1
	;;#ASMEND
	;;#ASMSTART
	v_dot2_f32_f16 v1, v72, v80, v1
	;;#ASMEND
	;;#ASMSTART
	v_dot2_f32_f16 v1, v73, v81, v1
	;;#ASMEND
	;; [unrolled: 13-line block ×8, first 2 shown]
	;;#ASMSTART
	v_dot2_f32_f16 v44, v126, v74, v44
	;;#ASMEND
	;;#ASMSTART
	v_dot2_f32_f16 v44, v127, v75, v44
	;;#ASMEND
	;; [unrolled: 3-line block ×32, first 2 shown]
	s_barrier_signal -1
	s_barrier_wait -1
	s_clause 0x1
	scratch_store_b32 off, v37, off
	scratch_store_b96 off, v[32:34], off offset:4
	flat_load_b128 v[38:41], v[40:41]
	s_wait_loadcnt_dscnt 0x0
	ds_store_b128 v8, v[38:41] offset:16384
	s_clause 0x1
	scratch_store_b96 off, v[32:34], off offset:4
	scratch_store_b32 off, v37, off
	flat_load_b128 v[32:35], v[42:43]
	s_wait_loadcnt_dscnt 0x0
	ds_store_b128 v8, v[32:35] offset:20992
	s_wait_storecnt_dscnt 0x0
	s_barrier_signal -1
	s_barrier_wait -1
	ds_load_b128 v[32:35], v0 offset:16384
	ds_load_b128 v[38:41], v49 offset:128
	;; [unrolled: 1-line block ×10, first 2 shown]
	s_wait_dscnt 0x8
	;;#ASMSTART
	v_dot2_f32_f16 v36, v32, v38, v36
	;;#ASMEND
	;;#ASMSTART
	v_dot2_f32_f16 v36, v33, v39, v36
	;;#ASMEND
	;;#ASMSTART
	v_dot2_f32_f16 v36, v34, v40, v36
	;;#ASMEND
	;;#ASMSTART
	v_dot2_f32_f16 v36, v35, v41, v36
	;;#ASMEND
	s_wait_dscnt 0x7
	;;#ASMSTART
	v_dot2_f32_f16 v1, v32, v70, v1
	;;#ASMEND
	;;#ASMSTART
	v_dot2_f32_f16 v1, v33, v71, v1
	;;#ASMEND
	;;#ASMSTART
	v_dot2_f32_f16 v1, v34, v72, v1
	;;#ASMEND
	;;#ASMSTART
	v_dot2_f32_f16 v1, v35, v73, v1
	;;#ASMEND
	;; [unrolled: 13-line block ×8, first 2 shown]
	;;#ASMSTART
	v_dot2_f32_f16 v44, v118, v38, v44
	;;#ASMEND
	;;#ASMSTART
	v_dot2_f32_f16 v44, v119, v39, v44
	;;#ASMEND
	;; [unrolled: 3-line block ×32, first 2 shown]
	ds_load_b128 v[32:35], v0 offset:16400
	ds_load_b128 v[38:41], v49 offset:144
	;; [unrolled: 1-line block ×10, first 2 shown]
	s_wait_dscnt 0x8
	;;#ASMSTART
	v_dot2_f32_f16 v36, v32, v38, v36
	;;#ASMEND
	;;#ASMSTART
	v_dot2_f32_f16 v36, v33, v39, v36
	;;#ASMEND
	;;#ASMSTART
	v_dot2_f32_f16 v36, v34, v40, v36
	;;#ASMEND
	;;#ASMSTART
	v_dot2_f32_f16 v36, v35, v41, v36
	;;#ASMEND
	s_wait_dscnt 0x7
	;;#ASMSTART
	v_dot2_f32_f16 v1, v32, v70, v1
	;;#ASMEND
	;;#ASMSTART
	v_dot2_f32_f16 v1, v33, v71, v1
	;;#ASMEND
	;;#ASMSTART
	v_dot2_f32_f16 v1, v34, v72, v1
	;;#ASMEND
	;;#ASMSTART
	v_dot2_f32_f16 v1, v35, v73, v1
	;;#ASMEND
	;; [unrolled: 13-line block ×8, first 2 shown]
	;;#ASMSTART
	v_dot2_f32_f16 v44, v118, v38, v44
	;;#ASMEND
	;;#ASMSTART
	v_dot2_f32_f16 v44, v119, v39, v44
	;;#ASMEND
	;; [unrolled: 3-line block ×32, first 2 shown]
	ds_load_b128 v[32:35], v0 offset:16416
	ds_load_b128 v[38:41], v49 offset:160
	;; [unrolled: 1-line block ×10, first 2 shown]
	s_wait_dscnt 0x8
	;;#ASMSTART
	v_dot2_f32_f16 v36, v32, v38, v36
	;;#ASMEND
	;;#ASMSTART
	v_dot2_f32_f16 v36, v33, v39, v36
	;;#ASMEND
	;;#ASMSTART
	v_dot2_f32_f16 v36, v34, v40, v36
	;;#ASMEND
	;;#ASMSTART
	v_dot2_f32_f16 v36, v35, v41, v36
	;;#ASMEND
	s_wait_dscnt 0x7
	;;#ASMSTART
	v_dot2_f32_f16 v1, v32, v70, v1
	;;#ASMEND
	;;#ASMSTART
	v_dot2_f32_f16 v1, v33, v71, v1
	;;#ASMEND
	;;#ASMSTART
	v_dot2_f32_f16 v1, v34, v72, v1
	;;#ASMEND
	;;#ASMSTART
	v_dot2_f32_f16 v1, v35, v73, v1
	;;#ASMEND
	;; [unrolled: 13-line block ×8, first 2 shown]
	;;#ASMSTART
	v_dot2_f32_f16 v44, v118, v38, v44
	;;#ASMEND
	;;#ASMSTART
	v_dot2_f32_f16 v44, v119, v39, v44
	;;#ASMEND
	;; [unrolled: 3-line block ×32, first 2 shown]
	ds_load_b128 v[32:35], v0 offset:16432
	ds_load_b128 v[38:41], v49 offset:176
	;; [unrolled: 1-line block ×10, first 2 shown]
	s_wait_dscnt 0x8
	;;#ASMSTART
	v_dot2_f32_f16 v36, v32, v38, v36
	;;#ASMEND
	;;#ASMSTART
	v_dot2_f32_f16 v36, v33, v39, v36
	;;#ASMEND
	;;#ASMSTART
	v_dot2_f32_f16 v36, v34, v40, v36
	;;#ASMEND
	;;#ASMSTART
	v_dot2_f32_f16 v36, v35, v41, v36
	;;#ASMEND
	s_wait_dscnt 0x7
	;;#ASMSTART
	v_dot2_f32_f16 v1, v32, v70, v1
	;;#ASMEND
	;;#ASMSTART
	v_dot2_f32_f16 v1, v33, v71, v1
	;;#ASMEND
	;;#ASMSTART
	v_dot2_f32_f16 v1, v34, v72, v1
	;;#ASMEND
	;;#ASMSTART
	v_dot2_f32_f16 v1, v35, v73, v1
	;;#ASMEND
	;; [unrolled: 13-line block ×8, first 2 shown]
	;;#ASMSTART
	v_dot2_f32_f16 v44, v118, v38, v44
	;;#ASMEND
	;;#ASMSTART
	v_dot2_f32_f16 v44, v119, v39, v44
	;;#ASMEND
	;; [unrolled: 3-line block ×32, first 2 shown]
	ds_load_b128 v[32:35], v0 offset:16448
	ds_load_b128 v[38:41], v49 offset:192
	;; [unrolled: 1-line block ×10, first 2 shown]
	s_wait_dscnt 0x8
	;;#ASMSTART
	v_dot2_f32_f16 v36, v32, v38, v36
	;;#ASMEND
	;;#ASMSTART
	v_dot2_f32_f16 v36, v33, v39, v36
	;;#ASMEND
	;;#ASMSTART
	v_dot2_f32_f16 v36, v34, v40, v36
	;;#ASMEND
	;;#ASMSTART
	v_dot2_f32_f16 v36, v35, v41, v36
	;;#ASMEND
	s_wait_dscnt 0x7
	;;#ASMSTART
	v_dot2_f32_f16 v1, v32, v70, v1
	;;#ASMEND
	;;#ASMSTART
	v_dot2_f32_f16 v1, v33, v71, v1
	;;#ASMEND
	;;#ASMSTART
	v_dot2_f32_f16 v1, v34, v72, v1
	;;#ASMEND
	;;#ASMSTART
	v_dot2_f32_f16 v1, v35, v73, v1
	;;#ASMEND
	;; [unrolled: 13-line block ×8, first 2 shown]
	;;#ASMSTART
	v_dot2_f32_f16 v44, v118, v38, v44
	;;#ASMEND
	;;#ASMSTART
	v_dot2_f32_f16 v44, v119, v39, v44
	;;#ASMEND
	;; [unrolled: 3-line block ×32, first 2 shown]
	ds_load_b128 v[32:35], v0 offset:16464
	ds_load_b128 v[38:41], v49 offset:208
	;; [unrolled: 1-line block ×10, first 2 shown]
	s_wait_dscnt 0x8
	;;#ASMSTART
	v_dot2_f32_f16 v36, v32, v38, v36
	;;#ASMEND
	;;#ASMSTART
	v_dot2_f32_f16 v36, v33, v39, v36
	;;#ASMEND
	;;#ASMSTART
	v_dot2_f32_f16 v36, v34, v40, v36
	;;#ASMEND
	;;#ASMSTART
	v_dot2_f32_f16 v36, v35, v41, v36
	;;#ASMEND
	s_wait_dscnt 0x7
	;;#ASMSTART
	v_dot2_f32_f16 v1, v32, v70, v1
	;;#ASMEND
	;;#ASMSTART
	v_dot2_f32_f16 v1, v33, v71, v1
	;;#ASMEND
	;;#ASMSTART
	v_dot2_f32_f16 v1, v34, v72, v1
	;;#ASMEND
	;;#ASMSTART
	v_dot2_f32_f16 v1, v35, v73, v1
	;;#ASMEND
	;; [unrolled: 13-line block ×8, first 2 shown]
	;;#ASMSTART
	v_dot2_f32_f16 v44, v118, v38, v44
	;;#ASMEND
	;;#ASMSTART
	v_dot2_f32_f16 v44, v119, v39, v44
	;;#ASMEND
	;; [unrolled: 3-line block ×32, first 2 shown]
	ds_load_b128 v[32:35], v0 offset:16480
	ds_load_b128 v[38:41], v49 offset:224
	;; [unrolled: 1-line block ×10, first 2 shown]
	s_wait_dscnt 0x8
	;;#ASMSTART
	v_dot2_f32_f16 v36, v32, v38, v36
	;;#ASMEND
	;;#ASMSTART
	v_dot2_f32_f16 v36, v33, v39, v36
	;;#ASMEND
	;;#ASMSTART
	v_dot2_f32_f16 v36, v34, v40, v36
	;;#ASMEND
	;;#ASMSTART
	v_dot2_f32_f16 v36, v35, v41, v36
	;;#ASMEND
	s_wait_dscnt 0x7
	;;#ASMSTART
	v_dot2_f32_f16 v1, v32, v70, v1
	;;#ASMEND
	;;#ASMSTART
	v_dot2_f32_f16 v1, v33, v71, v1
	;;#ASMEND
	;;#ASMSTART
	v_dot2_f32_f16 v1, v34, v72, v1
	;;#ASMEND
	;;#ASMSTART
	v_dot2_f32_f16 v1, v35, v73, v1
	;;#ASMEND
	;; [unrolled: 13-line block ×8, first 2 shown]
	;;#ASMSTART
	v_dot2_f32_f16 v44, v118, v38, v44
	;;#ASMEND
	;;#ASMSTART
	v_dot2_f32_f16 v44, v119, v39, v44
	;;#ASMEND
	;; [unrolled: 3-line block ×32, first 2 shown]
	ds_load_b128 v[38:41], v0 offset:16496
	ds_load_b128 v[32:35], v0 offset:21104
	;; [unrolled: 1-line block ×10, first 2 shown]
	s_wait_dscnt 0x7
	;;#ASMSTART
	v_dot2_f32_f16 v36, v38, v70, v36
	;;#ASMEND
	;;#ASMSTART
	v_dot2_f32_f16 v36, v39, v71, v36
	;;#ASMEND
	;;#ASMSTART
	v_dot2_f32_f16 v36, v40, v72, v36
	;;#ASMEND
	;;#ASMSTART
	v_dot2_f32_f16 v36, v41, v73, v36
	;;#ASMEND
	s_wait_dscnt 0x6
	;;#ASMSTART
	v_dot2_f32_f16 v1, v38, v74, v1
	;;#ASMEND
	;;#ASMSTART
	v_dot2_f32_f16 v1, v39, v75, v1
	;;#ASMEND
	;;#ASMSTART
	v_dot2_f32_f16 v1, v40, v76, v1
	;;#ASMEND
	;;#ASMSTART
	v_dot2_f32_f16 v1, v41, v77, v1
	;;#ASMEND
	;; [unrolled: 13-line block ×8, first 2 shown]
	;;#ASMSTART
	v_dot2_f32_f16 v44, v32, v70, v44
	;;#ASMEND
	;;#ASMSTART
	v_dot2_f32_f16 v44, v33, v71, v44
	;;#ASMEND
	;; [unrolled: 3-line block ×26, first 2 shown]
	v_cmp_ngt_f32_e64 s2, 0x3f200000, |v36|
	;;#ASMSTART
	v_dot2_f32_f16 v14, v34, v132, v14
	;;#ASMEND
	;;#ASMSTART
	v_dot2_f32_f16 v14, v35, v133, v14
	;;#ASMEND
	;; [unrolled: 3-line block ×6, first 2 shown]
                                        ; implicit-def: $vgpr0
	s_wait_xcnt 0x0
	s_and_saveexec_b32 s3, s2
	s_delay_alu instid0(SALU_CYCLE_1)
	s_xor_b32 s2, exec_lo, s3
	s_cbranch_execz .LBB86_121
; %bb.120:
	v_add_f32_e64 v0, |v36|, |v36|
	s_delay_alu instid0(VALU_DEP_1) | instskip(SKIP_1) | instid1(VALU_DEP_2)
	v_mul_f32_e32 v8, 0x3fb8aa3b, v0
	v_cmp_ngt_f32_e32 vcc_lo, 0xc2ce8ed0, v0
	v_rndne_f32_e32 v32, v8
	v_fma_f32 v33, 0x3fb8aa3b, v0, -v8
	s_delay_alu instid0(VALU_DEP_2) | instskip(NEXT) | instid1(VALU_DEP_2)
	v_sub_f32_e32 v8, v8, v32
	v_fmamk_f32 v33, v0, 0x32a5705f, v33
	v_cvt_i32_f32_e32 v32, v32
	s_delay_alu instid0(VALU_DEP_2) | instskip(NEXT) | instid1(VALU_DEP_1)
	v_add_f32_e32 v8, v8, v33
	v_exp_f32_e32 v8, v8
	v_nop
	s_delay_alu instid0(TRANS32_DEP_1) | instskip(NEXT) | instid1(VALU_DEP_1)
	v_ldexp_f32 v8, v8, v32
	v_cndmask_b32_e32 v8, 0, v8, vcc_lo
	v_cmp_nlt_f32_e32 vcc_lo, 0x42b17218, v0
	s_delay_alu instid0(VALU_DEP_2) | instskip(NEXT) | instid1(VALU_DEP_1)
	v_cndmask_b32_e32 v0, 0x7f800000, v8, vcc_lo
	v_add_f32_e32 v0, 1.0, v0
	s_delay_alu instid0(VALU_DEP_1) | instskip(SKIP_1) | instid1(TRANS32_DEP_1)
	v_rcp_f32_e32 v0, v0
	v_nop
	v_fma_f32 v0, v0, -2.0, 1.0
.LBB86_121:
	s_and_not1_saveexec_b32 s2, s2
	s_cbranch_execz .LBB86_123
; %bb.122:
	v_mul_f32_e32 v0, v36, v36
	s_mov_b32 s3, 0xbbbac73d
	s_delay_alu instid0(VALU_DEP_1) | instid1(SALU_CYCLE_1)
	v_fmaak_f32 v8, s3, v0, 0x3ca908c9
	s_delay_alu instid0(VALU_DEP_1) | instskip(NEXT) | instid1(VALU_DEP_1)
	v_fmaak_f32 v8, v0, v8, 0xbd5c1c4e
	v_fmaak_f32 v8, v0, v8, 0x3e088382
	s_delay_alu instid0(VALU_DEP_1) | instskip(NEXT) | instid1(VALU_DEP_1)
	v_fmaak_f32 v8, v0, v8, 0xbeaaaa99
	v_mul_f32_e64 v8, |v36|, v8
	s_delay_alu instid0(VALU_DEP_1)
	v_fma_f32 v0, v0, v8, |v36|
.LBB86_123:
	s_or_b32 exec_lo, exec_lo, s2
	v_mad_u32 v40, v64, s30, s14
	s_delay_alu instid0(VALU_DEP_2)
	v_bfi_b32 v0, 0x7fffffff, v0, v36
	s_cmp_lg_u64 s[36:37], 0
	v_mov_b64_e32 v[38:39], v[30:31]
	s_cselect_b32 s6, -1, 0
	v_mov_b64_e32 v[36:37], v[28:29]
	v_mov_b64_e32 v[34:35], v[26:27]
	;; [unrolled: 1-line block ×3, first 2 shown]
	v_cmp_gt_i32_e64 s2, s7, v48
	v_mul_f32_e32 v0, s31, v0
	v_cndmask_b32_e64 v68, 0, 1, s6
	s_and_saveexec_b32 s3, s2
	s_cbranch_execz .LBB86_128
; %bb.124:
	s_and_not1_b32 vcc_lo, exec_lo, s6
	s_cbranch_vccnz .LBB86_126
; %bb.125:
	v_add_nc_u32_e32 v8, v40, v48
	global_load_u16 v8, v8, s[36:37] scale_offset
	s_wait_loadcnt 0x0
	v_cvt_f32_f16_e32 v8, v8
	s_delay_alu instid0(VALU_DEP_1)
	v_mul_f32_e32 v8, v100, v8
	s_branch .LBB86_127
.LBB86_126:
	v_mov_b32_e32 v8, 0
.LBB86_127:
	s_delay_alu instid0(VALU_DEP_1) | instskip(SKIP_1) | instid1(VALU_DEP_2)
	v_add_f32_e32 v0, v0, v8
	v_max_num_f32_e32 v32, v24, v24
	v_add_f32_e32 v8, 0x40051340, v0
	s_delay_alu instid0(VALU_DEP_1)
	v_max_num_f32_e32 v8, v32, v8
	v_mov_b64_e32 v[38:39], v[30:31]
	v_mov_b64_e32 v[36:37], v[28:29]
	;; [unrolled: 1-line block ×4, first 2 shown]
	v_mov_b32_e32 v32, v8
.LBB86_128:
	s_or_b32 exec_lo, exec_lo, s3
	v_cmp_ngt_f32_e64 s3, 0x3f200000, |v44|
                                        ; implicit-def: $vgpr8
	s_and_saveexec_b32 s6, s3
	s_delay_alu instid0(SALU_CYCLE_1)
	s_xor_b32 s3, exec_lo, s6
	s_cbranch_execz .LBB86_130
; %bb.129:
	v_add_f32_e64 v8, |v44|, |v44|
	s_delay_alu instid0(VALU_DEP_1) | instskip(SKIP_1) | instid1(VALU_DEP_2)
	v_mul_f32_e32 v41, 0x3fb8aa3b, v8
	v_cmp_ngt_f32_e32 vcc_lo, 0xc2ce8ed0, v8
	v_rndne_f32_e32 v42, v41
	v_fma_f32 v43, 0x3fb8aa3b, v8, -v41
	s_delay_alu instid0(VALU_DEP_2) | instskip(NEXT) | instid1(VALU_DEP_2)
	v_sub_f32_e32 v41, v41, v42
	v_fmamk_f32 v43, v8, 0x32a5705f, v43
	v_cvt_i32_f32_e32 v42, v42
	s_delay_alu instid0(VALU_DEP_2) | instskip(NEXT) | instid1(VALU_DEP_1)
	v_add_f32_e32 v41, v41, v43
	v_exp_f32_e32 v41, v41
	v_nop
	s_delay_alu instid0(TRANS32_DEP_1) | instskip(NEXT) | instid1(VALU_DEP_1)
	v_ldexp_f32 v41, v41, v42
	v_cndmask_b32_e32 v41, 0, v41, vcc_lo
	v_cmp_nlt_f32_e32 vcc_lo, 0x42b17218, v8
	s_delay_alu instid0(VALU_DEP_2) | instskip(NEXT) | instid1(VALU_DEP_1)
	v_cndmask_b32_e32 v8, 0x7f800000, v41, vcc_lo
	v_add_f32_e32 v8, 1.0, v8
	s_delay_alu instid0(VALU_DEP_1) | instskip(SKIP_1) | instid1(TRANS32_DEP_1)
	v_rcp_f32_e32 v8, v8
	v_nop
	v_fma_f32 v8, v8, -2.0, 1.0
.LBB86_130:
	s_and_not1_saveexec_b32 s3, s3
	s_cbranch_execz .LBB86_132
; %bb.131:
	v_mul_f32_e32 v8, v44, v44
	s_mov_b32 s6, 0xbbbac73d
	s_delay_alu instid0(VALU_DEP_1) | instid1(SALU_CYCLE_1)
	v_fmaak_f32 v41, s6, v8, 0x3ca908c9
	s_delay_alu instid0(VALU_DEP_1) | instskip(NEXT) | instid1(VALU_DEP_1)
	v_fmaak_f32 v41, v8, v41, 0xbd5c1c4e
	v_fmaak_f32 v41, v8, v41, 0x3e088382
	s_delay_alu instid0(VALU_DEP_1) | instskip(NEXT) | instid1(VALU_DEP_1)
	v_fmaak_f32 v41, v8, v41, 0xbeaaaa99
	v_mul_f32_e64 v41, |v44|, v41
	s_delay_alu instid0(VALU_DEP_1)
	v_fma_f32 v8, v8, v41, |v44|
.LBB86_132:
	s_or_b32 exec_lo, exec_lo, s3
	s_delay_alu instid0(VALU_DEP_1) | instskip(SKIP_1) | instid1(VALU_DEP_2)
	v_bfi_b32 v8, 0x7fffffff, v8, v44
	v_add_nc_u32_e32 v64, 32, v48
	v_mul_f32_e32 v8, s31, v8
	s_delay_alu instid0(VALU_DEP_2)
	v_cmp_gt_i32_e64 s3, s7, v64
	s_and_saveexec_b32 s6, s3
	s_cbranch_execz .LBB86_137
; %bb.133:
	v_cmp_ne_u32_e32 vcc_lo, 1, v68
	s_cbranch_vccnz .LBB86_135
; %bb.134:
	v_dual_ashrrev_i32 v41, 31, v40 :: v_dual_mov_b32 v49, 0
	s_delay_alu instid0(VALU_DEP_1) | instskip(NEXT) | instid1(VALU_DEP_1)
	v_add_nc_u64_e32 v[40:41], v[40:41], v[48:49]
	v_lshl_add_u64 v[40:41], v[40:41], 1, s[36:37]
	global_load_u16 v40, v[40:41], off offset:64
	s_wait_loadcnt 0x0
	v_cvt_f32_f16_e32 v40, v40
	s_delay_alu instid0(VALU_DEP_1)
	v_mul_f32_e32 v40, v100, v40
	s_branch .LBB86_136
.LBB86_135:
	v_mov_b32_e32 v40, 0
.LBB86_136:
	s_delay_alu instid0(VALU_DEP_1) | instskip(SKIP_1) | instid1(VALU_DEP_2)
	v_add_f32_e32 v8, v8, v40
	v_max_num_f32_e32 v32, v32, v32
	v_add_f32_e32 v40, 0x40051340, v8
	s_delay_alu instid0(VALU_DEP_1)
	v_max_num_f32_e32 v32, v32, v40
.LBB86_137:
	s_or_b32 exec_lo, exec_lo, s6
	v_xor_b32_e32 v43, 1, v96
	v_xor_b32_e32 v45, 4, v96
	;; [unrolled: 1-line block ×5, first 2 shown]
	v_cmp_ngt_f32_e64 s6, 0x3f200000, |v1|
	v_mov_b32_e32 v42, 32
	s_delay_alu instid0(VALU_DEP_4) | instskip(SKIP_4) | instid1(VALU_DEP_2)
	v_cmp_gt_i32_e32 vcc_lo, 32, v47
	v_cndmask_b32_e32 v40, v96, v47, vcc_lo
	v_cmp_gt_i32_e32 vcc_lo, 32, v46
	v_cndmask_b32_e32 v41, v96, v46, vcc_lo
	v_cmp_gt_i32_e32 vcc_lo, 32, v45
	v_dual_lshlrev_b32 v71, 2, v41 :: v_dual_lshlrev_b32 v70, 2, v40
	v_cndmask_b32_e32 v41, v96, v45, vcc_lo
	v_cmp_gt_i32_e32 vcc_lo, 32, v44
	ds_bpermute_b32 v40, v70, v32
	v_dual_max_num_f32 v32, v32, v32 :: v_dual_lshlrev_b32 v72, 2, v41
	v_cndmask_b32_e32 v41, v96, v44, vcc_lo
	v_cmp_gt_i32_e32 vcc_lo, 32, v43
	s_delay_alu instid0(VALU_DEP_2) | instskip(NEXT) | instid1(VALU_DEP_1)
	v_dual_lshlrev_b32 v73, 2, v41 :: v_dual_cndmask_b32 v41, v96, v43, vcc_lo
	v_lshlrev_b32_e32 v74, 2, v41
                                        ; implicit-def: $vgpr41
	s_wait_dscnt 0x0
	v_max_num_f32_e32 v40, v40, v40
	s_delay_alu instid0(VALU_DEP_1) | instskip(SKIP_3) | instid1(VALU_DEP_1)
	v_max_num_f32_e32 v32, v32, v40
	ds_bpermute_b32 v40, v71, v32
	s_wait_dscnt 0x0
	v_max_num_f32_e32 v40, v40, v40
	v_max_num_f32_e32 v32, v32, v40
	ds_bpermute_b32 v40, v72, v32
	s_wait_dscnt 0x0
	v_max_num_f32_e32 v40, v40, v40
	s_delay_alu instid0(VALU_DEP_1) | instskip(SKIP_3) | instid1(VALU_DEP_1)
	v_max_num_f32_e32 v32, v32, v40
	ds_bpermute_b32 v40, v73, v32
	s_wait_dscnt 0x0
	v_max_num_f32_e32 v40, v40, v40
	v_max_num_f32_e32 v32, v32, v40
	ds_bpermute_b32 v40, v74, v32
	s_and_saveexec_b32 s11, s6
	s_delay_alu instid0(SALU_CYCLE_1)
	s_xor_b32 s6, exec_lo, s11
	s_cbranch_execz .LBB86_139
; %bb.138:
	v_add_f32_e64 v41, |v1|, |v1|
	s_delay_alu instid0(VALU_DEP_1) | instskip(SKIP_1) | instid1(VALU_DEP_2)
	v_mul_f32_e32 v49, 0x3fb8aa3b, v41
	v_cmp_ngt_f32_e32 vcc_lo, 0xc2ce8ed0, v41
	v_rndne_f32_e32 v53, v49
	v_fma_f32 v55, 0x3fb8aa3b, v41, -v49
	s_delay_alu instid0(VALU_DEP_2) | instskip(NEXT) | instid1(VALU_DEP_2)
	v_sub_f32_e32 v49, v49, v53
	v_fmamk_f32 v55, v41, 0x32a5705f, v55
	v_cvt_i32_f32_e32 v53, v53
	s_delay_alu instid0(VALU_DEP_2) | instskip(NEXT) | instid1(VALU_DEP_1)
	v_add_f32_e32 v49, v49, v55
	v_exp_f32_e32 v49, v49
	v_nop
	s_delay_alu instid0(TRANS32_DEP_1) | instskip(NEXT) | instid1(VALU_DEP_1)
	v_ldexp_f32 v49, v49, v53
	v_cndmask_b32_e32 v49, 0, v49, vcc_lo
	v_cmp_nlt_f32_e32 vcc_lo, 0x42b17218, v41
	s_delay_alu instid0(VALU_DEP_2) | instskip(NEXT) | instid1(VALU_DEP_1)
	v_cndmask_b32_e32 v41, 0x7f800000, v49, vcc_lo
	v_add_f32_e32 v41, 1.0, v41
	s_delay_alu instid0(VALU_DEP_1) | instskip(SKIP_1) | instid1(TRANS32_DEP_1)
	v_rcp_f32_e32 v41, v41
	v_nop
	v_fma_f32 v41, v41, -2.0, 1.0
.LBB86_139:
	s_and_not1_saveexec_b32 s6, s6
	s_cbranch_execz .LBB86_141
; %bb.140:
	v_mul_f32_e32 v41, v1, v1
	s_mov_b32 s11, 0xbbbac73d
	s_delay_alu instid0(VALU_DEP_1) | instid1(SALU_CYCLE_1)
	v_fmaak_f32 v49, s11, v41, 0x3ca908c9
	s_delay_alu instid0(VALU_DEP_1) | instskip(NEXT) | instid1(VALU_DEP_1)
	v_fmaak_f32 v49, v41, v49, 0xbd5c1c4e
	v_fmaak_f32 v49, v41, v49, 0x3e088382
	s_delay_alu instid0(VALU_DEP_1) | instskip(NEXT) | instid1(VALU_DEP_1)
	v_fmaak_f32 v49, v41, v49, 0xbeaaaa99
	v_mul_f32_e64 v49, |v1|, v49
	s_delay_alu instid0(VALU_DEP_1)
	v_fma_f32 v41, v41, v49, |v1|
.LBB86_141:
	s_or_b32 exec_lo, exec_lo, s6
	v_mov_b32_e32 v67, 0
	s_delay_alu instid0(VALU_DEP_2)
	v_bfi_b32 v1, 0x7fffffff, v41, v1
	s_wait_dscnt 0x0
	v_max_num_f32_e32 v53, v40, v40
	v_max_num_f32_e32 v32, v32, v32
	v_mul_u64_e32 v[76:77], s[4:5], v[66:67]
	v_mul_f32_e32 v1, s31, v1
	s_delay_alu instid0(VALU_DEP_3) | instskip(NEXT) | instid1(VALU_DEP_3)
	v_max_num_f32_e32 v32, v32, v53
	v_add_nc_u32_e32 v49, v66, v77
	s_delay_alu instid0(VALU_DEP_1) | instskip(NEXT) | instid1(VALU_DEP_1)
	v_lshrrev_b32_e32 v49, s21, v49
	v_mul_lo_u32 v49, v49, s22
	s_delay_alu instid0(VALU_DEP_1) | instskip(NEXT) | instid1(VALU_DEP_1)
	v_sub_nc_u32_e32 v49, v66, v49
	v_mad_u32 v40, v49, s30, s14
	s_and_saveexec_b32 s6, s2
	s_cbranch_execz .LBB86_145
; %bb.142:
	v_cmp_ne_u32_e32 vcc_lo, 1, v68
	s_cbranch_vccnz .LBB86_144
; %bb.143:
	s_delay_alu instid0(VALU_DEP_2) | instskip(SKIP_3) | instid1(VALU_DEP_1)
	v_add_nc_u32_e32 v41, v40, v48
	global_load_u16 v41, v41, s[36:37] scale_offset
	s_wait_loadcnt 0x0
	v_cvt_f32_f16_e32 v41, v41
	v_mul_f32_e32 v67, v100, v41
.LBB86_144:
	s_delay_alu instid0(VALU_DEP_1) | instskip(SKIP_1) | instid1(VALU_DEP_2)
	v_add_f32_e32 v1, v1, v67
	v_max_num_f32_e32 v33, v33, v33
	v_add_f32_e32 v41, 0x40051340, v1
	s_delay_alu instid0(VALU_DEP_1)
	v_max_num_f32_e32 v33, v33, v41
.LBB86_145:
	s_or_b32 exec_lo, exec_lo, s6
	v_cmp_ngt_f32_e64 s6, 0x3f200000, |v9|
                                        ; implicit-def: $vgpr41
	s_and_saveexec_b32 s11, s6
	s_delay_alu instid0(SALU_CYCLE_1)
	s_xor_b32 s6, exec_lo, s11
	s_cbranch_execz .LBB86_147
; %bb.146:
	v_add_f32_e64 v41, |v9|, |v9|
	s_delay_alu instid0(VALU_DEP_1) | instskip(SKIP_1) | instid1(VALU_DEP_2)
	v_mul_f32_e32 v49, 0x3fb8aa3b, v41
	v_cmp_ngt_f32_e32 vcc_lo, 0xc2ce8ed0, v41
	v_rndne_f32_e32 v53, v49
	v_fma_f32 v55, 0x3fb8aa3b, v41, -v49
	s_delay_alu instid0(VALU_DEP_2) | instskip(NEXT) | instid1(VALU_DEP_2)
	v_sub_f32_e32 v49, v49, v53
	v_fmamk_f32 v55, v41, 0x32a5705f, v55
	v_cvt_i32_f32_e32 v53, v53
	s_delay_alu instid0(VALU_DEP_2) | instskip(NEXT) | instid1(VALU_DEP_1)
	v_add_f32_e32 v49, v49, v55
	v_exp_f32_e32 v49, v49
	v_nop
	s_delay_alu instid0(TRANS32_DEP_1) | instskip(NEXT) | instid1(VALU_DEP_1)
	v_ldexp_f32 v49, v49, v53
	v_cndmask_b32_e32 v49, 0, v49, vcc_lo
	v_cmp_nlt_f32_e32 vcc_lo, 0x42b17218, v41
	s_delay_alu instid0(VALU_DEP_2) | instskip(NEXT) | instid1(VALU_DEP_1)
	v_cndmask_b32_e32 v41, 0x7f800000, v49, vcc_lo
	v_add_f32_e32 v41, 1.0, v41
	s_delay_alu instid0(VALU_DEP_1) | instskip(SKIP_1) | instid1(TRANS32_DEP_1)
	v_rcp_f32_e32 v41, v41
	v_nop
	v_fma_f32 v41, v41, -2.0, 1.0
.LBB86_147:
	s_and_not1_saveexec_b32 s6, s6
	s_cbranch_execz .LBB86_149
; %bb.148:
	v_mul_f32_e32 v41, v9, v9
	s_mov_b32 s11, 0xbbbac73d
	s_delay_alu instid0(VALU_DEP_1) | instid1(SALU_CYCLE_1)
	v_fmaak_f32 v49, s11, v41, 0x3ca908c9
	s_delay_alu instid0(VALU_DEP_1) | instskip(NEXT) | instid1(VALU_DEP_1)
	v_fmaak_f32 v49, v41, v49, 0xbd5c1c4e
	v_fmaak_f32 v49, v41, v49, 0x3e088382
	s_delay_alu instid0(VALU_DEP_1) | instskip(NEXT) | instid1(VALU_DEP_1)
	v_fmaak_f32 v49, v41, v49, 0xbeaaaa99
	v_mul_f32_e64 v49, |v9|, v49
	s_delay_alu instid0(VALU_DEP_1)
	v_fma_f32 v41, v41, v49, |v9|
.LBB86_149:
	s_or_b32 exec_lo, exec_lo, s6
	s_delay_alu instid0(VALU_DEP_1) | instskip(NEXT) | instid1(VALU_DEP_1)
	v_bfi_b32 v9, 0x7fffffff, v41, v9
	v_mul_f32_e32 v9, s31, v9
	s_and_saveexec_b32 s6, s3
	s_cbranch_execz .LBB86_154
; %bb.150:
	v_cmp_ne_u32_e32 vcc_lo, 1, v68
	s_cbranch_vccnz .LBB86_152
; %bb.151:
	v_dual_ashrrev_i32 v41, 31, v40 :: v_dual_mov_b32 v49, 0
	s_delay_alu instid0(VALU_DEP_1) | instskip(NEXT) | instid1(VALU_DEP_1)
	v_add_nc_u64_e32 v[40:41], v[40:41], v[48:49]
	v_lshl_add_u64 v[40:41], v[40:41], 1, s[36:37]
	global_load_u16 v40, v[40:41], off offset:64
	s_wait_loadcnt 0x0
	v_cvt_f32_f16_e32 v40, v40
	s_delay_alu instid0(VALU_DEP_1)
	v_mul_f32_e32 v40, v100, v40
	s_branch .LBB86_153
.LBB86_152:
	v_mov_b32_e32 v40, 0
.LBB86_153:
	s_delay_alu instid0(VALU_DEP_1) | instskip(SKIP_1) | instid1(VALU_DEP_2)
	v_add_f32_e32 v9, v9, v40
	v_max_num_f32_e32 v33, v33, v33
	v_add_f32_e32 v40, 0x40051340, v9
	s_delay_alu instid0(VALU_DEP_1)
	v_max_num_f32_e32 v33, v33, v40
.LBB86_154:
	s_or_b32 exec_lo, exec_lo, s6
	ds_bpermute_b32 v40, v70, v33
	v_cmp_ngt_f32_e64 s6, 0x3f200000, |v2|
                                        ; implicit-def: $vgpr41
	s_wait_dscnt 0x0
	v_dual_max_num_f32 v33, v33, v33 :: v_dual_max_num_f32 v40, v40, v40
	s_delay_alu instid0(VALU_DEP_1) | instskip(SKIP_3) | instid1(VALU_DEP_1)
	v_max_num_f32_e32 v33, v33, v40
	ds_bpermute_b32 v40, v71, v33
	s_wait_dscnt 0x0
	v_max_num_f32_e32 v40, v40, v40
	v_max_num_f32_e32 v33, v33, v40
	ds_bpermute_b32 v40, v72, v33
	s_wait_dscnt 0x0
	v_max_num_f32_e32 v40, v40, v40
	s_delay_alu instid0(VALU_DEP_1) | instskip(SKIP_3) | instid1(VALU_DEP_1)
	v_max_num_f32_e32 v33, v33, v40
	ds_bpermute_b32 v40, v73, v33
	s_wait_dscnt 0x0
	v_max_num_f32_e32 v40, v40, v40
	v_max_num_f32_e32 v33, v33, v40
	ds_bpermute_b32 v40, v74, v33
	s_and_saveexec_b32 s11, s6
	s_delay_alu instid0(SALU_CYCLE_1)
	s_xor_b32 s6, exec_lo, s11
	s_cbranch_execz .LBB86_156
; %bb.155:
	v_add_f32_e64 v41, |v2|, |v2|
	s_delay_alu instid0(VALU_DEP_1) | instskip(SKIP_1) | instid1(VALU_DEP_2)
	v_mul_f32_e32 v49, 0x3fb8aa3b, v41
	v_cmp_ngt_f32_e32 vcc_lo, 0xc2ce8ed0, v41
	v_rndne_f32_e32 v53, v49
	v_fma_f32 v55, 0x3fb8aa3b, v41, -v49
	s_delay_alu instid0(VALU_DEP_2) | instskip(NEXT) | instid1(VALU_DEP_2)
	v_sub_f32_e32 v49, v49, v53
	v_fmamk_f32 v55, v41, 0x32a5705f, v55
	v_cvt_i32_f32_e32 v53, v53
	s_delay_alu instid0(VALU_DEP_2) | instskip(NEXT) | instid1(VALU_DEP_1)
	v_add_f32_e32 v49, v49, v55
	v_exp_f32_e32 v49, v49
	v_nop
	s_delay_alu instid0(TRANS32_DEP_1) | instskip(NEXT) | instid1(VALU_DEP_1)
	v_ldexp_f32 v49, v49, v53
	v_cndmask_b32_e32 v49, 0, v49, vcc_lo
	v_cmp_nlt_f32_e32 vcc_lo, 0x42b17218, v41
	s_delay_alu instid0(VALU_DEP_2) | instskip(NEXT) | instid1(VALU_DEP_1)
	v_cndmask_b32_e32 v41, 0x7f800000, v49, vcc_lo
	v_add_f32_e32 v41, 1.0, v41
	s_delay_alu instid0(VALU_DEP_1) | instskip(SKIP_1) | instid1(TRANS32_DEP_1)
	v_rcp_f32_e32 v41, v41
	v_nop
	v_fma_f32 v41, v41, -2.0, 1.0
.LBB86_156:
	s_and_not1_saveexec_b32 s6, s6
	s_cbranch_execz .LBB86_158
; %bb.157:
	v_mul_f32_e32 v41, v2, v2
	s_mov_b32 s11, 0xbbbac73d
	s_delay_alu instid0(VALU_DEP_1) | instid1(SALU_CYCLE_1)
	v_fmaak_f32 v49, s11, v41, 0x3ca908c9
	s_delay_alu instid0(VALU_DEP_1) | instskip(NEXT) | instid1(VALU_DEP_1)
	v_fmaak_f32 v49, v41, v49, 0xbd5c1c4e
	v_fmaak_f32 v49, v41, v49, 0x3e088382
	s_delay_alu instid0(VALU_DEP_1) | instskip(NEXT) | instid1(VALU_DEP_1)
	v_fmaak_f32 v49, v41, v49, 0xbeaaaa99
	v_mul_f32_e64 v49, |v2|, v49
	s_delay_alu instid0(VALU_DEP_1)
	v_fma_f32 v41, v41, v49, |v2|
.LBB86_158:
	s_or_b32 exec_lo, exec_lo, s6
	v_mov_b32_e32 v63, 0
	s_delay_alu instid0(VALU_DEP_2) | instskip(SKIP_2) | instid1(VALU_DEP_3)
	v_bfi_b32 v2, 0x7fffffff, v41, v2
	s_wait_dscnt 0x0
	v_dual_max_num_f32 v33, v33, v33 :: v_dual_max_num_f32 v53, v40, v40
	v_mul_u64_e32 v[66:67], s[4:5], v[62:63]
	s_delay_alu instid0(VALU_DEP_2) | instskip(NEXT) | instid1(VALU_DEP_2)
	v_dual_mul_f32 v2, s31, v2 :: v_dual_max_num_f32 v33, v33, v53
	v_add_nc_u32_e32 v49, v62, v67
	s_delay_alu instid0(VALU_DEP_1) | instskip(NEXT) | instid1(VALU_DEP_1)
	v_lshrrev_b32_e32 v49, s21, v49
	v_mul_lo_u32 v49, v49, s22
	s_delay_alu instid0(VALU_DEP_1) | instskip(NEXT) | instid1(VALU_DEP_1)
	v_sub_nc_u32_e32 v49, v62, v49
	v_mad_u32 v40, v49, s30, s14
	s_and_saveexec_b32 s6, s2
	s_cbranch_execz .LBB86_162
; %bb.159:
	v_cmp_ne_u32_e32 vcc_lo, 1, v68
	s_cbranch_vccnz .LBB86_161
; %bb.160:
	s_delay_alu instid0(VALU_DEP_2) | instskip(SKIP_3) | instid1(VALU_DEP_1)
	v_add_nc_u32_e32 v41, v40, v48
	global_load_u16 v41, v41, s[36:37] scale_offset
	s_wait_loadcnt 0x0
	v_cvt_f32_f16_e32 v41, v41
	v_mul_f32_e32 v63, v100, v41
.LBB86_161:
	s_delay_alu instid0(VALU_DEP_1) | instskip(SKIP_1) | instid1(VALU_DEP_2)
	v_add_f32_e32 v2, v2, v63
	v_max_num_f32_e32 v34, v34, v34
	v_add_f32_e32 v41, 0x40051340, v2
	s_delay_alu instid0(VALU_DEP_1)
	v_max_num_f32_e32 v34, v34, v41
.LBB86_162:
	s_or_b32 exec_lo, exec_lo, s6
	v_cmp_ngt_f32_e64 s6, 0x3f200000, |v10|
                                        ; implicit-def: $vgpr41
	s_and_saveexec_b32 s11, s6
	s_delay_alu instid0(SALU_CYCLE_1)
	s_xor_b32 s6, exec_lo, s11
	s_cbranch_execz .LBB86_164
; %bb.163:
	v_add_f32_e64 v41, |v10|, |v10|
	s_delay_alu instid0(VALU_DEP_1) | instskip(SKIP_1) | instid1(VALU_DEP_2)
	v_mul_f32_e32 v49, 0x3fb8aa3b, v41
	v_cmp_ngt_f32_e32 vcc_lo, 0xc2ce8ed0, v41
	v_rndne_f32_e32 v53, v49
	v_fma_f32 v55, 0x3fb8aa3b, v41, -v49
	s_delay_alu instid0(VALU_DEP_2) | instskip(NEXT) | instid1(VALU_DEP_2)
	v_sub_f32_e32 v49, v49, v53
	v_fmamk_f32 v55, v41, 0x32a5705f, v55
	v_cvt_i32_f32_e32 v53, v53
	s_delay_alu instid0(VALU_DEP_2) | instskip(NEXT) | instid1(VALU_DEP_1)
	v_add_f32_e32 v49, v49, v55
	v_exp_f32_e32 v49, v49
	v_nop
	s_delay_alu instid0(TRANS32_DEP_1) | instskip(NEXT) | instid1(VALU_DEP_1)
	v_ldexp_f32 v49, v49, v53
	v_cndmask_b32_e32 v49, 0, v49, vcc_lo
	v_cmp_nlt_f32_e32 vcc_lo, 0x42b17218, v41
	s_delay_alu instid0(VALU_DEP_2) | instskip(NEXT) | instid1(VALU_DEP_1)
	v_cndmask_b32_e32 v41, 0x7f800000, v49, vcc_lo
	v_add_f32_e32 v41, 1.0, v41
	s_delay_alu instid0(VALU_DEP_1) | instskip(SKIP_1) | instid1(TRANS32_DEP_1)
	v_rcp_f32_e32 v41, v41
	v_nop
	v_fma_f32 v41, v41, -2.0, 1.0
.LBB86_164:
	s_and_not1_saveexec_b32 s6, s6
	s_cbranch_execz .LBB86_166
; %bb.165:
	v_mul_f32_e32 v41, v10, v10
	s_mov_b32 s11, 0xbbbac73d
	s_delay_alu instid0(VALU_DEP_1) | instid1(SALU_CYCLE_1)
	v_fmaak_f32 v49, s11, v41, 0x3ca908c9
	s_delay_alu instid0(VALU_DEP_1) | instskip(NEXT) | instid1(VALU_DEP_1)
	v_fmaak_f32 v49, v41, v49, 0xbd5c1c4e
	v_fmaak_f32 v49, v41, v49, 0x3e088382
	s_delay_alu instid0(VALU_DEP_1) | instskip(NEXT) | instid1(VALU_DEP_1)
	v_fmaak_f32 v49, v41, v49, 0xbeaaaa99
	v_mul_f32_e64 v49, |v10|, v49
	s_delay_alu instid0(VALU_DEP_1)
	v_fma_f32 v41, v41, v49, |v10|
.LBB86_166:
	s_or_b32 exec_lo, exec_lo, s6
	s_delay_alu instid0(VALU_DEP_1) | instskip(NEXT) | instid1(VALU_DEP_1)
	v_bfi_b32 v10, 0x7fffffff, v41, v10
	v_mul_f32_e32 v10, s31, v10
	s_and_saveexec_b32 s6, s3
	s_cbranch_execz .LBB86_171
; %bb.167:
	v_cmp_ne_u32_e32 vcc_lo, 1, v68
	s_cbranch_vccnz .LBB86_169
; %bb.168:
	v_dual_ashrrev_i32 v41, 31, v40 :: v_dual_mov_b32 v49, 0
	s_delay_alu instid0(VALU_DEP_1) | instskip(NEXT) | instid1(VALU_DEP_1)
	v_add_nc_u64_e32 v[40:41], v[40:41], v[48:49]
	v_lshl_add_u64 v[40:41], v[40:41], 1, s[36:37]
	global_load_u16 v40, v[40:41], off offset:64
	s_wait_loadcnt 0x0
	v_cvt_f32_f16_e32 v40, v40
	s_delay_alu instid0(VALU_DEP_1)
	v_mul_f32_e32 v40, v100, v40
	s_branch .LBB86_170
.LBB86_169:
	v_mov_b32_e32 v40, 0
.LBB86_170:
	s_delay_alu instid0(VALU_DEP_1) | instskip(SKIP_1) | instid1(VALU_DEP_2)
	v_add_f32_e32 v10, v10, v40
	v_max_num_f32_e32 v34, v34, v34
	v_add_f32_e32 v40, 0x40051340, v10
	s_delay_alu instid0(VALU_DEP_1)
	v_max_num_f32_e32 v34, v34, v40
.LBB86_171:
	s_or_b32 exec_lo, exec_lo, s6
	ds_bpermute_b32 v40, v70, v34
	v_cmp_ngt_f32_e64 s6, 0x3f200000, |v3|
                                        ; implicit-def: $vgpr41
	s_wait_dscnt 0x0
	v_dual_max_num_f32 v34, v34, v34 :: v_dual_max_num_f32 v40, v40, v40
	s_delay_alu instid0(VALU_DEP_1) | instskip(SKIP_3) | instid1(VALU_DEP_1)
	v_max_num_f32_e32 v34, v34, v40
	ds_bpermute_b32 v40, v71, v34
	s_wait_dscnt 0x0
	v_max_num_f32_e32 v40, v40, v40
	v_max_num_f32_e32 v34, v34, v40
	ds_bpermute_b32 v40, v72, v34
	s_wait_dscnt 0x0
	v_max_num_f32_e32 v40, v40, v40
	s_delay_alu instid0(VALU_DEP_1) | instskip(SKIP_3) | instid1(VALU_DEP_1)
	v_max_num_f32_e32 v34, v34, v40
	ds_bpermute_b32 v40, v73, v34
	s_wait_dscnt 0x0
	v_max_num_f32_e32 v40, v40, v40
	v_max_num_f32_e32 v34, v34, v40
	ds_bpermute_b32 v40, v74, v34
	s_and_saveexec_b32 s11, s6
	s_delay_alu instid0(SALU_CYCLE_1)
	s_xor_b32 s6, exec_lo, s11
	s_cbranch_execz .LBB86_173
; %bb.172:
	v_add_f32_e64 v41, |v3|, |v3|
	s_delay_alu instid0(VALU_DEP_1) | instskip(SKIP_1) | instid1(VALU_DEP_2)
	v_mul_f32_e32 v49, 0x3fb8aa3b, v41
	v_cmp_ngt_f32_e32 vcc_lo, 0xc2ce8ed0, v41
	v_rndne_f32_e32 v53, v49
	v_fma_f32 v55, 0x3fb8aa3b, v41, -v49
	s_delay_alu instid0(VALU_DEP_2) | instskip(NEXT) | instid1(VALU_DEP_2)
	v_sub_f32_e32 v49, v49, v53
	v_fmamk_f32 v55, v41, 0x32a5705f, v55
	v_cvt_i32_f32_e32 v53, v53
	s_delay_alu instid0(VALU_DEP_2) | instskip(NEXT) | instid1(VALU_DEP_1)
	v_add_f32_e32 v49, v49, v55
	v_exp_f32_e32 v49, v49
	v_nop
	s_delay_alu instid0(TRANS32_DEP_1) | instskip(NEXT) | instid1(VALU_DEP_1)
	v_ldexp_f32 v49, v49, v53
	v_cndmask_b32_e32 v49, 0, v49, vcc_lo
	v_cmp_nlt_f32_e32 vcc_lo, 0x42b17218, v41
	s_delay_alu instid0(VALU_DEP_2) | instskip(NEXT) | instid1(VALU_DEP_1)
	v_cndmask_b32_e32 v41, 0x7f800000, v49, vcc_lo
	v_add_f32_e32 v41, 1.0, v41
	s_delay_alu instid0(VALU_DEP_1) | instskip(SKIP_1) | instid1(TRANS32_DEP_1)
	v_rcp_f32_e32 v41, v41
	v_nop
	v_fma_f32 v41, v41, -2.0, 1.0
.LBB86_173:
	s_and_not1_saveexec_b32 s6, s6
	s_cbranch_execz .LBB86_175
; %bb.174:
	v_mul_f32_e32 v41, v3, v3
	s_mov_b32 s11, 0xbbbac73d
	s_delay_alu instid0(VALU_DEP_1) | instid1(SALU_CYCLE_1)
	v_fmaak_f32 v49, s11, v41, 0x3ca908c9
	s_delay_alu instid0(VALU_DEP_1) | instskip(NEXT) | instid1(VALU_DEP_1)
	v_fmaak_f32 v49, v41, v49, 0xbd5c1c4e
	v_fmaak_f32 v49, v41, v49, 0x3e088382
	s_delay_alu instid0(VALU_DEP_1) | instskip(NEXT) | instid1(VALU_DEP_1)
	v_fmaak_f32 v49, v41, v49, 0xbeaaaa99
	v_mul_f32_e64 v49, |v3|, v49
	s_delay_alu instid0(VALU_DEP_1)
	v_fma_f32 v41, v41, v49, |v3|
.LBB86_175:
	s_or_b32 exec_lo, exec_lo, s6
	v_mov_b32_e32 v61, 0
	s_delay_alu instid0(VALU_DEP_2) | instskip(SKIP_2) | instid1(VALU_DEP_3)
	v_bfi_b32 v3, 0x7fffffff, v41, v3
	s_wait_dscnt 0x0
	v_dual_max_num_f32 v53, v40, v40 :: v_dual_max_num_f32 v34, v34, v34
	v_mul_u64_e32 v[62:63], s[4:5], v[60:61]
	s_delay_alu instid0(VALU_DEP_2) | instskip(NEXT) | instid1(VALU_DEP_2)
	v_dual_mul_f32 v3, s31, v3 :: v_dual_max_num_f32 v34, v34, v53
	v_add_nc_u32_e32 v49, v60, v63
	s_delay_alu instid0(VALU_DEP_1) | instskip(NEXT) | instid1(VALU_DEP_1)
	v_lshrrev_b32_e32 v49, s21, v49
	v_mul_lo_u32 v49, v49, s22
	s_delay_alu instid0(VALU_DEP_1) | instskip(NEXT) | instid1(VALU_DEP_1)
	v_sub_nc_u32_e32 v49, v60, v49
	v_mad_u32 v40, v49, s30, s14
	s_and_saveexec_b32 s6, s2
	s_cbranch_execz .LBB86_179
; %bb.176:
	v_cmp_ne_u32_e32 vcc_lo, 1, v68
	s_cbranch_vccnz .LBB86_178
; %bb.177:
	s_delay_alu instid0(VALU_DEP_2) | instskip(SKIP_3) | instid1(VALU_DEP_1)
	v_add_nc_u32_e32 v41, v40, v48
	global_load_u16 v41, v41, s[36:37] scale_offset
	s_wait_loadcnt 0x0
	v_cvt_f32_f16_e32 v41, v41
	v_mul_f32_e32 v61, v100, v41
.LBB86_178:
	s_delay_alu instid0(VALU_DEP_1) | instskip(SKIP_1) | instid1(VALU_DEP_2)
	v_add_f32_e32 v3, v3, v61
	v_max_num_f32_e32 v35, v35, v35
	v_add_f32_e32 v41, 0x40051340, v3
	s_delay_alu instid0(VALU_DEP_1)
	v_max_num_f32_e32 v35, v35, v41
.LBB86_179:
	s_or_b32 exec_lo, exec_lo, s6
	v_cmp_ngt_f32_e64 s6, 0x3f200000, |v11|
                                        ; implicit-def: $vgpr41
	s_and_saveexec_b32 s11, s6
	s_delay_alu instid0(SALU_CYCLE_1)
	s_xor_b32 s6, exec_lo, s11
	s_cbranch_execz .LBB86_181
; %bb.180:
	v_add_f32_e64 v41, |v11|, |v11|
	s_delay_alu instid0(VALU_DEP_1) | instskip(SKIP_1) | instid1(VALU_DEP_2)
	v_mul_f32_e32 v49, 0x3fb8aa3b, v41
	v_cmp_ngt_f32_e32 vcc_lo, 0xc2ce8ed0, v41
	v_rndne_f32_e32 v53, v49
	v_fma_f32 v55, 0x3fb8aa3b, v41, -v49
	s_delay_alu instid0(VALU_DEP_2) | instskip(NEXT) | instid1(VALU_DEP_2)
	v_sub_f32_e32 v49, v49, v53
	v_fmamk_f32 v55, v41, 0x32a5705f, v55
	v_cvt_i32_f32_e32 v53, v53
	s_delay_alu instid0(VALU_DEP_2) | instskip(NEXT) | instid1(VALU_DEP_1)
	v_add_f32_e32 v49, v49, v55
	v_exp_f32_e32 v49, v49
	v_nop
	s_delay_alu instid0(TRANS32_DEP_1) | instskip(NEXT) | instid1(VALU_DEP_1)
	v_ldexp_f32 v49, v49, v53
	v_cndmask_b32_e32 v49, 0, v49, vcc_lo
	v_cmp_nlt_f32_e32 vcc_lo, 0x42b17218, v41
	s_delay_alu instid0(VALU_DEP_2) | instskip(NEXT) | instid1(VALU_DEP_1)
	v_cndmask_b32_e32 v41, 0x7f800000, v49, vcc_lo
	v_add_f32_e32 v41, 1.0, v41
	s_delay_alu instid0(VALU_DEP_1) | instskip(SKIP_1) | instid1(TRANS32_DEP_1)
	v_rcp_f32_e32 v41, v41
	v_nop
	v_fma_f32 v41, v41, -2.0, 1.0
.LBB86_181:
	s_and_not1_saveexec_b32 s6, s6
	s_cbranch_execz .LBB86_183
; %bb.182:
	v_mul_f32_e32 v41, v11, v11
	s_mov_b32 s11, 0xbbbac73d
	s_delay_alu instid0(VALU_DEP_1) | instid1(SALU_CYCLE_1)
	v_fmaak_f32 v49, s11, v41, 0x3ca908c9
	s_delay_alu instid0(VALU_DEP_1) | instskip(NEXT) | instid1(VALU_DEP_1)
	v_fmaak_f32 v49, v41, v49, 0xbd5c1c4e
	v_fmaak_f32 v49, v41, v49, 0x3e088382
	s_delay_alu instid0(VALU_DEP_1) | instskip(NEXT) | instid1(VALU_DEP_1)
	v_fmaak_f32 v49, v41, v49, 0xbeaaaa99
	v_mul_f32_e64 v49, |v11|, v49
	s_delay_alu instid0(VALU_DEP_1)
	v_fma_f32 v41, v41, v49, |v11|
.LBB86_183:
	s_or_b32 exec_lo, exec_lo, s6
	s_delay_alu instid0(VALU_DEP_1) | instskip(NEXT) | instid1(VALU_DEP_1)
	v_bfi_b32 v11, 0x7fffffff, v41, v11
	v_mul_f32_e32 v11, s31, v11
	s_and_saveexec_b32 s6, s3
	s_cbranch_execz .LBB86_188
; %bb.184:
	v_cmp_ne_u32_e32 vcc_lo, 1, v68
	s_cbranch_vccnz .LBB86_186
; %bb.185:
	v_dual_ashrrev_i32 v41, 31, v40 :: v_dual_mov_b32 v49, 0
	s_delay_alu instid0(VALU_DEP_1) | instskip(NEXT) | instid1(VALU_DEP_1)
	v_add_nc_u64_e32 v[40:41], v[40:41], v[48:49]
	v_lshl_add_u64 v[40:41], v[40:41], 1, s[36:37]
	global_load_u16 v40, v[40:41], off offset:64
	s_wait_loadcnt 0x0
	v_cvt_f32_f16_e32 v40, v40
	s_delay_alu instid0(VALU_DEP_1)
	v_mul_f32_e32 v40, v100, v40
	s_branch .LBB86_187
.LBB86_186:
	v_mov_b32_e32 v40, 0
.LBB86_187:
	s_delay_alu instid0(VALU_DEP_1) | instskip(SKIP_1) | instid1(VALU_DEP_2)
	v_add_f32_e32 v11, v11, v40
	v_max_num_f32_e32 v35, v35, v35
	v_add_f32_e32 v40, 0x40051340, v11
	s_delay_alu instid0(VALU_DEP_1)
	v_max_num_f32_e32 v35, v35, v40
.LBB86_188:
	s_or_b32 exec_lo, exec_lo, s6
	ds_bpermute_b32 v40, v70, v35
	v_cmp_ngt_f32_e64 s6, 0x3f200000, |v4|
                                        ; implicit-def: $vgpr41
	s_wait_dscnt 0x0
	v_dual_max_num_f32 v35, v35, v35 :: v_dual_max_num_f32 v40, v40, v40
	s_delay_alu instid0(VALU_DEP_1) | instskip(SKIP_3) | instid1(VALU_DEP_1)
	v_max_num_f32_e32 v35, v35, v40
	ds_bpermute_b32 v40, v71, v35
	s_wait_dscnt 0x0
	v_max_num_f32_e32 v40, v40, v40
	v_max_num_f32_e32 v35, v35, v40
	ds_bpermute_b32 v40, v72, v35
	s_wait_dscnt 0x0
	v_max_num_f32_e32 v40, v40, v40
	s_delay_alu instid0(VALU_DEP_1) | instskip(SKIP_3) | instid1(VALU_DEP_1)
	v_max_num_f32_e32 v35, v35, v40
	ds_bpermute_b32 v40, v73, v35
	s_wait_dscnt 0x0
	v_max_num_f32_e32 v40, v40, v40
	v_max_num_f32_e32 v35, v35, v40
	ds_bpermute_b32 v40, v74, v35
	s_and_saveexec_b32 s11, s6
	s_delay_alu instid0(SALU_CYCLE_1)
	s_xor_b32 s6, exec_lo, s11
	s_cbranch_execz .LBB86_190
; %bb.189:
	v_add_f32_e64 v41, |v4|, |v4|
	s_delay_alu instid0(VALU_DEP_1) | instskip(SKIP_1) | instid1(VALU_DEP_2)
	v_mul_f32_e32 v49, 0x3fb8aa3b, v41
	v_cmp_ngt_f32_e32 vcc_lo, 0xc2ce8ed0, v41
	v_rndne_f32_e32 v53, v49
	v_fma_f32 v55, 0x3fb8aa3b, v41, -v49
	s_delay_alu instid0(VALU_DEP_2) | instskip(NEXT) | instid1(VALU_DEP_2)
	v_sub_f32_e32 v49, v49, v53
	v_fmamk_f32 v55, v41, 0x32a5705f, v55
	v_cvt_i32_f32_e32 v53, v53
	s_delay_alu instid0(VALU_DEP_2) | instskip(NEXT) | instid1(VALU_DEP_1)
	v_add_f32_e32 v49, v49, v55
	v_exp_f32_e32 v49, v49
	v_nop
	s_delay_alu instid0(TRANS32_DEP_1) | instskip(NEXT) | instid1(VALU_DEP_1)
	v_ldexp_f32 v49, v49, v53
	v_cndmask_b32_e32 v49, 0, v49, vcc_lo
	v_cmp_nlt_f32_e32 vcc_lo, 0x42b17218, v41
	s_delay_alu instid0(VALU_DEP_2) | instskip(NEXT) | instid1(VALU_DEP_1)
	v_cndmask_b32_e32 v41, 0x7f800000, v49, vcc_lo
	v_add_f32_e32 v41, 1.0, v41
	s_delay_alu instid0(VALU_DEP_1) | instskip(SKIP_1) | instid1(TRANS32_DEP_1)
	v_rcp_f32_e32 v41, v41
	v_nop
	v_fma_f32 v41, v41, -2.0, 1.0
.LBB86_190:
	s_and_not1_saveexec_b32 s6, s6
	s_cbranch_execz .LBB86_192
; %bb.191:
	v_mul_f32_e32 v41, v4, v4
	s_mov_b32 s11, 0xbbbac73d
	s_delay_alu instid0(VALU_DEP_1) | instid1(SALU_CYCLE_1)
	v_fmaak_f32 v49, s11, v41, 0x3ca908c9
	s_delay_alu instid0(VALU_DEP_1) | instskip(NEXT) | instid1(VALU_DEP_1)
	v_fmaak_f32 v49, v41, v49, 0xbd5c1c4e
	v_fmaak_f32 v49, v41, v49, 0x3e088382
	s_delay_alu instid0(VALU_DEP_1) | instskip(NEXT) | instid1(VALU_DEP_1)
	v_fmaak_f32 v49, v41, v49, 0xbeaaaa99
	v_mul_f32_e64 v49, |v4|, v49
	s_delay_alu instid0(VALU_DEP_1)
	v_fma_f32 v41, v41, v49, |v4|
.LBB86_192:
	s_or_b32 exec_lo, exec_lo, s6
	v_mov_b32_e32 v59, 0
	s_delay_alu instid0(VALU_DEP_2) | instskip(SKIP_2) | instid1(VALU_DEP_3)
	v_bfi_b32 v4, 0x7fffffff, v41, v4
	s_wait_dscnt 0x0
	v_dual_max_num_f32 v53, v40, v40 :: v_dual_max_num_f32 v35, v35, v35
	v_mul_u64_e32 v[60:61], s[4:5], v[58:59]
	s_delay_alu instid0(VALU_DEP_2) | instskip(NEXT) | instid1(VALU_DEP_2)
	v_dual_mul_f32 v4, s31, v4 :: v_dual_max_num_f32 v35, v35, v53
	v_add_nc_u32_e32 v49, v58, v61
	s_delay_alu instid0(VALU_DEP_1) | instskip(NEXT) | instid1(VALU_DEP_1)
	v_lshrrev_b32_e32 v49, s21, v49
	v_mul_lo_u32 v49, v49, s22
	s_delay_alu instid0(VALU_DEP_1) | instskip(NEXT) | instid1(VALU_DEP_1)
	v_sub_nc_u32_e32 v49, v58, v49
	v_mad_u32 v40, v49, s30, s14
	s_and_saveexec_b32 s6, s2
	s_cbranch_execz .LBB86_196
; %bb.193:
	v_cmp_ne_u32_e32 vcc_lo, 1, v68
	s_cbranch_vccnz .LBB86_195
; %bb.194:
	s_delay_alu instid0(VALU_DEP_2) | instskip(SKIP_3) | instid1(VALU_DEP_1)
	v_add_nc_u32_e32 v41, v40, v48
	global_load_u16 v41, v41, s[36:37] scale_offset
	s_wait_loadcnt 0x0
	v_cvt_f32_f16_e32 v41, v41
	v_mul_f32_e32 v59, v100, v41
.LBB86_195:
	s_delay_alu instid0(VALU_DEP_1) | instskip(SKIP_1) | instid1(VALU_DEP_2)
	v_add_f32_e32 v4, v4, v59
	v_max_num_f32_e32 v36, v36, v36
	v_add_f32_e32 v41, 0x40051340, v4
	s_delay_alu instid0(VALU_DEP_1)
	v_max_num_f32_e32 v36, v36, v41
.LBB86_196:
	s_or_b32 exec_lo, exec_lo, s6
	v_cmp_ngt_f32_e64 s6, 0x3f200000, |v12|
                                        ; implicit-def: $vgpr41
	s_and_saveexec_b32 s11, s6
	s_delay_alu instid0(SALU_CYCLE_1)
	s_xor_b32 s6, exec_lo, s11
	s_cbranch_execz .LBB86_198
; %bb.197:
	v_add_f32_e64 v41, |v12|, |v12|
	s_delay_alu instid0(VALU_DEP_1) | instskip(SKIP_1) | instid1(VALU_DEP_2)
	v_mul_f32_e32 v49, 0x3fb8aa3b, v41
	v_cmp_ngt_f32_e32 vcc_lo, 0xc2ce8ed0, v41
	v_rndne_f32_e32 v53, v49
	v_fma_f32 v55, 0x3fb8aa3b, v41, -v49
	s_delay_alu instid0(VALU_DEP_2) | instskip(NEXT) | instid1(VALU_DEP_2)
	v_sub_f32_e32 v49, v49, v53
	v_fmamk_f32 v55, v41, 0x32a5705f, v55
	v_cvt_i32_f32_e32 v53, v53
	s_delay_alu instid0(VALU_DEP_2) | instskip(NEXT) | instid1(VALU_DEP_1)
	v_add_f32_e32 v49, v49, v55
	v_exp_f32_e32 v49, v49
	v_nop
	s_delay_alu instid0(TRANS32_DEP_1) | instskip(NEXT) | instid1(VALU_DEP_1)
	v_ldexp_f32 v49, v49, v53
	v_cndmask_b32_e32 v49, 0, v49, vcc_lo
	v_cmp_nlt_f32_e32 vcc_lo, 0x42b17218, v41
	s_delay_alu instid0(VALU_DEP_2) | instskip(NEXT) | instid1(VALU_DEP_1)
	v_cndmask_b32_e32 v41, 0x7f800000, v49, vcc_lo
	v_add_f32_e32 v41, 1.0, v41
	s_delay_alu instid0(VALU_DEP_1) | instskip(SKIP_1) | instid1(TRANS32_DEP_1)
	v_rcp_f32_e32 v41, v41
	v_nop
	v_fma_f32 v41, v41, -2.0, 1.0
.LBB86_198:
	s_and_not1_saveexec_b32 s6, s6
	s_cbranch_execz .LBB86_200
; %bb.199:
	v_mul_f32_e32 v41, v12, v12
	s_mov_b32 s11, 0xbbbac73d
	s_delay_alu instid0(VALU_DEP_1) | instid1(SALU_CYCLE_1)
	v_fmaak_f32 v49, s11, v41, 0x3ca908c9
	s_delay_alu instid0(VALU_DEP_1) | instskip(NEXT) | instid1(VALU_DEP_1)
	v_fmaak_f32 v49, v41, v49, 0xbd5c1c4e
	v_fmaak_f32 v49, v41, v49, 0x3e088382
	s_delay_alu instid0(VALU_DEP_1) | instskip(NEXT) | instid1(VALU_DEP_1)
	v_fmaak_f32 v49, v41, v49, 0xbeaaaa99
	v_mul_f32_e64 v49, |v12|, v49
	s_delay_alu instid0(VALU_DEP_1)
	v_fma_f32 v41, v41, v49, |v12|
.LBB86_200:
	s_or_b32 exec_lo, exec_lo, s6
	s_delay_alu instid0(VALU_DEP_1) | instskip(NEXT) | instid1(VALU_DEP_1)
	v_bfi_b32 v12, 0x7fffffff, v41, v12
	v_mul_f32_e32 v12, s31, v12
	s_and_saveexec_b32 s6, s3
	s_cbranch_execz .LBB86_205
; %bb.201:
	v_cmp_ne_u32_e32 vcc_lo, 1, v68
	s_cbranch_vccnz .LBB86_203
; %bb.202:
	v_dual_ashrrev_i32 v41, 31, v40 :: v_dual_mov_b32 v49, 0
	s_delay_alu instid0(VALU_DEP_1) | instskip(NEXT) | instid1(VALU_DEP_1)
	v_add_nc_u64_e32 v[40:41], v[40:41], v[48:49]
	v_lshl_add_u64 v[40:41], v[40:41], 1, s[36:37]
	global_load_u16 v40, v[40:41], off offset:64
	s_wait_loadcnt 0x0
	v_cvt_f32_f16_e32 v40, v40
	s_delay_alu instid0(VALU_DEP_1)
	v_mul_f32_e32 v40, v100, v40
	s_branch .LBB86_204
.LBB86_203:
	v_mov_b32_e32 v40, 0
.LBB86_204:
	s_delay_alu instid0(VALU_DEP_1) | instskip(SKIP_1) | instid1(VALU_DEP_2)
	v_add_f32_e32 v12, v12, v40
	v_max_num_f32_e32 v36, v36, v36
	v_add_f32_e32 v40, 0x40051340, v12
	s_delay_alu instid0(VALU_DEP_1)
	v_max_num_f32_e32 v36, v36, v40
.LBB86_205:
	s_or_b32 exec_lo, exec_lo, s6
	ds_bpermute_b32 v40, v70, v36
	v_max_num_f32_e32 v36, v36, v36
	v_cmp_ngt_f32_e64 s6, 0x3f200000, |v5|
                                        ; implicit-def: $vgpr41
	s_wait_dscnt 0x0
	v_max_num_f32_e32 v40, v40, v40
	s_delay_alu instid0(VALU_DEP_1) | instskip(SKIP_3) | instid1(VALU_DEP_1)
	v_max_num_f32_e32 v36, v36, v40
	ds_bpermute_b32 v40, v71, v36
	s_wait_dscnt 0x0
	v_max_num_f32_e32 v40, v40, v40
	v_max_num_f32_e32 v36, v36, v40
	ds_bpermute_b32 v40, v72, v36
	s_wait_dscnt 0x0
	v_max_num_f32_e32 v40, v40, v40
	s_delay_alu instid0(VALU_DEP_1) | instskip(SKIP_3) | instid1(VALU_DEP_1)
	v_max_num_f32_e32 v36, v36, v40
	ds_bpermute_b32 v40, v73, v36
	s_wait_dscnt 0x0
	v_max_num_f32_e32 v40, v40, v40
	v_max_num_f32_e32 v36, v36, v40
	ds_bpermute_b32 v40, v74, v36
	s_and_saveexec_b32 s11, s6
	s_delay_alu instid0(SALU_CYCLE_1)
	s_xor_b32 s6, exec_lo, s11
	s_cbranch_execz .LBB86_207
; %bb.206:
	v_add_f32_e64 v41, |v5|, |v5|
	s_delay_alu instid0(VALU_DEP_1) | instskip(SKIP_1) | instid1(VALU_DEP_2)
	v_mul_f32_e32 v49, 0x3fb8aa3b, v41
	v_cmp_ngt_f32_e32 vcc_lo, 0xc2ce8ed0, v41
	v_rndne_f32_e32 v53, v49
	v_fma_f32 v55, 0x3fb8aa3b, v41, -v49
	s_delay_alu instid0(VALU_DEP_2) | instskip(NEXT) | instid1(VALU_DEP_2)
	v_sub_f32_e32 v49, v49, v53
	v_fmamk_f32 v55, v41, 0x32a5705f, v55
	v_cvt_i32_f32_e32 v53, v53
	s_delay_alu instid0(VALU_DEP_2) | instskip(NEXT) | instid1(VALU_DEP_1)
	v_add_f32_e32 v49, v49, v55
	v_exp_f32_e32 v49, v49
	v_nop
	s_delay_alu instid0(TRANS32_DEP_1) | instskip(NEXT) | instid1(VALU_DEP_1)
	v_ldexp_f32 v49, v49, v53
	v_cndmask_b32_e32 v49, 0, v49, vcc_lo
	v_cmp_nlt_f32_e32 vcc_lo, 0x42b17218, v41
	s_delay_alu instid0(VALU_DEP_2) | instskip(NEXT) | instid1(VALU_DEP_1)
	v_cndmask_b32_e32 v41, 0x7f800000, v49, vcc_lo
	v_add_f32_e32 v41, 1.0, v41
	s_delay_alu instid0(VALU_DEP_1) | instskip(SKIP_1) | instid1(TRANS32_DEP_1)
	v_rcp_f32_e32 v41, v41
	v_nop
	v_fma_f32 v41, v41, -2.0, 1.0
.LBB86_207:
	s_and_not1_saveexec_b32 s6, s6
	s_cbranch_execz .LBB86_209
; %bb.208:
	v_mul_f32_e32 v41, v5, v5
	s_mov_b32 s11, 0xbbbac73d
	s_delay_alu instid0(VALU_DEP_1) | instid1(SALU_CYCLE_1)
	v_fmaak_f32 v49, s11, v41, 0x3ca908c9
	s_delay_alu instid0(VALU_DEP_1) | instskip(NEXT) | instid1(VALU_DEP_1)
	v_fmaak_f32 v49, v41, v49, 0xbd5c1c4e
	v_fmaak_f32 v49, v41, v49, 0x3e088382
	s_delay_alu instid0(VALU_DEP_1) | instskip(NEXT) | instid1(VALU_DEP_1)
	v_fmaak_f32 v49, v41, v49, 0xbeaaaa99
	v_mul_f32_e64 v49, |v5|, v49
	s_delay_alu instid0(VALU_DEP_1)
	v_fma_f32 v41, v41, v49, |v5|
.LBB86_209:
	s_or_b32 exec_lo, exec_lo, s6
	v_mov_b32_e32 v57, 0
	s_delay_alu instid0(VALU_DEP_2)
	v_bfi_b32 v5, 0x7fffffff, v41, v5
	v_max_num_f32_e32 v36, v36, v36
	s_wait_dscnt 0x0
	v_max_num_f32_e32 v53, v40, v40
	v_mul_u64_e32 v[58:59], s[4:5], v[56:57]
	v_mul_f32_e32 v5, s31, v5
	s_delay_alu instid0(VALU_DEP_3) | instskip(NEXT) | instid1(VALU_DEP_3)
	v_max_num_f32_e32 v36, v36, v53
	v_add_nc_u32_e32 v49, v56, v59
	s_delay_alu instid0(VALU_DEP_1) | instskip(NEXT) | instid1(VALU_DEP_1)
	v_lshrrev_b32_e32 v49, s21, v49
	v_mul_lo_u32 v49, v49, s22
	s_delay_alu instid0(VALU_DEP_1) | instskip(NEXT) | instid1(VALU_DEP_1)
	v_sub_nc_u32_e32 v49, v56, v49
	v_mad_u32 v40, v49, s30, s14
	s_and_saveexec_b32 s6, s2
	s_cbranch_execz .LBB86_213
; %bb.210:
	v_cmp_ne_u32_e32 vcc_lo, 1, v68
	s_cbranch_vccnz .LBB86_212
; %bb.211:
	s_delay_alu instid0(VALU_DEP_2) | instskip(SKIP_3) | instid1(VALU_DEP_1)
	v_add_nc_u32_e32 v41, v40, v48
	global_load_u16 v41, v41, s[36:37] scale_offset
	s_wait_loadcnt 0x0
	v_cvt_f32_f16_e32 v41, v41
	v_mul_f32_e32 v57, v100, v41
.LBB86_212:
	s_delay_alu instid0(VALU_DEP_1) | instskip(SKIP_1) | instid1(VALU_DEP_2)
	v_add_f32_e32 v5, v5, v57
	v_max_num_f32_e32 v37, v37, v37
	v_add_f32_e32 v41, 0x40051340, v5
	s_delay_alu instid0(VALU_DEP_1)
	v_max_num_f32_e32 v37, v37, v41
.LBB86_213:
	s_or_b32 exec_lo, exec_lo, s6
	v_cmp_ngt_f32_e64 s6, 0x3f200000, |v13|
                                        ; implicit-def: $vgpr41
	s_and_saveexec_b32 s11, s6
	s_delay_alu instid0(SALU_CYCLE_1)
	s_xor_b32 s6, exec_lo, s11
	s_cbranch_execz .LBB86_215
; %bb.214:
	v_add_f32_e64 v41, |v13|, |v13|
	s_delay_alu instid0(VALU_DEP_1) | instskip(SKIP_1) | instid1(VALU_DEP_2)
	v_mul_f32_e32 v49, 0x3fb8aa3b, v41
	v_cmp_ngt_f32_e32 vcc_lo, 0xc2ce8ed0, v41
	v_rndne_f32_e32 v53, v49
	v_fma_f32 v55, 0x3fb8aa3b, v41, -v49
	s_delay_alu instid0(VALU_DEP_2) | instskip(NEXT) | instid1(VALU_DEP_2)
	v_sub_f32_e32 v49, v49, v53
	v_fmamk_f32 v55, v41, 0x32a5705f, v55
	v_cvt_i32_f32_e32 v53, v53
	s_delay_alu instid0(VALU_DEP_2) | instskip(NEXT) | instid1(VALU_DEP_1)
	v_add_f32_e32 v49, v49, v55
	v_exp_f32_e32 v49, v49
	v_nop
	s_delay_alu instid0(TRANS32_DEP_1) | instskip(NEXT) | instid1(VALU_DEP_1)
	v_ldexp_f32 v49, v49, v53
	v_cndmask_b32_e32 v49, 0, v49, vcc_lo
	v_cmp_nlt_f32_e32 vcc_lo, 0x42b17218, v41
	s_delay_alu instid0(VALU_DEP_2) | instskip(NEXT) | instid1(VALU_DEP_1)
	v_cndmask_b32_e32 v41, 0x7f800000, v49, vcc_lo
	v_add_f32_e32 v41, 1.0, v41
	s_delay_alu instid0(VALU_DEP_1) | instskip(SKIP_1) | instid1(TRANS32_DEP_1)
	v_rcp_f32_e32 v41, v41
	v_nop
	v_fma_f32 v41, v41, -2.0, 1.0
.LBB86_215:
	s_and_not1_saveexec_b32 s6, s6
	s_cbranch_execz .LBB86_217
; %bb.216:
	v_mul_f32_e32 v41, v13, v13
	s_mov_b32 s11, 0xbbbac73d
	s_delay_alu instid0(VALU_DEP_1) | instid1(SALU_CYCLE_1)
	v_fmaak_f32 v49, s11, v41, 0x3ca908c9
	s_delay_alu instid0(VALU_DEP_1) | instskip(NEXT) | instid1(VALU_DEP_1)
	v_fmaak_f32 v49, v41, v49, 0xbd5c1c4e
	v_fmaak_f32 v49, v41, v49, 0x3e088382
	s_delay_alu instid0(VALU_DEP_1) | instskip(NEXT) | instid1(VALU_DEP_1)
	v_fmaak_f32 v49, v41, v49, 0xbeaaaa99
	v_mul_f32_e64 v49, |v13|, v49
	s_delay_alu instid0(VALU_DEP_1)
	v_fma_f32 v41, v41, v49, |v13|
.LBB86_217:
	s_or_b32 exec_lo, exec_lo, s6
	s_delay_alu instid0(VALU_DEP_1) | instskip(NEXT) | instid1(VALU_DEP_1)
	v_bfi_b32 v13, 0x7fffffff, v41, v13
	v_mul_f32_e32 v13, s31, v13
	s_and_saveexec_b32 s6, s3
	s_cbranch_execz .LBB86_222
; %bb.218:
	v_cmp_ne_u32_e32 vcc_lo, 1, v68
	s_cbranch_vccnz .LBB86_220
; %bb.219:
	v_dual_ashrrev_i32 v41, 31, v40 :: v_dual_mov_b32 v49, 0
	s_delay_alu instid0(VALU_DEP_1) | instskip(NEXT) | instid1(VALU_DEP_1)
	v_add_nc_u64_e32 v[40:41], v[40:41], v[48:49]
	v_lshl_add_u64 v[40:41], v[40:41], 1, s[36:37]
	global_load_u16 v40, v[40:41], off offset:64
	s_wait_loadcnt 0x0
	v_cvt_f32_f16_e32 v40, v40
	s_delay_alu instid0(VALU_DEP_1)
	v_mul_f32_e32 v40, v100, v40
	s_branch .LBB86_221
.LBB86_220:
	v_mov_b32_e32 v40, 0
.LBB86_221:
	s_delay_alu instid0(VALU_DEP_1) | instskip(SKIP_1) | instid1(VALU_DEP_2)
	v_add_f32_e32 v13, v13, v40
	v_max_num_f32_e32 v37, v37, v37
	v_add_f32_e32 v40, 0x40051340, v13
	s_delay_alu instid0(VALU_DEP_1)
	v_max_num_f32_e32 v37, v37, v40
.LBB86_222:
	s_or_b32 exec_lo, exec_lo, s6
	ds_bpermute_b32 v40, v70, v37
	v_cmp_ngt_f32_e64 s6, 0x3f200000, |v6|
                                        ; implicit-def: $vgpr41
	s_wait_dscnt 0x0
	v_dual_max_num_f32 v37, v37, v37 :: v_dual_max_num_f32 v40, v40, v40
	s_delay_alu instid0(VALU_DEP_1) | instskip(SKIP_3) | instid1(VALU_DEP_1)
	v_max_num_f32_e32 v37, v37, v40
	ds_bpermute_b32 v40, v71, v37
	s_wait_dscnt 0x0
	v_max_num_f32_e32 v40, v40, v40
	v_max_num_f32_e32 v37, v37, v40
	ds_bpermute_b32 v40, v72, v37
	s_wait_dscnt 0x0
	v_max_num_f32_e32 v40, v40, v40
	s_delay_alu instid0(VALU_DEP_1) | instskip(SKIP_3) | instid1(VALU_DEP_1)
	v_max_num_f32_e32 v37, v37, v40
	ds_bpermute_b32 v40, v73, v37
	s_wait_dscnt 0x0
	v_max_num_f32_e32 v40, v40, v40
	v_max_num_f32_e32 v37, v37, v40
	ds_bpermute_b32 v40, v74, v37
	s_and_saveexec_b32 s11, s6
	s_delay_alu instid0(SALU_CYCLE_1)
	s_xor_b32 s6, exec_lo, s11
	s_cbranch_execz .LBB86_224
; %bb.223:
	v_add_f32_e64 v41, |v6|, |v6|
	s_delay_alu instid0(VALU_DEP_1) | instskip(SKIP_1) | instid1(VALU_DEP_2)
	v_mul_f32_e32 v49, 0x3fb8aa3b, v41
	v_cmp_ngt_f32_e32 vcc_lo, 0xc2ce8ed0, v41
	v_rndne_f32_e32 v53, v49
	v_fma_f32 v55, 0x3fb8aa3b, v41, -v49
	s_delay_alu instid0(VALU_DEP_2) | instskip(NEXT) | instid1(VALU_DEP_2)
	v_sub_f32_e32 v49, v49, v53
	v_fmamk_f32 v55, v41, 0x32a5705f, v55
	v_cvt_i32_f32_e32 v53, v53
	s_delay_alu instid0(VALU_DEP_2) | instskip(NEXT) | instid1(VALU_DEP_1)
	v_add_f32_e32 v49, v49, v55
	v_exp_f32_e32 v49, v49
	v_nop
	s_delay_alu instid0(TRANS32_DEP_1) | instskip(NEXT) | instid1(VALU_DEP_1)
	v_ldexp_f32 v49, v49, v53
	v_cndmask_b32_e32 v49, 0, v49, vcc_lo
	v_cmp_nlt_f32_e32 vcc_lo, 0x42b17218, v41
	s_delay_alu instid0(VALU_DEP_2) | instskip(NEXT) | instid1(VALU_DEP_1)
	v_cndmask_b32_e32 v41, 0x7f800000, v49, vcc_lo
	v_add_f32_e32 v41, 1.0, v41
	s_delay_alu instid0(VALU_DEP_1) | instskip(SKIP_1) | instid1(TRANS32_DEP_1)
	v_rcp_f32_e32 v41, v41
	v_nop
	v_fma_f32 v41, v41, -2.0, 1.0
.LBB86_224:
	s_and_not1_saveexec_b32 s6, s6
	s_cbranch_execz .LBB86_226
; %bb.225:
	v_mul_f32_e32 v41, v6, v6
	s_mov_b32 s11, 0xbbbac73d
	s_delay_alu instid0(VALU_DEP_1) | instid1(SALU_CYCLE_1)
	v_fmaak_f32 v49, s11, v41, 0x3ca908c9
	s_delay_alu instid0(VALU_DEP_1) | instskip(NEXT) | instid1(VALU_DEP_1)
	v_fmaak_f32 v49, v41, v49, 0xbd5c1c4e
	v_fmaak_f32 v49, v41, v49, 0x3e088382
	s_delay_alu instid0(VALU_DEP_1) | instskip(NEXT) | instid1(VALU_DEP_1)
	v_fmaak_f32 v49, v41, v49, 0xbeaaaa99
	v_mul_f32_e64 v49, |v6|, v49
	s_delay_alu instid0(VALU_DEP_1)
	v_fma_f32 v41, v41, v49, |v6|
.LBB86_226:
	s_or_b32 exec_lo, exec_lo, s6
	v_mov_b32_e32 v55, 0
	s_delay_alu instid0(VALU_DEP_2) | instskip(SKIP_2) | instid1(VALU_DEP_3)
	v_bfi_b32 v6, 0x7fffffff, v41, v6
	s_wait_dscnt 0x0
	v_dual_max_num_f32 v37, v37, v37 :: v_dual_max_num_f32 v53, v40, v40
	v_mul_u64_e32 v[56:57], s[4:5], v[54:55]
	s_delay_alu instid0(VALU_DEP_2) | instskip(NEXT) | instid1(VALU_DEP_2)
	v_dual_mul_f32 v6, s31, v6 :: v_dual_max_num_f32 v37, v37, v53
	v_add_nc_u32_e32 v49, v54, v57
	s_delay_alu instid0(VALU_DEP_1) | instskip(NEXT) | instid1(VALU_DEP_1)
	v_lshrrev_b32_e32 v49, s21, v49
	v_mul_lo_u32 v49, v49, s22
	s_delay_alu instid0(VALU_DEP_1) | instskip(NEXT) | instid1(VALU_DEP_1)
	v_sub_nc_u32_e32 v49, v54, v49
	v_mad_u32 v40, v49, s30, s14
	s_and_saveexec_b32 s6, s2
	s_cbranch_execz .LBB86_230
; %bb.227:
	v_cmp_ne_u32_e32 vcc_lo, 1, v68
	s_cbranch_vccnz .LBB86_229
; %bb.228:
	s_delay_alu instid0(VALU_DEP_2) | instskip(SKIP_3) | instid1(VALU_DEP_1)
	v_add_nc_u32_e32 v41, v40, v48
	global_load_u16 v41, v41, s[36:37] scale_offset
	s_wait_loadcnt 0x0
	v_cvt_f32_f16_e32 v41, v41
	v_mul_f32_e32 v55, v100, v41
.LBB86_229:
	s_delay_alu instid0(VALU_DEP_1) | instskip(SKIP_1) | instid1(VALU_DEP_2)
	v_add_f32_e32 v6, v6, v55
	v_max_num_f32_e32 v38, v38, v38
	v_add_f32_e32 v41, 0x40051340, v6
	s_delay_alu instid0(VALU_DEP_1)
	v_max_num_f32_e32 v38, v38, v41
.LBB86_230:
	s_or_b32 exec_lo, exec_lo, s6
	v_cmp_ngt_f32_e64 s6, 0x3f200000, |v14|
                                        ; implicit-def: $vgpr41
	s_and_saveexec_b32 s11, s6
	s_delay_alu instid0(SALU_CYCLE_1)
	s_xor_b32 s6, exec_lo, s11
	s_cbranch_execz .LBB86_232
; %bb.231:
	v_add_f32_e64 v41, |v14|, |v14|
	s_delay_alu instid0(VALU_DEP_1) | instskip(SKIP_1) | instid1(VALU_DEP_2)
	v_mul_f32_e32 v49, 0x3fb8aa3b, v41
	v_cmp_ngt_f32_e32 vcc_lo, 0xc2ce8ed0, v41
	v_rndne_f32_e32 v53, v49
	v_fma_f32 v54, 0x3fb8aa3b, v41, -v49
	s_delay_alu instid0(VALU_DEP_2) | instskip(NEXT) | instid1(VALU_DEP_2)
	v_sub_f32_e32 v49, v49, v53
	v_fmamk_f32 v54, v41, 0x32a5705f, v54
	v_cvt_i32_f32_e32 v53, v53
	s_delay_alu instid0(VALU_DEP_2) | instskip(NEXT) | instid1(VALU_DEP_1)
	v_add_f32_e32 v49, v49, v54
	v_exp_f32_e32 v49, v49
	v_nop
	s_delay_alu instid0(TRANS32_DEP_1) | instskip(NEXT) | instid1(VALU_DEP_1)
	v_ldexp_f32 v49, v49, v53
	v_cndmask_b32_e32 v49, 0, v49, vcc_lo
	v_cmp_nlt_f32_e32 vcc_lo, 0x42b17218, v41
	s_delay_alu instid0(VALU_DEP_2) | instskip(NEXT) | instid1(VALU_DEP_1)
	v_cndmask_b32_e32 v41, 0x7f800000, v49, vcc_lo
	v_add_f32_e32 v41, 1.0, v41
	s_delay_alu instid0(VALU_DEP_1) | instskip(SKIP_1) | instid1(TRANS32_DEP_1)
	v_rcp_f32_e32 v41, v41
	v_nop
	v_fma_f32 v41, v41, -2.0, 1.0
.LBB86_232:
	s_and_not1_saveexec_b32 s6, s6
	s_cbranch_execz .LBB86_234
; %bb.233:
	v_mul_f32_e32 v41, v14, v14
	s_mov_b32 s11, 0xbbbac73d
	s_delay_alu instid0(VALU_DEP_1) | instid1(SALU_CYCLE_1)
	v_fmaak_f32 v49, s11, v41, 0x3ca908c9
	s_delay_alu instid0(VALU_DEP_1) | instskip(NEXT) | instid1(VALU_DEP_1)
	v_fmaak_f32 v49, v41, v49, 0xbd5c1c4e
	v_fmaak_f32 v49, v41, v49, 0x3e088382
	s_delay_alu instid0(VALU_DEP_1) | instskip(NEXT) | instid1(VALU_DEP_1)
	v_fmaak_f32 v49, v41, v49, 0xbeaaaa99
	v_mul_f32_e64 v49, |v14|, v49
	s_delay_alu instid0(VALU_DEP_1)
	v_fma_f32 v41, v41, v49, |v14|
.LBB86_234:
	s_or_b32 exec_lo, exec_lo, s6
	s_delay_alu instid0(VALU_DEP_1) | instskip(NEXT) | instid1(VALU_DEP_1)
	v_bfi_b32 v14, 0x7fffffff, v41, v14
	v_mul_f32_e32 v14, s31, v14
	s_and_saveexec_b32 s6, s3
	s_cbranch_execz .LBB86_239
; %bb.235:
	v_cmp_ne_u32_e32 vcc_lo, 1, v68
	s_cbranch_vccnz .LBB86_237
; %bb.236:
	v_dual_ashrrev_i32 v41, 31, v40 :: v_dual_mov_b32 v49, 0
	s_delay_alu instid0(VALU_DEP_1) | instskip(NEXT) | instid1(VALU_DEP_1)
	v_add_nc_u64_e32 v[40:41], v[40:41], v[48:49]
	v_lshl_add_u64 v[40:41], v[40:41], 1, s[36:37]
	global_load_u16 v40, v[40:41], off offset:64
	s_wait_loadcnt 0x0
	v_cvt_f32_f16_e32 v40, v40
	s_delay_alu instid0(VALU_DEP_1)
	v_mul_f32_e32 v40, v100, v40
	s_branch .LBB86_238
.LBB86_237:
	v_mov_b32_e32 v40, 0
.LBB86_238:
	s_delay_alu instid0(VALU_DEP_1) | instskip(SKIP_1) | instid1(VALU_DEP_2)
	v_add_f32_e32 v14, v14, v40
	v_max_num_f32_e32 v38, v38, v38
	v_add_f32_e32 v40, 0x40051340, v14
	s_delay_alu instid0(VALU_DEP_1)
	v_max_num_f32_e32 v38, v38, v40
.LBB86_239:
	s_or_b32 exec_lo, exec_lo, s6
	ds_bpermute_b32 v40, v70, v38
	v_cmp_ngt_f32_e64 s6, 0x3f200000, |v7|
                                        ; implicit-def: $vgpr41
	s_wait_dscnt 0x0
	v_dual_max_num_f32 v38, v38, v38 :: v_dual_max_num_f32 v40, v40, v40
	s_delay_alu instid0(VALU_DEP_1) | instskip(SKIP_3) | instid1(VALU_DEP_1)
	v_max_num_f32_e32 v38, v38, v40
	ds_bpermute_b32 v40, v71, v38
	s_wait_dscnt 0x0
	v_max_num_f32_e32 v40, v40, v40
	v_max_num_f32_e32 v38, v38, v40
	ds_bpermute_b32 v40, v72, v38
	s_wait_dscnt 0x0
	v_max_num_f32_e32 v40, v40, v40
	s_delay_alu instid0(VALU_DEP_1) | instskip(SKIP_3) | instid1(VALU_DEP_1)
	v_max_num_f32_e32 v38, v38, v40
	ds_bpermute_b32 v40, v73, v38
	s_wait_dscnt 0x0
	v_max_num_f32_e32 v40, v40, v40
	v_max_num_f32_e32 v38, v38, v40
	ds_bpermute_b32 v40, v74, v38
	s_and_saveexec_b32 s11, s6
	s_delay_alu instid0(SALU_CYCLE_1)
	s_xor_b32 s6, exec_lo, s11
	s_cbranch_execz .LBB86_241
; %bb.240:
	v_add_f32_e64 v41, |v7|, |v7|
	s_delay_alu instid0(VALU_DEP_1) | instskip(SKIP_1) | instid1(VALU_DEP_2)
	v_mul_f32_e32 v49, 0x3fb8aa3b, v41
	v_cmp_ngt_f32_e32 vcc_lo, 0xc2ce8ed0, v41
	v_rndne_f32_e32 v53, v49
	v_fma_f32 v54, 0x3fb8aa3b, v41, -v49
	s_delay_alu instid0(VALU_DEP_2) | instskip(NEXT) | instid1(VALU_DEP_2)
	v_sub_f32_e32 v49, v49, v53
	v_fmamk_f32 v54, v41, 0x32a5705f, v54
	v_cvt_i32_f32_e32 v53, v53
	s_delay_alu instid0(VALU_DEP_2) | instskip(NEXT) | instid1(VALU_DEP_1)
	v_add_f32_e32 v49, v49, v54
	v_exp_f32_e32 v49, v49
	v_nop
	s_delay_alu instid0(TRANS32_DEP_1) | instskip(NEXT) | instid1(VALU_DEP_1)
	v_ldexp_f32 v49, v49, v53
	v_cndmask_b32_e32 v49, 0, v49, vcc_lo
	v_cmp_nlt_f32_e32 vcc_lo, 0x42b17218, v41
	s_delay_alu instid0(VALU_DEP_2) | instskip(NEXT) | instid1(VALU_DEP_1)
	v_cndmask_b32_e32 v41, 0x7f800000, v49, vcc_lo
	v_add_f32_e32 v41, 1.0, v41
	s_delay_alu instid0(VALU_DEP_1) | instskip(SKIP_1) | instid1(TRANS32_DEP_1)
	v_rcp_f32_e32 v41, v41
	v_nop
	v_fma_f32 v41, v41, -2.0, 1.0
.LBB86_241:
	s_and_not1_saveexec_b32 s6, s6
	s_cbranch_execz .LBB86_243
; %bb.242:
	v_mul_f32_e32 v41, v7, v7
	s_mov_b32 s11, 0xbbbac73d
	s_delay_alu instid0(VALU_DEP_1) | instid1(SALU_CYCLE_1)
	v_fmaak_f32 v49, s11, v41, 0x3ca908c9
	s_delay_alu instid0(VALU_DEP_1) | instskip(NEXT) | instid1(VALU_DEP_1)
	v_fmaak_f32 v49, v41, v49, 0xbd5c1c4e
	v_fmaak_f32 v49, v41, v49, 0x3e088382
	s_delay_alu instid0(VALU_DEP_1) | instskip(NEXT) | instid1(VALU_DEP_1)
	v_fmaak_f32 v49, v41, v49, 0xbeaaaa99
	v_mul_f32_e64 v49, |v7|, v49
	s_delay_alu instid0(VALU_DEP_1)
	v_fma_f32 v41, v41, v49, |v7|
.LBB86_243:
	s_or_b32 exec_lo, exec_lo, s6
	v_mov_b32_e32 v53, 0
	s_delay_alu instid0(VALU_DEP_2) | instskip(SKIP_1) | instid1(VALU_DEP_3)
	v_bfi_b32 v7, 0x7fffffff, v41, v7
	v_max_num_f32_e32 v38, v38, v38
	v_mul_u64_e32 v[54:55], s[4:5], v[52:53]
	s_delay_alu instid0(VALU_DEP_3) | instskip(NEXT) | instid1(VALU_DEP_2)
	v_mul_f32_e32 v7, s31, v7
	v_add_nc_u32_e32 v49, v52, v55
	s_delay_alu instid0(VALU_DEP_1) | instskip(NEXT) | instid1(VALU_DEP_1)
	v_lshrrev_b32_e32 v49, s21, v49
	v_mul_lo_u32 v49, v49, s22
	s_delay_alu instid0(VALU_DEP_1) | instskip(SKIP_2) | instid1(VALU_DEP_2)
	v_sub_nc_u32_e32 v49, v52, v49
	s_wait_dscnt 0x0
	v_max_num_f32_e32 v52, v40, v40
	v_mad_u32 v40, v49, s30, s14
	s_delay_alu instid0(VALU_DEP_2)
	v_max_num_f32_e32 v38, v38, v52
	s_and_saveexec_b32 s4, s2
	s_cbranch_execz .LBB86_247
; %bb.244:
	v_cmp_ne_u32_e32 vcc_lo, 1, v68
	s_cbranch_vccnz .LBB86_246
; %bb.245:
	s_delay_alu instid0(VALU_DEP_3) | instskip(SKIP_3) | instid1(VALU_DEP_1)
	v_add_nc_u32_e32 v41, v40, v48
	global_load_u16 v41, v41, s[36:37] scale_offset
	s_wait_loadcnt 0x0
	v_cvt_f32_f16_e32 v41, v41
	v_mul_f32_e32 v53, v100, v41
.LBB86_246:
	s_delay_alu instid0(VALU_DEP_1) | instskip(SKIP_1) | instid1(VALU_DEP_2)
	v_add_f32_e32 v7, v7, v53
	v_max_num_f32_e32 v39, v39, v39
	v_add_f32_e32 v41, 0x40051340, v7
	s_delay_alu instid0(VALU_DEP_1)
	v_max_num_f32_e32 v39, v39, v41
.LBB86_247:
	s_or_b32 exec_lo, exec_lo, s4
	v_cmp_ngt_f32_e64 s2, 0x3f200000, |v15|
                                        ; implicit-def: $vgpr41
	s_and_saveexec_b32 s4, s2
	s_delay_alu instid0(SALU_CYCLE_1)
	s_xor_b32 s2, exec_lo, s4
	s_cbranch_execz .LBB86_249
; %bb.248:
	v_add_f32_e64 v41, |v15|, |v15|
	s_delay_alu instid0(VALU_DEP_1) | instskip(SKIP_1) | instid1(VALU_DEP_2)
	v_mul_f32_e32 v49, 0x3fb8aa3b, v41
	v_cmp_ngt_f32_e32 vcc_lo, 0xc2ce8ed0, v41
	v_rndne_f32_e32 v52, v49
	v_fma_f32 v53, 0x3fb8aa3b, v41, -v49
	s_delay_alu instid0(VALU_DEP_2) | instskip(NEXT) | instid1(VALU_DEP_2)
	v_sub_f32_e32 v49, v49, v52
	v_fmamk_f32 v53, v41, 0x32a5705f, v53
	v_cvt_i32_f32_e32 v52, v52
	s_delay_alu instid0(VALU_DEP_2) | instskip(NEXT) | instid1(VALU_DEP_1)
	v_add_f32_e32 v49, v49, v53
	v_exp_f32_e32 v49, v49
	v_nop
	s_delay_alu instid0(TRANS32_DEP_1) | instskip(NEXT) | instid1(VALU_DEP_1)
	v_ldexp_f32 v49, v49, v52
	v_cndmask_b32_e32 v49, 0, v49, vcc_lo
	v_cmp_nlt_f32_e32 vcc_lo, 0x42b17218, v41
	s_delay_alu instid0(VALU_DEP_2) | instskip(NEXT) | instid1(VALU_DEP_1)
	v_cndmask_b32_e32 v41, 0x7f800000, v49, vcc_lo
	v_add_f32_e32 v41, 1.0, v41
	s_delay_alu instid0(VALU_DEP_1) | instskip(SKIP_1) | instid1(TRANS32_DEP_1)
	v_rcp_f32_e32 v41, v41
	v_nop
	v_fma_f32 v41, v41, -2.0, 1.0
.LBB86_249:
	s_and_not1_saveexec_b32 s2, s2
	s_cbranch_execz .LBB86_251
; %bb.250:
	v_mul_f32_e32 v41, v15, v15
	s_mov_b32 s4, 0xbbbac73d
	s_delay_alu instid0(VALU_DEP_1) | instid1(SALU_CYCLE_1)
	v_fmaak_f32 v49, s4, v41, 0x3ca908c9
	s_delay_alu instid0(VALU_DEP_1) | instskip(NEXT) | instid1(VALU_DEP_1)
	v_fmaak_f32 v49, v41, v49, 0xbd5c1c4e
	v_fmaak_f32 v49, v41, v49, 0x3e088382
	s_delay_alu instid0(VALU_DEP_1) | instskip(NEXT) | instid1(VALU_DEP_1)
	v_fmaak_f32 v49, v41, v49, 0xbeaaaa99
	v_mul_f32_e64 v49, |v15|, v49
	s_delay_alu instid0(VALU_DEP_1)
	v_fma_f32 v41, v41, v49, |v15|
.LBB86_251:
	s_or_b32 exec_lo, exec_lo, s2
	s_delay_alu instid0(VALU_DEP_1) | instskip(NEXT) | instid1(VALU_DEP_1)
	v_bfi_b32 v15, 0x7fffffff, v41, v15
	v_mul_f32_e32 v15, s31, v15
	s_and_saveexec_b32 s2, s3
	s_cbranch_execz .LBB86_256
; %bb.252:
	v_cmp_ne_u32_e32 vcc_lo, 1, v68
	s_cbranch_vccnz .LBB86_254
; %bb.253:
	v_dual_ashrrev_i32 v41, 31, v40 :: v_dual_mov_b32 v49, 0
	s_delay_alu instid0(VALU_DEP_1) | instskip(NEXT) | instid1(VALU_DEP_1)
	v_add_nc_u64_e32 v[40:41], v[40:41], v[48:49]
	v_lshl_add_u64 v[40:41], v[40:41], 1, s[36:37]
	global_load_u16 v40, v[40:41], off offset:64
	s_wait_loadcnt 0x0
	v_cvt_f32_f16_e32 v40, v40
	s_delay_alu instid0(VALU_DEP_1)
	v_mul_f32_e32 v40, v100, v40
	s_branch .LBB86_255
.LBB86_254:
	v_mov_b32_e32 v40, 0
.LBB86_255:
	s_delay_alu instid0(VALU_DEP_1) | instskip(SKIP_1) | instid1(VALU_DEP_2)
	v_add_f32_e32 v15, v15, v40
	v_max_num_f32_e32 v39, v39, v39
	v_add_f32_e32 v40, 0x40051340, v15
	s_delay_alu instid0(VALU_DEP_1)
	v_max_num_f32_e32 v39, v39, v40
.LBB86_256:
	s_or_b32 exec_lo, exec_lo, s2
	v_sub_f32_e32 v0, v0, v32
	v_cmp_gt_u32_e64 s2, s7, v48
	ds_bpermute_b32 v40, v70, v39
	s_mov_b32 s4, 0
	s_wait_dscnt 0x0
	v_mul_f32_e32 v41, 0x3fb8aa3b, v0
	v_cmp_ngt_f32_e32 vcc_lo, 0xc2ce8ed0, v0
	s_mov_b32 s5, s4
	s_mov_b32 s6, s4
	s_barrier_signal -1
	v_fma_f32 v49, 0x3fb8aa3b, v0, -v41
	v_rndne_f32_e32 v52, v41
	s_barrier_wait -1
	s_ashr_i32 s11, s10, 31
	s_delay_alu instid0(VALU_DEP_2) | instskip(NEXT) | instid1(VALU_DEP_2)
	v_fmac_f32_e32 v49, 0x32a5705f, v0
	v_sub_f32_e32 v41, v41, v52
	v_dual_sub_f32 v24, v24, v32 :: v_dual_max_num_f32 v39, v39, v39
	v_dual_sub_f32 v1, v1, v33 :: v_dual_sub_f32 v26, v26, v34
	s_delay_alu instid0(VALU_DEP_3) | instskip(SKIP_3) | instid1(VALU_DEP_4)
	v_add_f32_e32 v41, v41, v49
	v_cvt_i32_f32_e32 v49, v52
	v_dual_sub_f32 v2, v2, v34 :: v_dual_max_num_f32 v40, v40, v40
	v_sub_f32_e32 v28, v28, v36
	v_exp_f32_e32 v41, v41
	v_dual_sub_f32 v3, v3, v35 :: v_dual_sub_f32 v4, v4, v36
	s_delay_alu instid0(VALU_DEP_3) | instskip(SKIP_1) | instid1(TRANS32_DEP_1)
	v_dual_max_num_f32 v39, v39, v40 :: v_dual_sub_f32 v5, v5, v37
	v_sub_f32_e32 v6, v6, v38
	v_ldexp_f32 v41, v41, v49
	ds_bpermute_b32 v40, v71, v39
	v_cndmask_b32_e32 v41, 0, v41, vcc_lo
	v_cmp_nlt_f32_e32 vcc_lo, 0x42b17218, v0
	s_delay_alu instid0(VALU_DEP_2) | instskip(SKIP_1) | instid1(VALU_DEP_2)
	v_cndmask_b32_e32 v0, 0x7f800000, v41, vcc_lo
	v_cmp_gt_u32_e32 vcc_lo, s7, v64
	v_cndmask_b32_e64 v49, 0, v0, s2
	v_sub_f32_e32 v0, v8, v32
	s_wait_dscnt 0x0
	v_max_num_f32_e32 v40, v40, v40
	s_delay_alu instid0(VALU_DEP_2) | instskip(SKIP_1) | instid1(VALU_DEP_3)
	v_mul_f32_e32 v8, 0x3fb8aa3b, v0
	v_cmp_ngt_f32_e64 s3, 0xc2ce8ed0, v0
	v_max_num_f32_e32 v39, v39, v40
	s_delay_alu instid0(VALU_DEP_3) | instskip(SKIP_4) | instid1(VALU_DEP_1)
	v_fma_f32 v41, 0x3fb8aa3b, v0, -v8
	v_rndne_f32_e32 v52, v8
	ds_bpermute_b32 v40, v72, v39
	v_fmac_f32_e32 v41, 0x32a5705f, v0
	v_sub_f32_e32 v8, v8, v52
	v_add_f32_e32 v8, v8, v41
	v_cvt_i32_f32_e32 v41, v52
	s_delay_alu instid0(VALU_DEP_2) | instskip(SKIP_1) | instid1(TRANS32_DEP_1)
	v_exp_f32_e32 v8, v8
	v_nop
	v_ldexp_f32 v8, v8, v41
	s_wait_dscnt 0x0
	v_max_num_f32_e32 v40, v40, v40
	s_delay_alu instid0(VALU_DEP_2) | instskip(SKIP_1) | instid1(VALU_DEP_3)
	v_cndmask_b32_e64 v8, 0, v8, s3
	v_cmp_nlt_f32_e64 s3, 0x42b17218, v0
	v_max_num_f32_e32 v39, v39, v40
	s_delay_alu instid0(VALU_DEP_2)
	v_cndmask_b32_e64 v0, 0x7f800000, v8, s3
	v_mul_f32_e32 v8, 0x3fb8aa3b, v24
	v_cmp_ngt_f32_e64 s3, 0xc2ce8ed0, v24
	ds_bpermute_b32 v40, v73, v39
	v_cndmask_b32_e32 v52, 0, v0, vcc_lo
	v_fma_f32 v41, 0x3fb8aa3b, v24, -v8
	v_rndne_f32_e32 v53, v8
	s_delay_alu instid0(VALU_DEP_1) | instskip(NEXT) | instid1(VALU_DEP_1)
	v_dual_fmac_f32 v41, 0x32a5705f, v24 :: v_dual_sub_f32 v8, v8, v53
	v_dual_add_f32 v0, v49, v52 :: v_dual_add_f32 v8, v8, v41
	v_cvt_i32_f32_e32 v41, v53
	s_delay_alu instid0(VALU_DEP_2) | instskip(SKIP_2) | instid1(VALU_DEP_1)
	v_exp_f32_e32 v8, v8
	s_wait_dscnt 0x0
	v_max_num_f32_e32 v40, v40, v40
	v_max_num_f32_e32 v39, v39, v40
	s_delay_alu instid0(TRANS32_DEP_1) | instskip(SKIP_4) | instid1(VALU_DEP_1)
	v_ldexp_f32 v8, v8, v41
	v_sub_f32_e32 v41, v25, v33
	ds_bpermute_b32 v40, v74, v39
	v_cndmask_b32_e64 v8, 0, v8, s3
	v_cmp_nlt_f32_e64 s3, 0x42b17218, v24
	v_cndmask_b32_e64 v8, 0x7f800000, v8, s3
	v_cmp_ngt_f32_e64 s3, 0xc2ce8ed0, v1
	s_delay_alu instid0(VALU_DEP_2) | instskip(SKIP_2) | instid1(VALU_DEP_2)
	v_fmac_f32_e32 v0, v16, v8
	v_mul_f32_e32 v16, 0x3fb8aa3b, v1
	v_cvt_f16_f32_e32 v8, v8
	v_fma_f32 v25, 0x3fb8aa3b, v1, -v16
	v_rndne_f32_e32 v53, v16
	s_wait_dscnt 0x0
	v_max_num_f32_e32 v40, v40, v40
	v_and_b32_e32 v8, 0xffff, v8
	v_fmac_f32_e32 v25, 0x32a5705f, v1
	s_delay_alu instid0(VALU_DEP_3) | instskip(SKIP_1) | instid1(VALU_DEP_4)
	v_dual_sub_f32 v16, v16, v53 :: v_dual_max_num_f32 v39, v39, v40
	v_lshlrev_b32_e32 v40, 10, v98
	v_mul_u32_u24_e32 v8, 0x10001, v8
	s_delay_alu instid0(VALU_DEP_3) | instskip(SKIP_2) | instid1(VALU_DEP_4)
	v_add_f32_e32 v16, v16, v25
	v_cvt_i32_f32_e32 v25, v53
	v_sub_f32_e32 v7, v7, v39
	v_pk_mul_f16 v24, v115, v8
	v_pk_mul_f16 v8, v116, v8
	v_exp_f32_e32 v16, v16
	v_nop
	s_delay_alu instid0(TRANS32_DEP_1) | instskip(NEXT) | instid1(VALU_DEP_1)
	v_ldexp_f32 v16, v16, v25
	v_cndmask_b32_e64 v16, 0, v16, s3
	v_cmp_nlt_f32_e64 s3, 0x42b17218, v1
	s_delay_alu instid0(VALU_DEP_1) | instskip(NEXT) | instid1(VALU_DEP_1)
	v_cndmask_b32_e64 v1, 0x7f800000, v16, s3
	v_cndmask_b32_e64 v16, 0, v1, s2
	v_sub_f32_e32 v1, v9, v33
	s_delay_alu instid0(VALU_DEP_1) | instskip(SKIP_1) | instid1(VALU_DEP_2)
	v_mul_f32_e32 v9, 0x3fb8aa3b, v1
	v_cmp_ngt_f32_e64 s3, 0xc2ce8ed0, v1
	v_fma_f32 v25, 0x3fb8aa3b, v1, -v9
	v_rndne_f32_e32 v53, v9
	s_delay_alu instid0(VALU_DEP_2) | instskip(NEXT) | instid1(VALU_DEP_2)
	v_fmac_f32_e32 v25, 0x32a5705f, v1
	v_sub_f32_e32 v9, v9, v53
	s_delay_alu instid0(VALU_DEP_1) | instskip(SKIP_1) | instid1(VALU_DEP_2)
	v_add_f32_e32 v9, v9, v25
	v_cvt_i32_f32_e32 v25, v53
	v_exp_f32_e32 v9, v9
	v_nop
	s_delay_alu instid0(TRANS32_DEP_1) | instskip(NEXT) | instid1(VALU_DEP_1)
	v_ldexp_f32 v9, v9, v25
	v_cndmask_b32_e64 v9, 0, v9, s3
	v_cmp_nlt_f32_e64 s3, 0x42b17218, v1
	s_delay_alu instid0(VALU_DEP_1) | instskip(SKIP_2) | instid1(VALU_DEP_3)
	v_cndmask_b32_e64 v1, 0x7f800000, v9, s3
	v_mul_f32_e32 v9, 0x3fb8aa3b, v41
	v_cmp_ngt_f32_e64 s3, 0xc2ce8ed0, v41
	v_cndmask_b32_e32 v25, 0, v1, vcc_lo
	s_delay_alu instid0(VALU_DEP_3) | instskip(SKIP_1) | instid1(VALU_DEP_3)
	v_fma_f32 v53, 0x3fb8aa3b, v41, -v9
	v_rndne_f32_e32 v54, v9
	v_add_f32_e32 v1, v16, v25
	s_delay_alu instid0(VALU_DEP_3) | instskip(NEXT) | instid1(VALU_DEP_3)
	v_fmac_f32_e32 v53, 0x32a5705f, v41
	v_sub_f32_e32 v9, v9, v54
	s_delay_alu instid0(VALU_DEP_1) | instskip(SKIP_1) | instid1(VALU_DEP_2)
	v_add_f32_e32 v9, v9, v53
	v_cvt_i32_f32_e32 v53, v54
	v_exp_f32_e32 v9, v9
	v_nop
	s_delay_alu instid0(TRANS32_DEP_1) | instskip(NEXT) | instid1(VALU_DEP_1)
	v_ldexp_f32 v9, v9, v53
	v_cndmask_b32_e64 v9, 0, v9, s3
	v_cmp_nlt_f32_e64 s3, 0x42b17218, v41
	s_delay_alu instid0(VALU_DEP_1) | instskip(SKIP_1) | instid1(VALU_DEP_2)
	v_cndmask_b32_e64 v9, 0x7f800000, v9, s3
	v_cmp_ngt_f32_e64 s3, 0xc2ce8ed0, v2
	v_fmac_f32_e32 v1, v17, v9
	v_mul_f32_e32 v17, 0x3fb8aa3b, v2
	v_cvt_f16_f32_e32 v9, v9
	s_delay_alu instid0(VALU_DEP_2) | instskip(SKIP_1) | instid1(VALU_DEP_3)
	v_fma_f32 v53, 0x3fb8aa3b, v2, -v17
	v_rndne_f32_e32 v54, v17
	v_and_b32_e32 v9, 0xffff, v9
	s_delay_alu instid0(VALU_DEP_3) | instskip(NEXT) | instid1(VALU_DEP_3)
	v_fmac_f32_e32 v53, 0x32a5705f, v2
	v_sub_f32_e32 v17, v17, v54
	s_delay_alu instid0(VALU_DEP_3) | instskip(NEXT) | instid1(VALU_DEP_2)
	v_mul_u32_u24_e32 v9, 0x10001, v9
	v_add_f32_e32 v17, v17, v53
	v_cvt_i32_f32_e32 v53, v54
	s_delay_alu instid0(VALU_DEP_3) | instskip(SKIP_1) | instid1(VALU_DEP_4)
	v_pk_mul_f16 v41, v113, v9
	v_pk_mul_f16 v9, v114, v9
	v_exp_f32_e32 v17, v17
	v_nop
	s_delay_alu instid0(TRANS32_DEP_1) | instskip(NEXT) | instid1(VALU_DEP_1)
	v_ldexp_f32 v17, v17, v53
	v_cndmask_b32_e64 v17, 0, v17, s3
	v_cmp_nlt_f32_e64 s3, 0x42b17218, v2
	s_delay_alu instid0(VALU_DEP_1) | instskip(NEXT) | instid1(VALU_DEP_1)
	v_cndmask_b32_e64 v2, 0x7f800000, v17, s3
	v_cndmask_b32_e64 v17, 0, v2, s2
	v_sub_f32_e32 v2, v10, v34
	s_delay_alu instid0(VALU_DEP_1) | instskip(SKIP_1) | instid1(VALU_DEP_2)
	v_mul_f32_e32 v10, 0x3fb8aa3b, v2
	v_cmp_ngt_f32_e64 s3, 0xc2ce8ed0, v2
	v_fma_f32 v53, 0x3fb8aa3b, v2, -v10
	v_rndne_f32_e32 v54, v10
	s_delay_alu instid0(VALU_DEP_2) | instskip(NEXT) | instid1(VALU_DEP_2)
	v_fmac_f32_e32 v53, 0x32a5705f, v2
	v_sub_f32_e32 v10, v10, v54
	s_delay_alu instid0(VALU_DEP_1) | instskip(SKIP_1) | instid1(VALU_DEP_2)
	v_add_f32_e32 v10, v10, v53
	v_cvt_i32_f32_e32 v53, v54
	v_exp_f32_e32 v10, v10
	v_nop
	s_delay_alu instid0(TRANS32_DEP_1) | instskip(NEXT) | instid1(VALU_DEP_1)
	v_ldexp_f32 v10, v10, v53
	v_cndmask_b32_e64 v10, 0, v10, s3
	v_cmp_nlt_f32_e64 s3, 0x42b17218, v2
	s_delay_alu instid0(VALU_DEP_1) | instskip(SKIP_2) | instid1(VALU_DEP_3)
	v_cndmask_b32_e64 v2, 0x7f800000, v10, s3
	v_mul_f32_e32 v10, 0x3fb8aa3b, v26
	v_cmp_ngt_f32_e64 s3, 0xc2ce8ed0, v26
	v_cndmask_b32_e32 v56, 0, v2, vcc_lo
	s_delay_alu instid0(VALU_DEP_3) | instskip(SKIP_1) | instid1(VALU_DEP_2)
	v_fma_f32 v53, 0x3fb8aa3b, v26, -v10
	v_rndne_f32_e32 v54, v10
	v_dual_add_f32 v2, v17, v56 :: v_dual_fmac_f32 v53, 0x32a5705f, v26
	s_delay_alu instid0(VALU_DEP_2) | instskip(NEXT) | instid1(VALU_DEP_1)
	v_sub_f32_e32 v10, v10, v54
	v_add_f32_e32 v10, v10, v53
	v_cvt_i32_f32_e32 v53, v54
	s_delay_alu instid0(VALU_DEP_2) | instskip(SKIP_1) | instid1(TRANS32_DEP_1)
	v_exp_f32_e32 v10, v10
	v_nop
	v_ldexp_f32 v10, v10, v53
	s_delay_alu instid0(VALU_DEP_1) | instskip(SKIP_1) | instid1(VALU_DEP_1)
	v_dual_sub_f32 v53, v27, v35 :: v_dual_cndmask_b32 v10, 0, v10, s3
	v_cmp_nlt_f32_e64 s3, 0x42b17218, v26
	v_cndmask_b32_e64 v10, 0x7f800000, v10, s3
	v_cmp_ngt_f32_e64 s3, 0xc2ce8ed0, v3
	s_delay_alu instid0(VALU_DEP_2) | instskip(SKIP_2) | instid1(VALU_DEP_2)
	v_fmac_f32_e32 v2, v18, v10
	v_mul_f32_e32 v18, 0x3fb8aa3b, v3
	v_cvt_f16_f32_e32 v10, v10
	v_fma_f32 v27, 0x3fb8aa3b, v3, -v18
	v_rndne_f32_e32 v54, v18
	s_delay_alu instid0(VALU_DEP_3) | instskip(NEXT) | instid1(VALU_DEP_2)
	v_and_b32_e32 v10, 0xffff, v10
	v_dual_fmac_f32 v27, 0x32a5705f, v3 :: v_dual_sub_f32 v18, v18, v54
	s_delay_alu instid0(VALU_DEP_2) | instskip(NEXT) | instid1(VALU_DEP_2)
	v_mul_u32_u24_e32 v10, 0x10001, v10
	v_add_f32_e32 v18, v18, v27
	v_cvt_i32_f32_e32 v27, v54
	s_delay_alu instid0(VALU_DEP_3) | instskip(SKIP_1) | instid1(VALU_DEP_4)
	v_pk_mul_f16 v26, v111, v10
	v_pk_mul_f16 v10, v112, v10
	v_exp_f32_e32 v18, v18
	v_nop
	s_delay_alu instid0(TRANS32_DEP_1) | instskip(NEXT) | instid1(VALU_DEP_1)
	v_ldexp_f32 v18, v18, v27
	v_cndmask_b32_e64 v18, 0, v18, s3
	v_cmp_nlt_f32_e64 s3, 0x42b17218, v3
	s_delay_alu instid0(VALU_DEP_1) | instskip(NEXT) | instid1(VALU_DEP_1)
	v_cndmask_b32_e64 v3, 0x7f800000, v18, s3
	v_cndmask_b32_e64 v18, 0, v3, s2
	v_sub_f32_e32 v3, v11, v35
	s_delay_alu instid0(VALU_DEP_1) | instskip(SKIP_1) | instid1(VALU_DEP_2)
	v_mul_f32_e32 v11, 0x3fb8aa3b, v3
	v_cmp_ngt_f32_e64 s3, 0xc2ce8ed0, v3
	v_fma_f32 v27, 0x3fb8aa3b, v3, -v11
	v_rndne_f32_e32 v54, v11
	s_delay_alu instid0(VALU_DEP_2) | instskip(NEXT) | instid1(VALU_DEP_2)
	v_fmac_f32_e32 v27, 0x32a5705f, v3
	v_sub_f32_e32 v11, v11, v54
	s_delay_alu instid0(VALU_DEP_1) | instskip(SKIP_1) | instid1(VALU_DEP_2)
	v_add_f32_e32 v11, v11, v27
	v_cvt_i32_f32_e32 v27, v54
	v_exp_f32_e32 v11, v11
	v_nop
	s_delay_alu instid0(TRANS32_DEP_1) | instskip(NEXT) | instid1(VALU_DEP_1)
	v_ldexp_f32 v11, v11, v27
	v_cndmask_b32_e64 v11, 0, v11, s3
	v_cmp_nlt_f32_e64 s3, 0x42b17218, v3
	s_delay_alu instid0(VALU_DEP_1) | instskip(SKIP_2) | instid1(VALU_DEP_2)
	v_cndmask_b32_e64 v3, 0x7f800000, v11, s3
	v_mul_f32_e32 v11, 0x3fb8aa3b, v53
	v_cmp_ngt_f32_e64 s3, 0xc2ce8ed0, v53
	v_fma_f32 v54, 0x3fb8aa3b, v53, -v11
	v_rndne_f32_e32 v55, v11
	s_delay_alu instid0(VALU_DEP_1) | instskip(NEXT) | instid1(VALU_DEP_1)
	v_dual_fmac_f32 v54, 0x32a5705f, v53 :: v_dual_sub_f32 v11, v11, v55
	v_dual_cndmask_b32 v27, 0, v3, vcc_lo :: v_dual_add_f32 v11, v11, v54
	v_cvt_i32_f32_e32 v54, v55
	s_delay_alu instid0(VALU_DEP_2) | instskip(NEXT) | instid1(VALU_DEP_3)
	v_add_f32_e32 v3, v18, v27
	v_exp_f32_e32 v11, v11
	v_nop
	s_delay_alu instid0(TRANS32_DEP_1) | instskip(NEXT) | instid1(VALU_DEP_1)
	v_ldexp_f32 v11, v11, v54
	v_cndmask_b32_e64 v11, 0, v11, s3
	v_cmp_nlt_f32_e64 s3, 0x42b17218, v53
	s_delay_alu instid0(VALU_DEP_1) | instskip(SKIP_1) | instid1(VALU_DEP_2)
	v_cndmask_b32_e64 v11, 0x7f800000, v11, s3
	v_cmp_ngt_f32_e64 s3, 0xc2ce8ed0, v4
	v_fmac_f32_e32 v3, v19, v11
	v_mul_f32_e32 v19, 0x3fb8aa3b, v4
	v_cvt_f16_f32_e32 v11, v11
	s_delay_alu instid0(VALU_DEP_2) | instskip(SKIP_1) | instid1(VALU_DEP_3)
	v_fma_f32 v54, 0x3fb8aa3b, v4, -v19
	v_rndne_f32_e32 v55, v19
	v_and_b32_e32 v11, 0xffff, v11
	s_delay_alu instid0(VALU_DEP_2) | instskip(NEXT) | instid1(VALU_DEP_2)
	v_dual_fmac_f32 v54, 0x32a5705f, v4 :: v_dual_sub_f32 v19, v19, v55
	v_mul_u32_u24_e32 v11, 0x10001, v11
	s_delay_alu instid0(VALU_DEP_2) | instskip(SKIP_1) | instid1(VALU_DEP_3)
	v_add_f32_e32 v19, v19, v54
	v_cvt_i32_f32_e32 v54, v55
	v_pk_mul_f16 v53, v109, v11
	v_pk_mul_f16 v11, v110, v11
	s_delay_alu instid0(VALU_DEP_4) | instskip(SKIP_1) | instid1(TRANS32_DEP_1)
	v_exp_f32_e32 v19, v19
	v_nop
	v_ldexp_f32 v19, v19, v54
	s_delay_alu instid0(VALU_DEP_1) | instskip(SKIP_1) | instid1(VALU_DEP_1)
	v_cndmask_b32_e64 v19, 0, v19, s3
	v_cmp_nlt_f32_e64 s3, 0x42b17218, v4
	v_cndmask_b32_e64 v4, 0x7f800000, v19, s3
	s_delay_alu instid0(VALU_DEP_1) | instskip(SKIP_1) | instid1(VALU_DEP_1)
	v_cndmask_b32_e64 v19, 0, v4, s2
	v_sub_f32_e32 v4, v12, v36
	v_mul_f32_e32 v12, 0x3fb8aa3b, v4
	v_cmp_ngt_f32_e64 s3, 0xc2ce8ed0, v4
	s_delay_alu instid0(VALU_DEP_2) | instskip(SKIP_1) | instid1(VALU_DEP_2)
	v_fma_f32 v54, 0x3fb8aa3b, v4, -v12
	v_rndne_f32_e32 v55, v12
	v_fmac_f32_e32 v54, 0x32a5705f, v4
	s_delay_alu instid0(VALU_DEP_2) | instskip(NEXT) | instid1(VALU_DEP_1)
	v_sub_f32_e32 v12, v12, v55
	v_add_f32_e32 v12, v12, v54
	v_cvt_i32_f32_e32 v54, v55
	s_delay_alu instid0(VALU_DEP_2) | instskip(SKIP_1) | instid1(TRANS32_DEP_1)
	v_exp_f32_e32 v12, v12
	v_nop
	v_ldexp_f32 v12, v12, v54
	v_mul_f32_e32 v54, 0x3fb8aa3b, v28
	s_delay_alu instid0(VALU_DEP_1) | instskip(SKIP_1) | instid1(VALU_DEP_4)
	v_fma_f32 v55, 0x3fb8aa3b, v28, -v54
	v_rndne_f32_e32 v57, v54
	v_cndmask_b32_e64 v12, 0, v12, s3
	v_cmp_nlt_f32_e64 s3, 0x42b17218, v4
	s_delay_alu instid0(VALU_DEP_3) | instskip(NEXT) | instid1(VALU_DEP_2)
	v_dual_fmac_f32 v55, 0x32a5705f, v28 :: v_dual_sub_f32 v54, v54, v57
	v_cndmask_b32_e64 v4, 0x7f800000, v12, s3
	v_cmp_ngt_f32_e64 s3, 0xc2ce8ed0, v28
	s_delay_alu instid0(VALU_DEP_3) | instskip(SKIP_1) | instid1(VALU_DEP_4)
	v_add_f32_e32 v54, v54, v55
	v_cvt_i32_f32_e32 v55, v57
	v_cndmask_b32_e32 v12, 0, v4, vcc_lo
	s_delay_alu instid0(VALU_DEP_3) | instskip(SKIP_1) | instid1(TRANS32_DEP_1)
	v_exp_f32_e32 v54, v54
	v_nop
	v_ldexp_f32 v54, v54, v55
	s_delay_alu instid0(VALU_DEP_1) | instskip(SKIP_1) | instid1(VALU_DEP_1)
	v_dual_add_f32 v4, v19, v12 :: v_dual_cndmask_b32 v54, 0, v54, s3
	v_cmp_nlt_f32_e64 s3, 0x42b17218, v28
	v_cndmask_b32_e64 v28, 0x7f800000, v54, s3
	v_cmp_ngt_f32_e64 s3, 0xc2ce8ed0, v5
	s_delay_alu instid0(VALU_DEP_2) | instskip(SKIP_2) | instid1(VALU_DEP_2)
	v_fmac_f32_e32 v4, v20, v28
	v_cvt_f16_f32_e32 v20, v28
	v_mul_f32_e32 v28, 0x3fb8aa3b, v5
	v_and_b32_e32 v20, 0xffff, v20
	s_delay_alu instid0(VALU_DEP_2) | instskip(NEXT) | instid1(VALU_DEP_2)
	v_rndne_f32_e32 v57, v28
	v_mul_u32_u24_e32 v20, 0x10001, v20
	s_delay_alu instid0(VALU_DEP_1) | instskip(SKIP_4) | instid1(VALU_DEP_2)
	v_pk_mul_f16 v55, v107, v20
	v_pk_mul_f16 v54, v108, v20
	v_sub_f32_e32 v20, v29, v37
	v_fma_f32 v29, 0x3fb8aa3b, v5, -v28
	v_sub_f32_e32 v28, v28, v57
	v_fmac_f32_e32 v29, 0x32a5705f, v5
	s_delay_alu instid0(VALU_DEP_1) | instskip(SKIP_1) | instid1(VALU_DEP_2)
	v_add_f32_e32 v28, v28, v29
	v_cvt_i32_f32_e32 v29, v57
	v_exp_f32_e32 v28, v28
	v_nop
	s_delay_alu instid0(TRANS32_DEP_1) | instskip(NEXT) | instid1(VALU_DEP_1)
	v_ldexp_f32 v28, v28, v29
	v_cndmask_b32_e64 v28, 0, v28, s3
	v_cmp_nlt_f32_e64 s3, 0x42b17218, v5
	s_delay_alu instid0(VALU_DEP_1) | instskip(NEXT) | instid1(VALU_DEP_1)
	v_cndmask_b32_e64 v5, 0x7f800000, v28, s3
	v_cndmask_b32_e64 v28, 0, v5, s2
	v_sub_f32_e32 v5, v13, v37
	s_delay_alu instid0(VALU_DEP_1) | instskip(SKIP_1) | instid1(VALU_DEP_2)
	v_mul_f32_e32 v13, 0x3fb8aa3b, v5
	v_cmp_ngt_f32_e64 s3, 0xc2ce8ed0, v5
	v_fma_f32 v29, 0x3fb8aa3b, v5, -v13
	v_rndne_f32_e32 v57, v13
	s_delay_alu instid0(VALU_DEP_2) | instskip(NEXT) | instid1(VALU_DEP_2)
	v_fmac_f32_e32 v29, 0x32a5705f, v5
	v_sub_f32_e32 v13, v13, v57
	s_delay_alu instid0(VALU_DEP_1) | instskip(SKIP_1) | instid1(VALU_DEP_2)
	v_add_f32_e32 v13, v13, v29
	v_cvt_i32_f32_e32 v29, v57
	v_exp_f32_e32 v13, v13
	v_nop
	s_delay_alu instid0(TRANS32_DEP_1) | instskip(SKIP_1) | instid1(VALU_DEP_1)
	v_ldexp_f32 v13, v13, v29
	v_mul_f32_e32 v29, 0x3fb8aa3b, v20
	v_fma_f32 v57, 0x3fb8aa3b, v20, -v29
	v_rndne_f32_e32 v58, v29
	s_delay_alu instid0(VALU_DEP_4) | instskip(SKIP_1) | instid1(VALU_DEP_4)
	v_cndmask_b32_e64 v13, 0, v13, s3
	v_cmp_nlt_f32_e64 s3, 0x42b17218, v5
	v_fmac_f32_e32 v57, 0x32a5705f, v20
	s_delay_alu instid0(VALU_DEP_4) | instskip(NEXT) | instid1(VALU_DEP_3)
	v_sub_f32_e32 v29, v29, v58
	v_cndmask_b32_e64 v5, 0x7f800000, v13, s3
	v_cmp_ngt_f32_e64 s3, 0xc2ce8ed0, v20
	s_delay_alu instid0(VALU_DEP_3) | instskip(SKIP_1) | instid1(VALU_DEP_4)
	v_add_f32_e32 v29, v29, v57
	v_cvt_i32_f32_e32 v57, v58
	v_cndmask_b32_e32 v13, 0, v5, vcc_lo
	s_delay_alu instid0(VALU_DEP_3) | instskip(NEXT) | instid1(VALU_DEP_1)
	v_exp_f32_e32 v29, v29
	v_add_f32_e32 v5, v28, v13
	s_delay_alu instid0(TRANS32_DEP_1) | instskip(NEXT) | instid1(VALU_DEP_1)
	v_ldexp_f32 v29, v29, v57
	v_cndmask_b32_e64 v29, 0, v29, s3
	v_cmp_nlt_f32_e64 s3, 0x42b17218, v20
	s_delay_alu instid0(VALU_DEP_1) | instskip(SKIP_1) | instid1(VALU_DEP_2)
	v_cndmask_b32_e64 v20, 0x7f800000, v29, s3
	v_cmp_ngt_f32_e64 s3, 0xc2ce8ed0, v6
	v_fmac_f32_e32 v5, v21, v20
	v_cvt_f16_f32_e32 v20, v20
	v_mul_f32_e32 v21, 0x3fb8aa3b, v6
	s_delay_alu instid0(VALU_DEP_2) | instskip(NEXT) | instid1(VALU_DEP_2)
	v_and_b32_e32 v20, 0xffff, v20
	v_fma_f32 v29, 0x3fb8aa3b, v6, -v21
	s_delay_alu instid0(VALU_DEP_2) | instskip(NEXT) | instid1(VALU_DEP_2)
	v_mul_u32_u24_e32 v20, 0x10001, v20
	v_fmac_f32_e32 v29, 0x32a5705f, v6
	s_delay_alu instid0(VALU_DEP_2) | instskip(SKIP_3) | instid1(VALU_DEP_1)
	v_pk_mul_f16 v58, v105, v20
	v_pk_mul_f16 v57, v106, v20
	v_sub_f32_e32 v20, v30, v38
	v_rndne_f32_e32 v30, v21
	v_sub_f32_e32 v21, v21, v30
	s_delay_alu instid0(VALU_DEP_1) | instskip(SKIP_1) | instid1(VALU_DEP_2)
	v_add_f32_e32 v21, v21, v29
	v_cvt_i32_f32_e32 v29, v30
	v_exp_f32_e32 v21, v21
	v_nop
	s_delay_alu instid0(TRANS32_DEP_1) | instskip(NEXT) | instid1(VALU_DEP_1)
	v_ldexp_f32 v21, v21, v29
	v_cndmask_b32_e64 v21, 0, v21, s3
	v_cmp_nlt_f32_e64 s3, 0x42b17218, v6
	s_delay_alu instid0(VALU_DEP_1) | instskip(NEXT) | instid1(VALU_DEP_1)
	v_cndmask_b32_e64 v6, 0x7f800000, v21, s3
	v_cndmask_b32_e64 v21, 0, v6, s2
	v_sub_f32_e32 v6, v14, v38
	s_delay_alu instid0(VALU_DEP_1) | instskip(SKIP_1) | instid1(VALU_DEP_2)
	v_mul_f32_e32 v14, 0x3fb8aa3b, v6
	v_cmp_ngt_f32_e64 s3, 0xc2ce8ed0, v6
	v_fma_f32 v29, 0x3fb8aa3b, v6, -v14
	v_rndne_f32_e32 v30, v14
	s_delay_alu instid0(VALU_DEP_2) | instskip(NEXT) | instid1(VALU_DEP_2)
	v_fmac_f32_e32 v29, 0x32a5705f, v6
	v_sub_f32_e32 v14, v14, v30
	s_delay_alu instid0(VALU_DEP_1) | instskip(SKIP_1) | instid1(VALU_DEP_2)
	v_add_f32_e32 v14, v14, v29
	v_cvt_i32_f32_e32 v29, v30
	v_exp_f32_e32 v14, v14
	v_nop
	s_delay_alu instid0(TRANS32_DEP_1) | instskip(SKIP_1) | instid1(VALU_DEP_2)
	v_ldexp_f32 v14, v14, v29
	v_mul_f32_e32 v29, 0x3fb8aa3b, v20
	v_cndmask_b32_e64 v14, 0, v14, s3
	v_cmp_nlt_f32_e64 s3, 0x42b17218, v6
	s_delay_alu instid0(VALU_DEP_3) | instskip(SKIP_1) | instid1(VALU_DEP_3)
	v_fma_f32 v30, 0x3fb8aa3b, v20, -v29
	v_rndne_f32_e32 v59, v29
	v_cndmask_b32_e64 v6, 0x7f800000, v14, s3
	s_delay_alu instid0(VALU_DEP_2) | instskip(SKIP_1) | instid1(VALU_DEP_3)
	v_dual_fmac_f32 v30, 0x32a5705f, v20 :: v_dual_sub_f32 v29, v29, v59
	v_cmp_ngt_f32_e64 s3, 0xc2ce8ed0, v20
	v_cndmask_b32_e32 v14, 0, v6, vcc_lo
	s_delay_alu instid0(VALU_DEP_1) | instskip(NEXT) | instid1(VALU_DEP_4)
	v_add_f32_e32 v6, v21, v14
	v_add_f32_e32 v29, v29, v30
	v_cvt_i32_f32_e32 v30, v59
	s_delay_alu instid0(VALU_DEP_2) | instskip(SKIP_1) | instid1(TRANS32_DEP_1)
	v_exp_f32_e32 v29, v29
	v_nop
	v_ldexp_f32 v29, v29, v30
	s_delay_alu instid0(VALU_DEP_1) | instskip(SKIP_1) | instid1(VALU_DEP_1)
	v_cndmask_b32_e64 v29, 0, v29, s3
	v_cmp_nlt_f32_e64 s3, 0x42b17218, v20
	v_cndmask_b32_e64 v20, 0x7f800000, v29, s3
	s_delay_alu instid0(VALU_DEP_1) | instskip(SKIP_2) | instid1(VALU_DEP_2)
	v_fmac_f32_e32 v6, v22, v20
	v_cvt_f16_f32_e32 v20, v20
	v_mul_f32_e32 v22, 0x3fb8aa3b, v7
	v_and_b32_e32 v20, 0xffff, v20
	s_delay_alu instid0(VALU_DEP_2) | instskip(SKIP_1) | instid1(VALU_DEP_3)
	v_fma_f32 v29, 0x3fb8aa3b, v7, -v22
	v_rndne_f32_e32 v30, v22
	v_mul_u32_u24_e32 v20, 0x10001, v20
	s_delay_alu instid0(VALU_DEP_2) | instskip(SKIP_1) | instid1(VALU_DEP_3)
	v_sub_f32_e32 v22, v22, v30
	v_cmp_ngt_f32_e64 s3, 0xc2ce8ed0, v7
	v_pk_mul_f16 v59, v103, v20
	v_pk_mul_f16 v68, v104, v20
	v_sub_f32_e32 v20, v31, v39
	v_fmac_f32_e32 v29, 0x32a5705f, v7
	s_delay_alu instid0(VALU_DEP_1) | instskip(SKIP_1) | instid1(VALU_DEP_2)
	v_add_f32_e32 v22, v22, v29
	v_cvt_i32_f32_e32 v29, v30
	v_exp_f32_e32 v22, v22
	v_nop
	s_delay_alu instid0(TRANS32_DEP_1) | instskip(NEXT) | instid1(VALU_DEP_1)
	v_ldexp_f32 v22, v22, v29
	v_cndmask_b32_e64 v22, 0, v22, s3
	v_cmp_nlt_f32_e64 s3, 0x42b17218, v7
	s_delay_alu instid0(VALU_DEP_1) | instskip(NEXT) | instid1(VALU_DEP_1)
	v_cndmask_b32_e64 v7, 0x7f800000, v22, s3
	v_cndmask_b32_e64 v22, 0, v7, s2
	v_sub_f32_e32 v7, v15, v39
	s_delay_alu instid0(VALU_DEP_1) | instskip(SKIP_1) | instid1(VALU_DEP_2)
	v_mul_f32_e32 v15, 0x3fb8aa3b, v7
	v_cmp_ngt_f32_e64 s2, 0xc2ce8ed0, v7
	v_fma_f32 v29, 0x3fb8aa3b, v7, -v15
	v_rndne_f32_e32 v30, v15
	s_delay_alu instid0(VALU_DEP_2) | instskip(NEXT) | instid1(VALU_DEP_2)
	v_fmac_f32_e32 v29, 0x32a5705f, v7
	v_sub_f32_e32 v15, v15, v30
	v_cvt_pk_f16_f32 v21, v21, v22
	s_delay_alu instid0(VALU_DEP_2) | instskip(SKIP_1) | instid1(VALU_DEP_2)
	v_add_f32_e32 v15, v15, v29
	v_cvt_i32_f32_e32 v29, v30
	v_exp_f32_e32 v15, v15
	v_nop
	s_delay_alu instid0(TRANS32_DEP_1) | instskip(SKIP_1) | instid1(VALU_DEP_1)
	v_ldexp_f32 v15, v15, v29
	v_mul_f32_e32 v29, 0x3fb8aa3b, v20
	v_fma_f32 v30, 0x3fb8aa3b, v20, -v29
	v_rndne_f32_e32 v31, v29
	s_delay_alu instid0(VALU_DEP_1) | instskip(SKIP_2) | instid1(VALU_DEP_3)
	v_dual_fmac_f32 v30, 0x32a5705f, v20 :: v_dual_sub_f32 v29, v29, v31
	v_cndmask_b32_e64 v15, 0, v15, s2
	v_cmp_nlt_f32_e64 s2, 0x42b17218, v7
	v_add_f32_e32 v29, v29, v30
	v_cvt_i32_f32_e32 v30, v31
	s_delay_alu instid0(VALU_DEP_3) | instskip(SKIP_1) | instid1(VALU_DEP_3)
	v_cndmask_b32_e64 v7, 0x7f800000, v15, s2
	s_mul_u64 s[2:3], s[14:15], s[10:11]
	v_exp_f32_e32 v29, v29
	s_lshl_b64 s[2:3], s[2:3], 2
	s_delay_alu instid0(SALU_CYCLE_1) | instskip(SKIP_1) | instid1(TRANS32_DEP_1)
	s_add_nc_u64 s[2:3], s[8:9], s[2:3]
	v_nop
	v_ldexp_f32 v29, v29, v30
	v_cndmask_b32_e32 v15, 0, v7, vcc_lo
	v_cmp_ngt_f32_e32 vcc_lo, 0xc2ce8ed0, v20
	v_lshl_add_u32 v30, v98, 1, v99
	s_delay_alu instid0(VALU_DEP_4)
	v_cndmask_b32_e32 v29, 0, v29, vcc_lo
	v_cmp_nlt_f32_e32 vcc_lo, 0x42b17218, v20
	v_add_f32_e32 v7, v22, v15
	v_cvt_pk_f16_f32 v15, v14, v15
	v_cvt_pk_f16_f32 v14, v12, v13
	;; [unrolled: 1-line block ×3, first 2 shown]
	v_cndmask_b32_e32 v20, 0x7f800000, v29, vcc_lo
	v_cvt_pk_f16_f32 v12, v52, v25
	v_cmp_gt_i32_e32 vcc_lo, s7, v30
	v_add_nc_u32_e32 v25, 0x4000, v97
	s_delay_alu instid0(VALU_DEP_4) | instskip(SKIP_2) | instid1(VALU_DEP_2)
	v_fmac_f32_e32 v7, v23, v20
	v_cvt_f16_f32_e32 v20, v20
	v_add_nc_u32_e32 v23, 0x6400, v40
	v_and_b32_e32 v20, 0xffff, v20
	s_delay_alu instid0(VALU_DEP_2) | instskip(NEXT) | instid1(VALU_DEP_2)
	v_lshl_add_u32 v29, v48, 4, v23
	v_mul_u32_u24_e32 v20, 0x10001, v20
	s_delay_alu instid0(VALU_DEP_1)
	v_pk_mul_f16 v31, v101, v20
	v_pk_mul_f16 v102, v102, v20
	v_cvt_pk_f16_f32 v20, v19, v28
	v_cvt_pk_f16_f32 v19, v17, v18
	;; [unrolled: 1-line block ×3, first 2 shown]
	v_lshl_add_u32 v16, v64, 4, v23
	ds_store_b128 v29, v[18:21]
	ds_store_b128 v16, v[12:15]
	v_mul_lo_u32 v20, s10, v30
	v_mbcnt_lo_u32_b32 v12, -1, 0
	v_dual_mov_b32 v19, 0 :: v_dual_lshlrev_b32 v18, 2, v50
	s_delay_alu instid0(VALU_DEP_2) | instskip(SKIP_1) | instid1(VALU_DEP_3)
	v_dual_add_nc_u32 v29, 16, v30 :: v_dual_lshlrev_b32 v13, 20, v12
	v_mov_b32_e32 v12, 0
	v_lshl_or_b32 v28, v30, 8, v18
	s_delay_alu instid0(VALU_DEP_3) | instskip(SKIP_4) | instid1(VALU_DEP_4)
	v_lshl_or_b32 v27, v29, 8, v18
	v_lshl_add_u32 v66, s10, 4, v20
	v_ashrrev_i32_e32 v21, 31, v20
	v_add_nc_u64_e32 v[16:17], src_flat_scratch_base_lo, v[12:13]
	v_dual_mov_b32 v14, s6 :: v_dual_mov_b32 v13, s5
	v_ashrrev_i32_e32 v67, 31, v66
	s_delay_alu instid0(VALU_DEP_4) | instskip(NEXT) | instid1(VALU_DEP_1)
	v_lshlrev_b64_e32 v[22:23], 2, v[20:21]
	v_add_nc_u64_e32 v[20:21], s[2:3], v[22:23]
	s_delay_alu instid0(VALU_DEP_1) | instskip(SKIP_2) | instid1(VALU_DEP_2)
	v_add_nc_u64_e32 v[20:21], v[20:21], v[18:19]
	v_mov_b32_e32 v12, s4
	s_sub_co_i32 s4, s7, 32
	v_dual_cndmask_b32 v21, v17, v21 :: v_dual_cndmask_b32 v20, v16, v20
	s_clause 0x1
	scratch_store_b32 off, v19, off
	scratch_store_b96 off, v[12:14], off offset:4
	v_cmp_gt_i32_e32 vcc_lo, s7, v29
	flat_load_b128 v[60:63], v[20:21]
	s_wait_xcnt 0x0
	v_lshlrev_b64_e32 v[20:21], 2, v[66:67]
	s_wait_loadcnt_dscnt 0x0
	ds_store_b128 v28, v[60:63] offset:16384
	v_add_nc_u64_e32 v[60:61], s[2:3], v[20:21]
	s_clause 0x1
	scratch_store_b32 off, v19, off
	scratch_store_b96 off, v[12:14], off offset:4
	s_or_b32 s2, s14, 32
	s_delay_alu instid0(SALU_CYCLE_1) | instskip(NEXT) | instid1(SALU_CYCLE_1)
	s_ashr_i32 s3, s2, 31
	s_mul_u64 s[2:3], s[2:3], s[10:11]
	v_add_nc_u64_e32 v[60:61], v[60:61], v[18:19]
	s_lshl_b64 s[2:3], s[2:3], 2
	s_delay_alu instid0(SALU_CYCLE_1) | instskip(NEXT) | instid1(VALU_DEP_1)
	s_add_nc_u64 s[2:3], s[8:9], s[2:3]
	v_dual_cndmask_b32 v61, v17, v61 :: v_dual_cndmask_b32 v60, v16, v60
	v_cmp_gt_i32_e32 vcc_lo, s4, v30
	flat_load_b128 v[60:63], v[60:61]
	s_wait_loadcnt_dscnt 0x0
	ds_store_b128 v27, v[60:63] offset:16384
	s_wait_storecnt_dscnt 0x0
	s_barrier_signal -1
	s_barrier_wait -1
	s_wait_xcnt 0x0
	ds_load_2addr_b64 v[60:63], v25 offset1:32
	ds_load_b128 v[70:73], v40 offset:25600
	ds_load_b128 v[74:77], v40 offset:25616
	;; [unrolled: 1-line block ×4, first 2 shown]
	s_wait_dscnt 0x3
	v_dual_lshrrev_b32 v15, 16, v70 :: v_dual_lshrrev_b32 v49, 16, v71
	v_dual_lshrrev_b32 v50, 16, v72 :: v_dual_lshrrev_b32 v52, 16, v73
	v_and_b32_e32 v56, 0xffff, v70
	v_and_b32_e32 v64, 0xffff, v71
	;; [unrolled: 1-line block ×4, first 2 shown]
	v_mul_u32_u24_e32 v15, 0x10001, v15
	v_mul_u32_u24_e32 v56, 0x10001, v56
	v_mul_u32_u24_e32 v64, 0x10001, v64
	v_mul_u32_u24_e32 v49, 0x10001, v49
	v_mul_u32_u24_e32 v66, 0x10001, v66
	v_mul_u32_u24_e32 v50, 0x10001, v50
	v_mul_u32_u24_e32 v67, 0x10001, v67
	v_mul_u32_u24_e32 v52, 0x10001, v52
	v_pk_fma_f16 v24, v60, v56, v24
	v_pk_fma_f16 v41, v60, v15, v41
	;; [unrolled: 1-line block ×16, first 2 shown]
	s_wait_dscnt 0x2
	v_dual_lshrrev_b32 v54, 16, v74 :: v_dual_lshrrev_b32 v56, 16, v75
	v_dual_lshrrev_b32 v57, 16, v76 :: v_dual_lshrrev_b32 v60, 16, v77
	v_and_b32_e32 v61, 0xffff, v74
	v_and_b32_e32 v64, 0xffff, v75
	;; [unrolled: 1-line block ×4, first 2 shown]
	v_mul_u32_u24_e32 v54, 0x10001, v54
	v_mul_u32_u24_e32 v61, 0x10001, v61
	;; [unrolled: 1-line block ×8, first 2 shown]
	v_pk_fma_f16 v24, v62, v61, v24
	v_pk_fma_f16 v41, v62, v54, v41
	;; [unrolled: 1-line block ×12, first 2 shown]
	ds_load_2addr_b64 v[8:11], v25 offset0:64 offset1:96
	v_pk_fma_f16 v15, v63, v66, v15
	v_pk_fma_f16 v49, v63, v57, v49
	;; [unrolled: 1-line block ×4, first 2 shown]
	s_wait_dscnt 0x2
	v_dual_lshrrev_b32 v57, 16, v78 :: v_dual_lshrrev_b32 v60, 16, v79
	v_dual_lshrrev_b32 v63, 16, v80 :: v_dual_lshrrev_b32 v64, 16, v81
	v_and_b32_e32 v66, 0xffff, v78
	v_and_b32_e32 v67, 0xffff, v79
	;; [unrolled: 1-line block ×4, first 2 shown]
	v_mul_u32_u24_e32 v57, 0x10001, v57
	v_mul_u32_u24_e32 v66, 0x10001, v66
	;; [unrolled: 1-line block ×8, first 2 shown]
	s_wait_dscnt 0x0
	v_pk_fma_f16 v24, v8, v66, v24
	v_pk_fma_f16 v41, v8, v57, v41
	;; [unrolled: 1-line block ×16, first 2 shown]
	v_dual_lshrrev_b32 v52, 16, v98 :: v_dual_lshrrev_b32 v60, 16, v99
	v_dual_lshrrev_b32 v61, 16, v100 :: v_dual_lshrrev_b32 v62, 16, v101
	v_and_b32_e32 v63, 0xffff, v98
	v_and_b32_e32 v64, 0xffff, v99
	;; [unrolled: 1-line block ×4, first 2 shown]
	v_mul_u32_u24_e32 v52, 0x10001, v52
	v_mul_u32_u24_e32 v63, 0x10001, v63
	;; [unrolled: 1-line block ×8, first 2 shown]
	v_pk_fma_f16 v24, v10, v63, v24
	v_pk_fma_f16 v41, v10, v52, v41
	;; [unrolled: 1-line block ×16, first 2 shown]
	ds_load_2addr_b64 v[8:11], v25 offset0:128 offset1:160
	ds_load_b128 v[52:55], v40 offset:25664
	s_wait_dscnt 0x0
	v_dual_lshrrev_b32 v61, 16, v52 :: v_dual_lshrrev_b32 v62, 16, v53
	v_dual_lshrrev_b32 v64, 16, v54 :: v_dual_lshrrev_b32 v66, 16, v55
	v_and_b32_e32 v52, 0xffff, v52
	v_and_b32_e32 v53, 0xffff, v53
	;; [unrolled: 1-line block ×4, first 2 shown]
	v_mul_u32_u24_e32 v62, 0x10001, v62
	v_mul_u32_u24_e32 v52, 0x10001, v52
	;; [unrolled: 1-line block ×5, first 2 shown]
	v_pk_fma_f16 v67, v8, v62, v68
	v_pk_fma_f16 v24, v8, v52, v24
	;; [unrolled: 1-line block ×9, first 2 shown]
	ds_load_b128 v[52:55], v40 offset:25680
	v_mul_u32_u24_e32 v61, 0x10001, v61
	v_mul_u32_u24_e32 v64, 0x10001, v64
	;; [unrolled: 1-line block ×3, first 2 shown]
	v_pk_fma_f16 v56, v9, v62, v56
	s_delay_alu instid0(VALU_DEP_4) | instskip(NEXT) | instid1(VALU_DEP_4)
	v_pk_fma_f16 v41, v8, v61, v41
	v_pk_fma_f16 v58, v8, v64, v58
	;; [unrolled: 1-line block ×6, first 2 shown]
	s_wait_dscnt 0x0
	v_dual_lshrrev_b32 v60, 16, v52 :: v_dual_lshrrev_b32 v62, 16, v53
	v_dual_lshrrev_b32 v63, 16, v54 :: v_dual_lshrrev_b32 v64, 16, v55
	v_and_b32_e32 v52, 0xffff, v52
	v_and_b32_e32 v53, 0xffff, v53
	;; [unrolled: 1-line block ×4, first 2 shown]
	v_mul_u32_u24_e32 v60, 0x10001, v60
	v_mul_u32_u24_e32 v52, 0x10001, v52
	;; [unrolled: 1-line block ×8, first 2 shown]
	v_pk_fma_f16 v24, v10, v52, v24
	v_pk_fma_f16 v41, v10, v60, v41
	;; [unrolled: 1-line block ×16, first 2 shown]
	ds_load_2addr_b64 v[8:11], v25 offset0:192 offset1:224
	ds_load_b128 v[52:55], v40 offset:25696
	s_wait_dscnt 0x0
	v_dual_lshrrev_b32 v62, 16, v52 :: v_dual_lshrrev_b32 v63, 16, v53
	v_dual_lshrrev_b32 v64, 16, v54 :: v_dual_lshrrev_b32 v70, 16, v55
	v_and_b32_e32 v52, 0xffff, v52
	v_and_b32_e32 v53, 0xffff, v53
	;; [unrolled: 1-line block ×4, first 2 shown]
	v_mul_u32_u24_e32 v62, 0x10001, v62
	v_mul_u32_u24_e32 v52, 0x10001, v52
	;; [unrolled: 1-line block ×8, first 2 shown]
	v_pk_fma_f16 v24, v8, v52, v24
	v_pk_fma_f16 v41, v8, v62, v41
	;; [unrolled: 1-line block ×15, first 2 shown]
	ds_load_b128 v[52:55], v40 offset:25712
	v_pk_fma_f16 v9, v9, v70, v61
	s_wait_dscnt 0x0
	v_dual_lshrrev_b32 v26, 16, v52 :: v_dual_lshrrev_b32 v31, 16, v53
	v_dual_lshrrev_b32 v49, 16, v54 :: v_dual_lshrrev_b32 v50, 16, v55
	v_and_b32_e32 v52, 0xffff, v52
	s_delay_alu instid0(VALU_DEP_3) | instskip(SKIP_1) | instid1(VALU_DEP_4)
	v_mul_u32_u24_e32 v61, 0x10001, v26
	v_and_b32_e32 v26, 0xffff, v53
	v_mul_u32_u24_e32 v74, 0x10001, v49
	v_mul_u32_u24_e32 v72, 0x10001, v31
	;; [unrolled: 1-line block ×5, first 2 shown]
	v_and_b32_e32 v26, 0xffff, v54
	v_pk_fma_f16 v50, v10, v74, v58
	v_pk_fma_f16 v24, v10, v56, v24
	;; [unrolled: 1-line block ×4, first 2 shown]
	v_mul_u32_u24_e32 v73, 0x10001, v26
	v_and_b32_e32 v26, 0xffff, v55
	v_pk_fma_f16 v54, v11, v56, v68
	v_pk_fma_f16 v55, v11, v61, v60
	;; [unrolled: 1-line block ×4, first 2 shown]
	v_mul_u32_u24_e32 v75, 0x10001, v26
	v_add_nc_u32_e32 v15, 0x4800, v97
	v_pk_fma_f16 v26, v10, v61, v41
	v_pk_fma_f16 v41, v10, v72, v66
	;; [unrolled: 1-line block ×8, first 2 shown]
	ds_load_2addr_b64 v[8:11], v15 offset1:32
	ds_load_b128 v[70:73], v40 offset:25728
	s_wait_dscnt 0x0
	v_dual_lshrrev_b32 v62, 16, v70 :: v_dual_lshrrev_b32 v63, 16, v71
	v_dual_lshrrev_b32 v64, 16, v72 :: v_dual_lshrrev_b32 v66, 16, v73
	v_and_b32_e32 v67, 0xffff, v70
	v_and_b32_e32 v68, 0xffff, v71
	;; [unrolled: 1-line block ×4, first 2 shown]
	v_mul_u32_u24_e32 v62, 0x10001, v62
	v_mul_u32_u24_e32 v67, 0x10001, v67
	;; [unrolled: 1-line block ×8, first 2 shown]
	v_pk_fma_f16 v24, v8, v67, v24
	v_pk_fma_f16 v26, v8, v62, v26
	v_pk_fma_f16 v31, v8, v68, v31
	v_pk_fma_f16 v41, v8, v63, v41
	v_pk_fma_f16 v49, v8, v70, v49
	v_pk_fma_f16 v50, v8, v64, v50
	v_pk_fma_f16 v72, v8, v71, v52
	v_pk_fma_f16 v8, v8, v66, v53
	v_pk_fma_f16 v67, v9, v67, v54
	v_pk_fma_f16 v62, v9, v62, v55
	ds_load_b128 v[52:55], v40 offset:25744
	v_pk_fma_f16 v56, v9, v68, v56
	v_pk_fma_f16 v57, v9, v63, v57
	;; [unrolled: 1-line block ×6, first 2 shown]
	s_wait_dscnt 0x0
	v_dual_lshrrev_b32 v61, 16, v52 :: v_dual_lshrrev_b32 v63, 16, v53
	v_dual_lshrrev_b32 v64, 16, v54 :: v_dual_lshrrev_b32 v66, 16, v55
	v_and_b32_e32 v52, 0xffff, v52
	v_and_b32_e32 v53, 0xffff, v53
	;; [unrolled: 1-line block ×4, first 2 shown]
	v_mul_u32_u24_e32 v61, 0x10001, v61
	v_mul_u32_u24_e32 v52, 0x10001, v52
	;; [unrolled: 1-line block ×8, first 2 shown]
	v_pk_fma_f16 v24, v10, v52, v24
	v_pk_fma_f16 v26, v10, v61, v26
	;; [unrolled: 1-line block ×16, first 2 shown]
	ds_load_2addr_b64 v[8:11], v15 offset0:64 offset1:96
	ds_load_b128 v[52:55], v40 offset:25760
	s_wait_dscnt 0x0
	v_dual_lshrrev_b32 v63, 16, v52 :: v_dual_lshrrev_b32 v64, 16, v53
	v_dual_lshrrev_b32 v66, 16, v54 :: v_dual_lshrrev_b32 v71, 16, v55
	v_and_b32_e32 v52, 0xffff, v52
	v_and_b32_e32 v53, 0xffff, v53
	;; [unrolled: 1-line block ×4, first 2 shown]
	v_mul_u32_u24_e32 v63, 0x10001, v63
	v_mul_u32_u24_e32 v52, 0x10001, v52
	;; [unrolled: 1-line block ×6, first 2 shown]
	v_pk_fma_f16 v24, v8, v52, v24
	v_pk_fma_f16 v31, v8, v53, v31
	;; [unrolled: 1-line block ×8, first 2 shown]
	ds_load_b128 v[52:55], v40 offset:25776
	v_mul_u32_u24_e32 v66, 0x10001, v66
	v_mul_u32_u24_e32 v71, 0x10001, v71
	v_pk_fma_f16 v26, v8, v63, v26
	v_pk_fma_f16 v41, v8, v64, v41
	;; [unrolled: 1-line block ×8, first 2 shown]
	s_wait_dscnt 0x0
	v_dual_lshrrev_b32 v62, 16, v52 :: v_dual_lshrrev_b32 v63, 16, v53
	v_dual_lshrrev_b32 v64, 16, v54 :: v_dual_lshrrev_b32 v66, 16, v55
	v_and_b32_e32 v52, 0xffff, v52
	v_and_b32_e32 v53, 0xffff, v53
	;; [unrolled: 1-line block ×4, first 2 shown]
	v_mul_u32_u24_e32 v62, 0x10001, v62
	v_mul_u32_u24_e32 v52, 0x10001, v52
	;; [unrolled: 1-line block ×8, first 2 shown]
	v_pk_fma_f16 v24, v10, v52, v24
	v_pk_fma_f16 v26, v10, v62, v26
	;; [unrolled: 1-line block ×16, first 2 shown]
	ds_load_2addr_b64 v[8:11], v15 offset0:128 offset1:160
	ds_load_b128 v[52:55], v40 offset:25792
	s_wait_dscnt 0x0
	v_dual_lshrrev_b32 v63, 16, v52 :: v_dual_lshrrev_b32 v64, 16, v53
	v_and_b32_e32 v52, 0xffff, v52
	v_dual_lshrrev_b32 v66, 16, v54 :: v_dual_lshrrev_b32 v71, 16, v55
	s_delay_alu instid0(VALU_DEP_3) | instskip(NEXT) | instid1(VALU_DEP_4)
	v_mul_u32_u24_e32 v63, 0x10001, v63
	v_mul_u32_u24_e32 v64, 0x10001, v64
	s_delay_alu instid0(VALU_DEP_4)
	v_mul_u32_u24_e32 v72, 0x10001, v52
	v_and_b32_e32 v52, 0xffff, v53
	v_mul_u32_u24_e32 v66, 0x10001, v66
	v_mul_u32_u24_e32 v71, 0x10001, v71
	v_pk_fma_f16 v26, v8, v63, v26
	v_pk_fma_f16 v53, v9, v72, v67
	v_mul_u32_u24_e32 v73, 0x10001, v52
	v_and_b32_e32 v52, 0xffff, v54
	v_pk_fma_f16 v54, v9, v63, v61
	v_pk_fma_f16 v41, v8, v64, v41
	;; [unrolled: 1-line block ×4, first 2 shown]
	v_mul_u32_u24_e32 v74, 0x10001, v52
	v_and_b32_e32 v52, 0xffff, v55
	v_pk_fma_f16 v55, v9, v73, v56
	v_pk_fma_f16 v56, v9, v64, v57
	;; [unrolled: 1-line block ×4, first 2 shown]
	v_mul_u32_u24_e32 v75, 0x10001, v52
	v_pk_fma_f16 v58, v9, v66, v59
	v_pk_fma_f16 v49, v8, v74, v49
	s_delay_alu instid0(VALU_DEP_3)
	v_pk_fma_f16 v59, v9, v75, v60
	v_pk_fma_f16 v9, v9, v71, v62
	ds_load_b128 v[60:63], v40 offset:25808
	v_pk_fma_f16 v52, v8, v75, v68
	v_pk_fma_f16 v8, v8, v71, v70
	s_wait_dscnt 0x0
	v_dual_lshrrev_b32 v64, 16, v60 :: v_dual_lshrrev_b32 v66, 16, v61
	v_dual_lshrrev_b32 v67, 16, v62 :: v_dual_lshrrev_b32 v68, 16, v63
	v_and_b32_e32 v60, 0xffff, v60
	v_and_b32_e32 v61, 0xffff, v61
	;; [unrolled: 1-line block ×4, first 2 shown]
	v_mul_u32_u24_e32 v64, 0x10001, v64
	v_mul_u32_u24_e32 v60, 0x10001, v60
	v_mul_u32_u24_e32 v61, 0x10001, v61
	v_mul_u32_u24_e32 v66, 0x10001, v66
	v_mul_u32_u24_e32 v62, 0x10001, v62
	v_mul_u32_u24_e32 v67, 0x10001, v67
	v_mul_u32_u24_e32 v63, 0x10001, v63
	v_mul_u32_u24_e32 v68, 0x10001, v68
	v_pk_fma_f16 v24, v10, v60, v24
	v_pk_fma_f16 v26, v10, v64, v26
	;; [unrolled: 1-line block ×16, first 2 shown]
	ds_load_2addr_b64 v[8:11], v15 offset0:192 offset1:224
	ds_load_b128 v[52:55], v40 offset:25824
	s_wait_dscnt 0x0
	v_dual_lshrrev_b32 v63, 16, v52 :: v_dual_lshrrev_b32 v66, 16, v53
	v_dual_lshrrev_b32 v67, 16, v54 :: v_dual_lshrrev_b32 v68, 16, v55
	v_and_b32_e32 v52, 0xffff, v52
	v_and_b32_e32 v53, 0xffff, v53
	;; [unrolled: 1-line block ×4, first 2 shown]
	v_mul_u32_u24_e32 v63, 0x10001, v63
	v_mul_u32_u24_e32 v52, 0x10001, v52
	;; [unrolled: 1-line block ×6, first 2 shown]
	v_pk_fma_f16 v24, v8, v52, v24
	v_pk_fma_f16 v31, v8, v53, v31
	;; [unrolled: 1-line block ×8, first 2 shown]
	ds_load_b128 v[52:55], v40 offset:25840
	v_mul_u32_u24_e32 v67, 0x10001, v67
	v_mul_u32_u24_e32 v68, 0x10001, v68
	v_pk_fma_f16 v26, v8, v63, v26
	v_pk_fma_f16 v63, v9, v63, v64
	;; [unrolled: 1-line block ×8, first 2 shown]
	s_wait_dscnt 0x0
	v_dual_lshrrev_b32 v62, 16, v52 :: v_dual_lshrrev_b32 v64, 16, v53
	v_dual_lshrrev_b32 v66, 16, v54 :: v_dual_lshrrev_b32 v67, 16, v55
	v_and_b32_e32 v52, 0xffff, v52
	s_delay_alu instid0(VALU_DEP_3)
	v_mul_u32_u24_e32 v62, 0x10001, v62
	v_and_b32_e32 v53, 0xffff, v53
	v_and_b32_e32 v54, 0xffff, v54
	;; [unrolled: 1-line block ×3, first 2 shown]
	v_mul_u32_u24_e32 v52, 0x10001, v52
	v_mul_u32_u24_e32 v64, 0x10001, v64
	;; [unrolled: 1-line block ×7, first 2 shown]
	v_pk_fma_f16 v68, v10, v62, v26
	v_add_nc_u32_e32 v26, 0x5000, v97
	v_pk_fma_f16 v24, v10, v52, v24
	v_pk_fma_f16 v31, v10, v53, v31
	;; [unrolled: 1-line block ×15, first 2 shown]
	ds_load_2addr_b64 v[8:11], v26 offset1:32
	ds_load_b128 v[52:55], v40 offset:25856
	s_wait_dscnt 0x0
	v_dual_lshrrev_b32 v64, 16, v52 :: v_dual_lshrrev_b32 v66, 16, v53
	v_dual_lshrrev_b32 v67, 16, v54 :: v_dual_lshrrev_b32 v72, 16, v55
	v_and_b32_e32 v52, 0xffff, v52
	v_and_b32_e32 v53, 0xffff, v53
	;; [unrolled: 1-line block ×4, first 2 shown]
	v_mul_u32_u24_e32 v64, 0x10001, v64
	v_mul_u32_u24_e32 v52, 0x10001, v52
	;; [unrolled: 1-line block ×6, first 2 shown]
	v_pk_fma_f16 v24, v8, v52, v24
	v_pk_fma_f16 v31, v8, v53, v31
	;; [unrolled: 1-line block ×8, first 2 shown]
	ds_load_b128 v[52:55], v40 offset:25872
	v_mul_u32_u24_e32 v67, 0x10001, v67
	v_mul_u32_u24_e32 v72, 0x10001, v72
	v_pk_fma_f16 v68, v8, v64, v68
	v_pk_fma_f16 v41, v8, v66, v41
	;; [unrolled: 1-line block ×8, first 2 shown]
	s_wait_dscnt 0x0
	v_dual_lshrrev_b32 v63, 16, v52 :: v_dual_lshrrev_b32 v64, 16, v53
	v_dual_lshrrev_b32 v66, 16, v54 :: v_dual_lshrrev_b32 v67, 16, v55
	v_and_b32_e32 v52, 0xffff, v52
	v_and_b32_e32 v53, 0xffff, v53
	;; [unrolled: 1-line block ×4, first 2 shown]
	v_mul_u32_u24_e32 v63, 0x10001, v63
	v_mul_u32_u24_e32 v52, 0x10001, v52
	;; [unrolled: 1-line block ×8, first 2 shown]
	v_pk_fma_f16 v24, v10, v52, v24
	v_pk_fma_f16 v68, v10, v63, v68
	;; [unrolled: 1-line block ×16, first 2 shown]
	ds_load_2addr_b64 v[8:11], v26 offset0:64 offset1:96
	ds_load_b128 v[52:55], v40 offset:25888
	s_wait_dscnt 0x0
	v_dual_lshrrev_b32 v64, 16, v52 :: v_dual_lshrrev_b32 v66, 16, v53
	v_dual_lshrrev_b32 v67, 16, v54 :: v_dual_lshrrev_b32 v72, 16, v55
	v_and_b32_e32 v52, 0xffff, v52
	v_and_b32_e32 v53, 0xffff, v53
	;; [unrolled: 1-line block ×4, first 2 shown]
	v_mul_u32_u24_e32 v64, 0x10001, v64
	v_mul_u32_u24_e32 v52, 0x10001, v52
	;; [unrolled: 1-line block ×6, first 2 shown]
	v_pk_fma_f16 v24, v8, v52, v24
	v_pk_fma_f16 v31, v8, v53, v31
	;; [unrolled: 1-line block ×8, first 2 shown]
	ds_load_b128 v[52:55], v40 offset:25904
	v_mul_u32_u24_e32 v67, 0x10001, v67
	v_mul_u32_u24_e32 v72, 0x10001, v72
	v_pk_fma_f16 v68, v8, v64, v68
	v_pk_fma_f16 v41, v8, v66, v41
	v_pk_fma_f16 v62, v9, v64, v62
	v_pk_fma_f16 v50, v8, v67, v50
	v_pk_fma_f16 v56, v9, v66, v56
	v_pk_fma_f16 v58, v9, v67, v58
	v_pk_fma_f16 v9, v9, v72, v63
	v_pk_fma_f16 v8, v8, v72, v71
	s_wait_dscnt 0x0
	v_dual_lshrrev_b32 v63, 16, v52 :: v_dual_lshrrev_b32 v64, 16, v53
	v_dual_lshrrev_b32 v66, 16, v54 :: v_dual_lshrrev_b32 v67, 16, v55
	v_and_b32_e32 v52, 0xffff, v52
	v_and_b32_e32 v53, 0xffff, v53
	;; [unrolled: 1-line block ×4, first 2 shown]
	v_mul_u32_u24_e32 v63, 0x10001, v63
	v_mul_u32_u24_e32 v52, 0x10001, v52
	;; [unrolled: 1-line block ×8, first 2 shown]
	v_pk_fma_f16 v24, v10, v52, v24
	v_pk_fma_f16 v68, v10, v63, v68
	;; [unrolled: 1-line block ×16, first 2 shown]
	ds_load_2addr_b64 v[8:11], v26 offset0:128 offset1:160
	ds_load_b128 v[52:55], v40 offset:25920
	s_wait_dscnt 0x0
	v_dual_lshrrev_b32 v64, 16, v52 :: v_dual_lshrrev_b32 v66, 16, v53
	v_dual_lshrrev_b32 v67, 16, v54 :: v_dual_lshrrev_b32 v72, 16, v55
	v_and_b32_e32 v52, 0xffff, v52
	v_and_b32_e32 v53, 0xffff, v53
	v_and_b32_e32 v54, 0xffff, v54
	v_and_b32_e32 v55, 0xffff, v55
	v_mul_u32_u24_e32 v64, 0x10001, v64
	v_mul_u32_u24_e32 v52, 0x10001, v52
	;; [unrolled: 1-line block ×6, first 2 shown]
	v_pk_fma_f16 v24, v8, v52, v24
	v_pk_fma_f16 v31, v8, v53, v31
	;; [unrolled: 1-line block ×8, first 2 shown]
	ds_load_b128 v[52:55], v40 offset:25936
	v_mul_u32_u24_e32 v67, 0x10001, v67
	v_mul_u32_u24_e32 v72, 0x10001, v72
	v_pk_fma_f16 v68, v8, v64, v68
	v_pk_fma_f16 v41, v8, v66, v41
	;; [unrolled: 1-line block ×8, first 2 shown]
	s_wait_dscnt 0x0
	v_dual_lshrrev_b32 v63, 16, v52 :: v_dual_lshrrev_b32 v64, 16, v53
	v_dual_lshrrev_b32 v66, 16, v54 :: v_dual_lshrrev_b32 v67, 16, v55
	v_and_b32_e32 v52, 0xffff, v52
	v_and_b32_e32 v53, 0xffff, v53
	;; [unrolled: 1-line block ×4, first 2 shown]
	v_mul_u32_u24_e32 v63, 0x10001, v63
	v_mul_u32_u24_e32 v52, 0x10001, v52
	;; [unrolled: 1-line block ×8, first 2 shown]
	v_pk_fma_f16 v24, v10, v52, v24
	v_pk_fma_f16 v68, v10, v63, v68
	;; [unrolled: 1-line block ×16, first 2 shown]
	ds_load_2addr_b64 v[8:11], v26 offset0:192 offset1:224
	ds_load_b128 v[52:55], v40 offset:25952
	s_wait_dscnt 0x0
	v_dual_lshrrev_b32 v64, 16, v52 :: v_dual_lshrrev_b32 v66, 16, v53
	v_dual_lshrrev_b32 v67, 16, v54 :: v_dual_lshrrev_b32 v72, 16, v55
	v_and_b32_e32 v52, 0xffff, v52
	v_and_b32_e32 v53, 0xffff, v53
	;; [unrolled: 1-line block ×4, first 2 shown]
	v_mul_u32_u24_e32 v64, 0x10001, v64
	v_mul_u32_u24_e32 v52, 0x10001, v52
	v_mul_u32_u24_e32 v53, 0x10001, v53
	v_mul_u32_u24_e32 v54, 0x10001, v54
	v_mul_u32_u24_e32 v55, 0x10001, v55
	v_mul_u32_u24_e32 v66, 0x10001, v66
	v_pk_fma_f16 v24, v8, v52, v24
	v_pk_fma_f16 v31, v8, v53, v31
	;; [unrolled: 1-line block ×8, first 2 shown]
	ds_load_b128 v[52:55], v40 offset:25968
	v_mul_u32_u24_e32 v67, 0x10001, v67
	v_mul_u32_u24_e32 v72, 0x10001, v72
	v_pk_fma_f16 v62, v9, v64, v62
	v_pk_fma_f16 v56, v9, v66, v56
	;; [unrolled: 1-line block ×8, first 2 shown]
	s_wait_dscnt 0x0
	v_dual_lshrrev_b32 v63, 16, v52 :: v_dual_lshrrev_b32 v64, 16, v53
	v_and_b32_e32 v52, 0xffff, v52
	v_dual_lshrrev_b32 v66, 16, v54 :: v_dual_lshrrev_b32 v67, 16, v55
	v_and_b32_e32 v53, 0xffff, v53
	v_and_b32_e32 v54, 0xffff, v54
	s_delay_alu instid0(VALU_DEP_4)
	v_mul_u32_u24_e32 v52, 0x10001, v52
	v_and_b32_e32 v55, 0xffff, v55
	v_mul_u32_u24_e32 v63, 0x10001, v63
	v_mul_u32_u24_e32 v53, 0x10001, v53
	;; [unrolled: 1-line block ×7, first 2 shown]
	v_pk_fma_f16 v71, v10, v52, v24
	v_add_nc_u32_e32 v24, 0x5800, v97
	v_pk_fma_f16 v68, v10, v63, v68
	v_pk_fma_f16 v31, v10, v53, v31
	v_pk_fma_f16 v41, v10, v64, v41
	v_pk_fma_f16 v49, v10, v54, v49
	v_pk_fma_f16 v50, v10, v66, v50
	v_pk_fma_f16 v70, v10, v55, v70
	v_pk_fma_f16 v72, v10, v67, v8
	v_pk_fma_f16 v60, v11, v52, v60
	v_pk_fma_f16 v62, v11, v63, v62
	v_pk_fma_f16 v61, v11, v53, v61
	v_pk_fma_f16 v56, v11, v64, v56
	v_pk_fma_f16 v57, v11, v54, v57
	v_pk_fma_f16 v58, v11, v66, v58
	v_pk_fma_f16 v59, v11, v55, v59
	v_pk_fma_f16 v63, v11, v67, v9
	ds_load_2addr_b64 v[8:11], v24 offset1:32
	ds_load_b128 v[52:55], v40 offset:25984
	s_wait_dscnt 0x0
	v_dual_lshrrev_b32 v64, 16, v52 :: v_dual_lshrrev_b32 v66, 16, v53
	v_dual_lshrrev_b32 v67, 16, v54 :: v_dual_lshrrev_b32 v73, 16, v55
	v_and_b32_e32 v52, 0xffff, v52
	v_and_b32_e32 v53, 0xffff, v53
	;; [unrolled: 1-line block ×4, first 2 shown]
	v_mul_u32_u24_e32 v64, 0x10001, v64
	v_mul_u32_u24_e32 v52, 0x10001, v52
	;; [unrolled: 1-line block ×6, first 2 shown]
	v_pk_fma_f16 v71, v8, v52, v71
	v_pk_fma_f16 v31, v8, v53, v31
	;; [unrolled: 1-line block ×8, first 2 shown]
	ds_load_b128 v[52:55], v40 offset:26000
	v_mul_u32_u24_e32 v67, 0x10001, v67
	v_mul_u32_u24_e32 v73, 0x10001, v73
	v_pk_fma_f16 v68, v8, v64, v68
	v_pk_fma_f16 v41, v8, v66, v41
	v_pk_fma_f16 v62, v9, v64, v62
	v_pk_fma_f16 v50, v8, v67, v50
	v_pk_fma_f16 v56, v9, v66, v56
	v_pk_fma_f16 v58, v9, v67, v58
	v_pk_fma_f16 v9, v9, v73, v63
	v_pk_fma_f16 v8, v8, v73, v72
	s_wait_dscnt 0x0
	v_dual_lshrrev_b32 v63, 16, v52 :: v_dual_lshrrev_b32 v64, 16, v53
	v_dual_lshrrev_b32 v66, 16, v54 :: v_dual_lshrrev_b32 v67, 16, v55
	v_and_b32_e32 v52, 0xffff, v52
	v_and_b32_e32 v53, 0xffff, v53
	;; [unrolled: 1-line block ×4, first 2 shown]
	v_mul_u32_u24_e32 v63, 0x10001, v63
	v_mul_u32_u24_e32 v52, 0x10001, v52
	;; [unrolled: 1-line block ×8, first 2 shown]
	v_pk_fma_f16 v71, v10, v52, v71
	v_pk_fma_f16 v68, v10, v63, v68
	;; [unrolled: 1-line block ×16, first 2 shown]
	ds_load_2addr_b64 v[8:11], v24 offset0:64 offset1:96
	ds_load_b128 v[52:55], v40 offset:26016
	s_wait_dscnt 0x0
	v_dual_lshrrev_b32 v64, 16, v52 :: v_dual_lshrrev_b32 v66, 16, v53
	v_dual_lshrrev_b32 v67, 16, v54 :: v_dual_lshrrev_b32 v73, 16, v55
	v_and_b32_e32 v52, 0xffff, v52
	v_and_b32_e32 v53, 0xffff, v53
	;; [unrolled: 1-line block ×4, first 2 shown]
	v_mul_u32_u24_e32 v64, 0x10001, v64
	v_mul_u32_u24_e32 v52, 0x10001, v52
	v_mul_u32_u24_e32 v53, 0x10001, v53
	v_mul_u32_u24_e32 v54, 0x10001, v54
	v_mul_u32_u24_e32 v55, 0x10001, v55
	v_mul_u32_u24_e32 v66, 0x10001, v66
	v_pk_fma_f16 v71, v8, v52, v71
	v_pk_fma_f16 v31, v8, v53, v31
	;; [unrolled: 1-line block ×8, first 2 shown]
	ds_load_b128 v[52:55], v40 offset:26032
	v_mul_u32_u24_e32 v67, 0x10001, v67
	v_mul_u32_u24_e32 v73, 0x10001, v73
	v_pk_fma_f16 v68, v8, v64, v68
	v_pk_fma_f16 v41, v8, v66, v41
	;; [unrolled: 1-line block ×8, first 2 shown]
	s_wait_dscnt 0x0
	v_dual_lshrrev_b32 v63, 16, v52 :: v_dual_lshrrev_b32 v64, 16, v53
	v_dual_lshrrev_b32 v66, 16, v54 :: v_dual_lshrrev_b32 v67, 16, v55
	v_and_b32_e32 v52, 0xffff, v52
	v_and_b32_e32 v53, 0xffff, v53
	;; [unrolled: 1-line block ×4, first 2 shown]
	v_mul_u32_u24_e32 v63, 0x10001, v63
	v_mul_u32_u24_e32 v52, 0x10001, v52
	;; [unrolled: 1-line block ×8, first 2 shown]
	v_pk_fma_f16 v71, v10, v52, v71
	v_pk_fma_f16 v68, v10, v63, v68
	;; [unrolled: 1-line block ×16, first 2 shown]
	ds_load_2addr_b64 v[8:11], v24 offset0:128 offset1:160
	ds_load_b128 v[52:55], v40 offset:26048
	s_wait_dscnt 0x0
	v_dual_lshrrev_b32 v64, 16, v52 :: v_dual_lshrrev_b32 v66, 16, v53
	v_dual_lshrrev_b32 v67, 16, v54 :: v_dual_lshrrev_b32 v73, 16, v55
	v_and_b32_e32 v52, 0xffff, v52
	v_and_b32_e32 v53, 0xffff, v53
	;; [unrolled: 1-line block ×4, first 2 shown]
	v_mul_u32_u24_e32 v64, 0x10001, v64
	v_mul_u32_u24_e32 v52, 0x10001, v52
	;; [unrolled: 1-line block ×6, first 2 shown]
	v_pk_fma_f16 v71, v8, v52, v71
	v_pk_fma_f16 v31, v8, v53, v31
	;; [unrolled: 1-line block ×8, first 2 shown]
	ds_load_b128 v[52:55], v40 offset:26064
	v_mul_u32_u24_e32 v67, 0x10001, v67
	v_mul_u32_u24_e32 v73, 0x10001, v73
	v_pk_fma_f16 v68, v8, v64, v68
	v_pk_fma_f16 v41, v8, v66, v41
	;; [unrolled: 1-line block ×8, first 2 shown]
	s_wait_dscnt 0x0
	v_dual_lshrrev_b32 v63, 16, v52 :: v_dual_lshrrev_b32 v64, 16, v53
	v_dual_lshrrev_b32 v66, 16, v54 :: v_dual_lshrrev_b32 v67, 16, v55
	v_and_b32_e32 v52, 0xffff, v52
	v_and_b32_e32 v53, 0xffff, v53
	;; [unrolled: 1-line block ×4, first 2 shown]
	v_mul_u32_u24_e32 v63, 0x10001, v63
	v_mul_u32_u24_e32 v52, 0x10001, v52
	;; [unrolled: 1-line block ×8, first 2 shown]
	v_pk_fma_f16 v71, v10, v52, v71
	v_pk_fma_f16 v68, v10, v63, v68
	;; [unrolled: 1-line block ×16, first 2 shown]
	ds_load_2addr_b64 v[8:11], v24 offset0:192 offset1:224
	ds_load_b128 v[52:55], v40 offset:26080
	s_wait_dscnt 0x0
	v_dual_lshrrev_b32 v64, 16, v52 :: v_dual_lshrrev_b32 v66, 16, v53
	v_dual_lshrrev_b32 v67, 16, v54 :: v_dual_lshrrev_b32 v73, 16, v55
	v_and_b32_e32 v52, 0xffff, v52
	v_and_b32_e32 v53, 0xffff, v53
	v_and_b32_e32 v54, 0xffff, v54
	v_and_b32_e32 v55, 0xffff, v55
	v_mul_u32_u24_e32 v64, 0x10001, v64
	v_mul_u32_u24_e32 v52, 0x10001, v52
	;; [unrolled: 1-line block ×8, first 2 shown]
	v_pk_fma_f16 v71, v8, v52, v71
	v_pk_fma_f16 v68, v8, v64, v68
	;; [unrolled: 1-line block ×14, first 2 shown]
	ds_load_b128 v[52:55], v40 offset:26096
	v_pk_fma_f16 v67, v9, v67, v58
	v_pk_fma_f16 v9, v9, v73, v63
	s_wait_dscnt 0x0
	s_barrier_signal -1
	s_barrier_wait -1
	s_clause 0x1
	scratch_store_b32 off, v19, off
	scratch_store_b96 off, v[12:14], off offset:4
	v_dual_lshrrev_b32 v31, 16, v52 :: v_dual_lshrrev_b32 v41, 16, v53
	v_dual_lshrrev_b32 v49, 16, v54 :: v_dual_lshrrev_b32 v50, 16, v55
	v_and_b32_e32 v52, 0xffff, v52
	s_delay_alu instid0(VALU_DEP_3)
	v_mul_u32_u24_e32 v57, 0x10001, v31
	v_and_b32_e32 v31, 0xffff, v53
	v_mul_u32_u24_e32 v59, 0x10001, v41
	v_mul_u32_u24_e32 v79, 0x10001, v50
	;; [unrolled: 1-line block ×5, first 2 shown]
	v_and_b32_e32 v31, 0xffff, v54
	v_pk_fma_f16 v41, v10, v57, v68
	v_pk_fma_f16 v50, v10, v59, v75
	;; [unrolled: 1-line block ×4, first 2 shown]
	v_mul_u32_u24_e32 v63, 0x10001, v31
	v_and_b32_e32 v31, 0xffff, v55
	v_pk_fma_f16 v55, v10, v79, v8
	v_pk_fma_f16 v57, v11, v57, v62
	;; [unrolled: 1-line block ×4, first 2 shown]
	v_mul_u32_u24_e32 v78, 0x10001, v31
	v_pk_fma_f16 v31, v10, v56, v71
	v_pk_fma_f16 v56, v11, v56, v60
	;; [unrolled: 1-line block ×4, first 2 shown]
	v_add_nc_u64_e32 v[8:9], s[2:3], v[22:23]
	v_pk_fma_f16 v54, v10, v78, v70
	v_pk_fma_f16 v59, v11, v59, v64
	;; [unrolled: 1-line block ×4, first 2 shown]
	v_add_nc_u64_e32 v[8:9], v[8:9], v[18:19]
	s_delay_alu instid0(VALU_DEP_1)
	v_dual_cndmask_b32 v9, v17, v9 :: v_dual_cndmask_b32 v8, v16, v8
	v_cmp_gt_i32_e32 vcc_lo, s4, v29
	flat_load_b128 v[8:11], v[8:9]
	s_wait_loadcnt_dscnt 0x0
	ds_store_b128 v28, v[8:11] offset:16384
	s_wait_xcnt 0x0
	v_add_nc_u64_e32 v[8:9], s[2:3], v[20:21]
	s_clause 0x1
	scratch_store_b32 off, v19, off
	scratch_store_b96 off, v[12:14], off offset:4
	v_add_nc_u64_e32 v[8:9], v[8:9], v[18:19]
	s_delay_alu instid0(VALU_DEP_1)
	v_dual_cndmask_b32 v9, v17, v9 :: v_dual_cndmask_b32 v8, v16, v8
	flat_load_b128 v[8:11], v[8:9]
	s_wait_loadcnt_dscnt 0x0
	ds_store_b128 v27, v[8:11] offset:16384
	s_wait_storecnt_dscnt 0x0
	s_barrier_signal -1
	s_barrier_wait -1
	s_wait_xcnt 0x0
	ds_load_2addr_b64 v[8:11], v25 offset1:32
	ds_load_b128 v[16:19], v40 offset:26112
	ds_load_b128 v[20:23], v40 offset:26128
	;; [unrolled: 1-line block ×4, first 2 shown]
	s_wait_dscnt 0x3
	v_dual_lshrrev_b32 v12, 16, v16 :: v_dual_lshrrev_b32 v13, 16, v17
	v_lshrrev_b32_e32 v14, 16, v18
	v_and_b32_e32 v18, 0xffff, v18
	v_lshrrev_b32_e32 v27, 16, v19
	v_and_b32_e32 v16, 0xffff, v16
	v_mul_u32_u24_e32 v12, 0x10001, v12
	v_and_b32_e32 v17, 0xffff, v17
	v_mul_u32_u24_e32 v18, 0x10001, v18
	;; [unrolled: 2-line block ×3, first 2 shown]
	v_mul_u32_u24_e32 v13, 0x10001, v13
	v_mul_u32_u24_e32 v17, 0x10001, v17
	;; [unrolled: 1-line block ×4, first 2 shown]
	v_pk_fma_f16 v29, v8, v12, v41
	v_pk_fma_f16 v41, v8, v18, v52
	s_wait_dscnt 0x2
	v_lshrrev_b32_e32 v52, 16, v21
	v_mul_u32_u24_e32 v27, 0x10001, v27
	v_and_b32_e32 v21, 0xffff, v21
	v_pk_fma_f16 v28, v8, v16, v31
	v_pk_fma_f16 v30, v8, v17, v49
	;; [unrolled: 1-line block ×14, first 2 shown]
	v_dual_lshrrev_b32 v27, 16, v20 :: v_dual_lshrrev_b32 v53, 16, v22
	v_lshrrev_b32_e32 v54, 16, v23
	v_and_b32_e32 v20, 0xffff, v20
	v_mul_u32_u24_e32 v21, 0x10001, v21
	v_and_b32_e32 v22, 0xffff, v22
	v_and_b32_e32 v23, 0xffff, v23
	v_mul_u32_u24_e32 v27, 0x10001, v27
	v_mul_u32_u24_e32 v20, 0x10001, v20
	;; [unrolled: 1-line block ×6, first 2 shown]
	v_pk_fma_f16 v30, v10, v21, v30
	v_pk_fma_f16 v17, v11, v21, v17
	s_wait_dscnt 0x1
	v_lshrrev_b32_e32 v21, 16, v70
	v_mul_u32_u24_e32 v54, 0x10001, v54
	v_pk_fma_f16 v28, v10, v20, v28
	v_pk_fma_f16 v29, v10, v27, v29
	;; [unrolled: 1-line block ×14, first 2 shown]
	ds_load_2addr_b64 v[8:11], v25 offset0:64 offset1:96
	v_dual_lshrrev_b32 v22, 16, v71 :: v_dual_lshrrev_b32 v23, 16, v72
	v_lshrrev_b32_e32 v27, 16, v73
	v_and_b32_e32 v52, 0xffff, v70
	v_and_b32_e32 v53, 0xffff, v71
	;; [unrolled: 1-line block ×4, first 2 shown]
	v_mul_u32_u24_e32 v21, 0x10001, v21
	v_mul_u32_u24_e32 v52, 0x10001, v52
	;; [unrolled: 1-line block ×8, first 2 shown]
	s_wait_dscnt 0x0
	v_pk_fma_f16 v28, v8, v52, v28
	v_pk_fma_f16 v29, v8, v21, v29
	;; [unrolled: 1-line block ×16, first 2 shown]
	v_dual_lshrrev_b32 v20, 16, v74 :: v_dual_lshrrev_b32 v21, 16, v75
	v_dual_lshrrev_b32 v22, 16, v76 :: v_dual_lshrrev_b32 v23, 16, v77
	v_and_b32_e32 v27, 0xffff, v74
	v_and_b32_e32 v52, 0xffff, v75
	;; [unrolled: 1-line block ×4, first 2 shown]
	v_mul_u32_u24_e32 v20, 0x10001, v20
	v_mul_u32_u24_e32 v27, 0x10001, v27
	;; [unrolled: 1-line block ×8, first 2 shown]
	v_pk_fma_f16 v28, v10, v27, v28
	v_pk_fma_f16 v29, v10, v20, v29
	;; [unrolled: 1-line block ×16, first 2 shown]
	ds_load_2addr_b64 v[8:11], v25 offset0:128 offset1:160
	ds_load_b128 v[16:19], v40 offset:26176
	s_wait_dscnt 0x0
	v_dual_lshrrev_b32 v52, 16, v16 :: v_dual_lshrrev_b32 v53, 16, v17
	v_dual_lshrrev_b32 v54, 16, v18 :: v_dual_lshrrev_b32 v56, 16, v19
	v_and_b32_e32 v16, 0xffff, v16
	v_and_b32_e32 v17, 0xffff, v17
	;; [unrolled: 1-line block ×4, first 2 shown]
	v_mul_u32_u24_e32 v52, 0x10001, v52
	v_mul_u32_u24_e32 v16, 0x10001, v16
	;; [unrolled: 1-line block ×6, first 2 shown]
	v_pk_fma_f16 v28, v8, v16, v28
	v_pk_fma_f16 v30, v8, v17, v30
	;; [unrolled: 1-line block ×8, first 2 shown]
	ds_load_b128 v[16:19], v40 offset:26192
	v_mul_u32_u24_e32 v54, 0x10001, v54
	v_mul_u32_u24_e32 v56, 0x10001, v56
	v_pk_fma_f16 v29, v8, v52, v29
	v_pk_fma_f16 v31, v8, v53, v31
	;; [unrolled: 1-line block ×8, first 2 shown]
	s_wait_dscnt 0x0
	v_dual_lshrrev_b32 v23, 16, v16 :: v_dual_lshrrev_b32 v52, 16, v17
	v_dual_lshrrev_b32 v53, 16, v18 :: v_dual_lshrrev_b32 v54, 16, v19
	v_and_b32_e32 v16, 0xffff, v16
	v_and_b32_e32 v17, 0xffff, v17
	;; [unrolled: 1-line block ×4, first 2 shown]
	v_mul_u32_u24_e32 v23, 0x10001, v23
	v_mul_u32_u24_e32 v16, 0x10001, v16
	;; [unrolled: 1-line block ×8, first 2 shown]
	v_pk_fma_f16 v28, v10, v16, v28
	v_pk_fma_f16 v29, v10, v23, v29
	;; [unrolled: 1-line block ×16, first 2 shown]
	ds_load_2addr_b64 v[8:11], v25 offset0:192 offset1:224
	ds_load_b128 v[16:19], v40 offset:26208
	s_wait_dscnt 0x0
	v_dual_lshrrev_b32 v25, 16, v16 :: v_dual_lshrrev_b32 v52, 16, v17
	v_dual_lshrrev_b32 v53, 16, v18 :: v_dual_lshrrev_b32 v54, 16, v19
	v_and_b32_e32 v16, 0xffff, v16
	v_and_b32_e32 v17, 0xffff, v17
	;; [unrolled: 1-line block ×4, first 2 shown]
	v_mul_u32_u24_e32 v25, 0x10001, v25
	v_mul_u32_u24_e32 v16, 0x10001, v16
	;; [unrolled: 1-line block ×6, first 2 shown]
	v_pk_fma_f16 v28, v8, v16, v28
	v_pk_fma_f16 v30, v8, v17, v30
	;; [unrolled: 1-line block ×8, first 2 shown]
	ds_load_b128 v[16:19], v40 offset:26224
	v_mul_u32_u24_e32 v53, 0x10001, v53
	v_mul_u32_u24_e32 v54, 0x10001, v54
	v_pk_fma_f16 v29, v8, v25, v29
	v_pk_fma_f16 v31, v8, v52, v31
	;; [unrolled: 1-line block ×8, first 2 shown]
	s_wait_dscnt 0x0
	v_dual_lshrrev_b32 v23, 16, v16 :: v_dual_lshrrev_b32 v25, 16, v17
	v_dual_lshrrev_b32 v52, 16, v18 :: v_dual_lshrrev_b32 v53, 16, v19
	v_and_b32_e32 v16, 0xffff, v16
	v_and_b32_e32 v17, 0xffff, v17
	;; [unrolled: 1-line block ×4, first 2 shown]
	v_mul_u32_u24_e32 v23, 0x10001, v23
	v_mul_u32_u24_e32 v16, 0x10001, v16
	;; [unrolled: 1-line block ×8, first 2 shown]
	v_pk_fma_f16 v28, v10, v16, v28
	v_pk_fma_f16 v29, v10, v23, v29
	;; [unrolled: 1-line block ×16, first 2 shown]
	ds_load_2addr_b64 v[8:11], v15 offset1:32
	ds_load_b128 v[16:19], v40 offset:26240
	s_wait_dscnt 0x0
	v_dual_lshrrev_b32 v25, 16, v16 :: v_dual_lshrrev_b32 v52, 16, v17
	v_dual_lshrrev_b32 v53, 16, v18 :: v_dual_lshrrev_b32 v55, 16, v19
	v_and_b32_e32 v16, 0xffff, v16
	v_and_b32_e32 v17, 0xffff, v17
	;; [unrolled: 1-line block ×4, first 2 shown]
	v_mul_u32_u24_e32 v25, 0x10001, v25
	v_mul_u32_u24_e32 v16, 0x10001, v16
	;; [unrolled: 1-line block ×6, first 2 shown]
	v_pk_fma_f16 v28, v8, v16, v28
	v_pk_fma_f16 v30, v8, v17, v30
	;; [unrolled: 1-line block ×8, first 2 shown]
	ds_load_b128 v[16:19], v40 offset:26256
	v_mul_u32_u24_e32 v53, 0x10001, v53
	v_mul_u32_u24_e32 v55, 0x10001, v55
	v_pk_fma_f16 v29, v8, v25, v29
	v_pk_fma_f16 v31, v8, v52, v31
	v_pk_fma_f16 v12, v9, v25, v12
	v_pk_fma_f16 v49, v8, v53, v49
	v_pk_fma_f16 v13, v9, v52, v13
	v_pk_fma_f16 v14, v9, v53, v14
	v_pk_fma_f16 v9, v9, v55, v23
	v_pk_fma_f16 v8, v8, v55, v54
	s_wait_dscnt 0x0
	v_dual_lshrrev_b32 v23, 16, v16 :: v_dual_lshrrev_b32 v25, 16, v17
	v_dual_lshrrev_b32 v52, 16, v18 :: v_dual_lshrrev_b32 v53, 16, v19
	v_and_b32_e32 v16, 0xffff, v16
	v_and_b32_e32 v17, 0xffff, v17
	;; [unrolled: 1-line block ×4, first 2 shown]
	v_mul_u32_u24_e32 v23, 0x10001, v23
	v_mul_u32_u24_e32 v16, 0x10001, v16
	;; [unrolled: 1-line block ×8, first 2 shown]
	v_pk_fma_f16 v28, v10, v16, v28
	v_pk_fma_f16 v29, v10, v23, v29
	;; [unrolled: 1-line block ×16, first 2 shown]
	ds_load_2addr_b64 v[8:11], v15 offset0:64 offset1:96
	ds_load_b128 v[16:19], v40 offset:26272
	s_wait_dscnt 0x0
	v_dual_lshrrev_b32 v25, 16, v16 :: v_dual_lshrrev_b32 v52, 16, v17
	v_dual_lshrrev_b32 v53, 16, v18 :: v_dual_lshrrev_b32 v55, 16, v19
	v_and_b32_e32 v16, 0xffff, v16
	v_and_b32_e32 v17, 0xffff, v17
	;; [unrolled: 1-line block ×4, first 2 shown]
	v_mul_u32_u24_e32 v25, 0x10001, v25
	v_mul_u32_u24_e32 v16, 0x10001, v16
	;; [unrolled: 1-line block ×6, first 2 shown]
	v_pk_fma_f16 v28, v8, v16, v28
	v_pk_fma_f16 v30, v8, v17, v30
	;; [unrolled: 1-line block ×8, first 2 shown]
	ds_load_b128 v[16:19], v40 offset:26288
	v_mul_u32_u24_e32 v53, 0x10001, v53
	v_mul_u32_u24_e32 v55, 0x10001, v55
	v_pk_fma_f16 v29, v8, v25, v29
	v_pk_fma_f16 v31, v8, v52, v31
	;; [unrolled: 1-line block ×8, first 2 shown]
	s_wait_dscnt 0x0
	v_dual_lshrrev_b32 v23, 16, v16 :: v_dual_lshrrev_b32 v25, 16, v17
	v_dual_lshrrev_b32 v52, 16, v18 :: v_dual_lshrrev_b32 v53, 16, v19
	v_and_b32_e32 v16, 0xffff, v16
	v_and_b32_e32 v17, 0xffff, v17
	;; [unrolled: 1-line block ×4, first 2 shown]
	v_mul_u32_u24_e32 v23, 0x10001, v23
	v_mul_u32_u24_e32 v16, 0x10001, v16
	;; [unrolled: 1-line block ×8, first 2 shown]
	v_pk_fma_f16 v28, v10, v16, v28
	v_pk_fma_f16 v29, v10, v23, v29
	;; [unrolled: 1-line block ×16, first 2 shown]
	ds_load_2addr_b64 v[8:11], v15 offset0:128 offset1:160
	ds_load_b128 v[16:19], v40 offset:26304
	s_wait_dscnt 0x0
	v_dual_lshrrev_b32 v25, 16, v16 :: v_dual_lshrrev_b32 v52, 16, v17
	v_dual_lshrrev_b32 v53, 16, v18 :: v_dual_lshrrev_b32 v55, 16, v19
	v_and_b32_e32 v16, 0xffff, v16
	v_and_b32_e32 v17, 0xffff, v17
	;; [unrolled: 1-line block ×4, first 2 shown]
	v_mul_u32_u24_e32 v25, 0x10001, v25
	v_mul_u32_u24_e32 v16, 0x10001, v16
	;; [unrolled: 1-line block ×6, first 2 shown]
	v_pk_fma_f16 v28, v8, v16, v28
	v_pk_fma_f16 v30, v8, v17, v30
	;; [unrolled: 1-line block ×8, first 2 shown]
	ds_load_b128 v[16:19], v40 offset:26320
	v_mul_u32_u24_e32 v53, 0x10001, v53
	v_mul_u32_u24_e32 v55, 0x10001, v55
	v_pk_fma_f16 v29, v8, v25, v29
	v_pk_fma_f16 v31, v8, v52, v31
	;; [unrolled: 1-line block ×8, first 2 shown]
	s_wait_dscnt 0x0
	v_dual_lshrrev_b32 v23, 16, v16 :: v_dual_lshrrev_b32 v25, 16, v17
	v_dual_lshrrev_b32 v52, 16, v18 :: v_dual_lshrrev_b32 v53, 16, v19
	v_and_b32_e32 v16, 0xffff, v16
	v_and_b32_e32 v17, 0xffff, v17
	;; [unrolled: 1-line block ×4, first 2 shown]
	v_mul_u32_u24_e32 v23, 0x10001, v23
	v_mul_u32_u24_e32 v16, 0x10001, v16
	;; [unrolled: 1-line block ×8, first 2 shown]
	v_pk_fma_f16 v28, v10, v16, v28
	v_pk_fma_f16 v29, v10, v23, v29
	;; [unrolled: 1-line block ×16, first 2 shown]
	ds_load_2addr_b64 v[8:11], v15 offset0:192 offset1:224
	ds_load_b128 v[12:15], v40 offset:26336
	s_wait_dscnt 0x0
	v_dual_lshrrev_b32 v25, 16, v12 :: v_dual_lshrrev_b32 v27, 16, v13
	v_dual_lshrrev_b32 v52, 16, v14 :: v_dual_lshrrev_b32 v53, 16, v15
	v_and_b32_e32 v12, 0xffff, v12
	v_and_b32_e32 v13, 0xffff, v13
	;; [unrolled: 1-line block ×4, first 2 shown]
	v_mul_u32_u24_e32 v25, 0x10001, v25
	v_mul_u32_u24_e32 v12, 0x10001, v12
	;; [unrolled: 1-line block ×6, first 2 shown]
	v_pk_fma_f16 v28, v8, v12, v28
	v_pk_fma_f16 v30, v8, v13, v30
	;; [unrolled: 1-line block ×8, first 2 shown]
	ds_load_b128 v[12:15], v40 offset:26352
	v_mul_u32_u24_e32 v52, 0x10001, v52
	v_mul_u32_u24_e32 v53, 0x10001, v53
	v_pk_fma_f16 v29, v8, v25, v29
	v_pk_fma_f16 v31, v8, v27, v31
	;; [unrolled: 1-line block ×8, first 2 shown]
	s_wait_dscnt 0x0
	v_dual_lshrrev_b32 v22, 16, v12 :: v_dual_lshrrev_b32 v25, 16, v13
	v_dual_lshrrev_b32 v27, 16, v14 :: v_dual_lshrrev_b32 v52, 16, v15
	v_and_b32_e32 v12, 0xffff, v12
	v_and_b32_e32 v13, 0xffff, v13
	;; [unrolled: 1-line block ×4, first 2 shown]
	v_mul_u32_u24_e32 v22, 0x10001, v22
	v_mul_u32_u24_e32 v12, 0x10001, v12
	;; [unrolled: 1-line block ×8, first 2 shown]
	v_pk_fma_f16 v28, v10, v12, v28
	v_pk_fma_f16 v29, v10, v22, v29
	;; [unrolled: 1-line block ×16, first 2 shown]
	ds_load_2addr_b64 v[8:11], v26 offset1:32
	ds_load_b128 v[12:15], v40 offset:26368
	s_wait_dscnt 0x0
	v_dual_lshrrev_b32 v25, 16, v12 :: v_dual_lshrrev_b32 v27, 16, v13
	v_dual_lshrrev_b32 v52, 16, v14 :: v_dual_lshrrev_b32 v54, 16, v15
	v_and_b32_e32 v12, 0xffff, v12
	v_and_b32_e32 v13, 0xffff, v13
	;; [unrolled: 1-line block ×4, first 2 shown]
	v_mul_u32_u24_e32 v25, 0x10001, v25
	v_mul_u32_u24_e32 v12, 0x10001, v12
	;; [unrolled: 1-line block ×6, first 2 shown]
	v_pk_fma_f16 v28, v8, v12, v28
	v_pk_fma_f16 v30, v8, v13, v30
	;; [unrolled: 1-line block ×8, first 2 shown]
	ds_load_b128 v[12:15], v40 offset:26384
	v_mul_u32_u24_e32 v52, 0x10001, v52
	v_mul_u32_u24_e32 v54, 0x10001, v54
	v_pk_fma_f16 v29, v8, v25, v29
	v_pk_fma_f16 v31, v8, v27, v31
	;; [unrolled: 1-line block ×8, first 2 shown]
	s_wait_dscnt 0x0
	v_dual_lshrrev_b32 v23, 16, v12 :: v_dual_lshrrev_b32 v25, 16, v13
	v_dual_lshrrev_b32 v27, 16, v14 :: v_dual_lshrrev_b32 v52, 16, v15
	v_and_b32_e32 v12, 0xffff, v12
	v_and_b32_e32 v13, 0xffff, v13
	;; [unrolled: 1-line block ×4, first 2 shown]
	v_mul_u32_u24_e32 v23, 0x10001, v23
	v_mul_u32_u24_e32 v12, 0x10001, v12
	v_mul_u32_u24_e32 v13, 0x10001, v13
	v_mul_u32_u24_e32 v25, 0x10001, v25
	v_mul_u32_u24_e32 v14, 0x10001, v14
	v_mul_u32_u24_e32 v27, 0x10001, v27
	v_mul_u32_u24_e32 v15, 0x10001, v15
	v_mul_u32_u24_e32 v52, 0x10001, v52
	v_pk_fma_f16 v28, v10, v12, v28
	v_pk_fma_f16 v29, v10, v23, v29
	;; [unrolled: 1-line block ×16, first 2 shown]
	ds_load_2addr_b64 v[8:11], v26 offset0:64 offset1:96
	ds_load_b128 v[12:15], v40 offset:26400
	s_wait_dscnt 0x0
	v_dual_lshrrev_b32 v25, 16, v12 :: v_dual_lshrrev_b32 v27, 16, v13
	v_dual_lshrrev_b32 v52, 16, v14 :: v_dual_lshrrev_b32 v54, 16, v15
	v_and_b32_e32 v12, 0xffff, v12
	v_and_b32_e32 v13, 0xffff, v13
	;; [unrolled: 1-line block ×4, first 2 shown]
	v_mul_u32_u24_e32 v25, 0x10001, v25
	v_mul_u32_u24_e32 v12, 0x10001, v12
	;; [unrolled: 1-line block ×6, first 2 shown]
	v_pk_fma_f16 v28, v8, v12, v28
	v_pk_fma_f16 v30, v8, v13, v30
	;; [unrolled: 1-line block ×8, first 2 shown]
	ds_load_b128 v[12:15], v40 offset:26416
	v_mul_u32_u24_e32 v52, 0x10001, v52
	v_mul_u32_u24_e32 v54, 0x10001, v54
	v_pk_fma_f16 v29, v8, v25, v29
	v_pk_fma_f16 v31, v8, v27, v31
	;; [unrolled: 1-line block ×8, first 2 shown]
	s_wait_dscnt 0x0
	v_dual_lshrrev_b32 v23, 16, v12 :: v_dual_lshrrev_b32 v25, 16, v13
	v_dual_lshrrev_b32 v27, 16, v14 :: v_dual_lshrrev_b32 v52, 16, v15
	v_and_b32_e32 v12, 0xffff, v12
	v_and_b32_e32 v13, 0xffff, v13
	;; [unrolled: 1-line block ×4, first 2 shown]
	v_mul_u32_u24_e32 v23, 0x10001, v23
	v_mul_u32_u24_e32 v12, 0x10001, v12
	v_mul_u32_u24_e32 v13, 0x10001, v13
	v_mul_u32_u24_e32 v25, 0x10001, v25
	v_mul_u32_u24_e32 v14, 0x10001, v14
	v_mul_u32_u24_e32 v27, 0x10001, v27
	v_mul_u32_u24_e32 v15, 0x10001, v15
	v_mul_u32_u24_e32 v52, 0x10001, v52
	v_pk_fma_f16 v28, v10, v12, v28
	v_pk_fma_f16 v29, v10, v23, v29
	;; [unrolled: 1-line block ×16, first 2 shown]
	ds_load_2addr_b64 v[8:11], v26 offset0:128 offset1:160
	ds_load_b128 v[12:15], v40 offset:26432
	s_wait_dscnt 0x0
	v_dual_lshrrev_b32 v25, 16, v12 :: v_dual_lshrrev_b32 v27, 16, v13
	v_dual_lshrrev_b32 v52, 16, v14 :: v_dual_lshrrev_b32 v54, 16, v15
	v_and_b32_e32 v12, 0xffff, v12
	v_and_b32_e32 v13, 0xffff, v13
	;; [unrolled: 1-line block ×4, first 2 shown]
	v_mul_u32_u24_e32 v25, 0x10001, v25
	v_mul_u32_u24_e32 v12, 0x10001, v12
	;; [unrolled: 1-line block ×6, first 2 shown]
	v_pk_fma_f16 v28, v8, v12, v28
	v_pk_fma_f16 v30, v8, v13, v30
	;; [unrolled: 1-line block ×8, first 2 shown]
	ds_load_b128 v[12:15], v40 offset:26448
	v_mul_u32_u24_e32 v52, 0x10001, v52
	v_mul_u32_u24_e32 v54, 0x10001, v54
	v_pk_fma_f16 v29, v8, v25, v29
	v_pk_fma_f16 v31, v8, v27, v31
	;; [unrolled: 1-line block ×8, first 2 shown]
	s_wait_dscnt 0x0
	v_dual_lshrrev_b32 v23, 16, v12 :: v_dual_lshrrev_b32 v25, 16, v13
	v_dual_lshrrev_b32 v27, 16, v14 :: v_dual_lshrrev_b32 v52, 16, v15
	v_and_b32_e32 v12, 0xffff, v12
	v_and_b32_e32 v13, 0xffff, v13
	v_and_b32_e32 v14, 0xffff, v14
	v_and_b32_e32 v15, 0xffff, v15
	v_mul_u32_u24_e32 v23, 0x10001, v23
	v_mul_u32_u24_e32 v12, 0x10001, v12
	v_mul_u32_u24_e32 v13, 0x10001, v13
	v_mul_u32_u24_e32 v25, 0x10001, v25
	v_mul_u32_u24_e32 v14, 0x10001, v14
	v_mul_u32_u24_e32 v27, 0x10001, v27
	v_mul_u32_u24_e32 v15, 0x10001, v15
	v_mul_u32_u24_e32 v52, 0x10001, v52
	v_pk_fma_f16 v28, v10, v12, v28
	v_pk_fma_f16 v29, v10, v23, v29
	;; [unrolled: 1-line block ×16, first 2 shown]
	ds_load_2addr_b64 v[8:11], v26 offset0:192 offset1:224
	ds_load_b128 v[12:15], v40 offset:26464
	s_wait_dscnt 0x0
	v_dual_lshrrev_b32 v25, 16, v12 :: v_dual_lshrrev_b32 v26, 16, v13
	v_dual_lshrrev_b32 v27, 16, v14 :: v_dual_lshrrev_b32 v52, 16, v15
	v_and_b32_e32 v12, 0xffff, v12
	v_and_b32_e32 v13, 0xffff, v13
	;; [unrolled: 1-line block ×4, first 2 shown]
	v_mul_u32_u24_e32 v25, 0x10001, v25
	v_mul_u32_u24_e32 v12, 0x10001, v12
	v_mul_u32_u24_e32 v13, 0x10001, v13
	v_mul_u32_u24_e32 v14, 0x10001, v14
	v_mul_u32_u24_e32 v15, 0x10001, v15
	v_mul_u32_u24_e32 v26, 0x10001, v26
	v_pk_fma_f16 v28, v8, v12, v28
	v_pk_fma_f16 v30, v8, v13, v30
	;; [unrolled: 1-line block ×8, first 2 shown]
	ds_load_b128 v[12:15], v40 offset:26480
	v_mul_u32_u24_e32 v27, 0x10001, v27
	v_mul_u32_u24_e32 v52, 0x10001, v52
	v_pk_fma_f16 v29, v8, v25, v29
	v_pk_fma_f16 v31, v8, v26, v31
	v_pk_fma_f16 v22, v9, v25, v22
	v_pk_fma_f16 v49, v8, v27, v49
	v_pk_fma_f16 v20, v9, v26, v20
	v_pk_fma_f16 v21, v9, v27, v21
	v_pk_fma_f16 v9, v9, v52, v23
	v_pk_fma_f16 v8, v8, v52, v53
	s_wait_dscnt 0x0
	v_dual_lshrrev_b32 v23, 16, v12 :: v_dual_lshrrev_b32 v25, 16, v13
	v_dual_lshrrev_b32 v26, 16, v14 :: v_dual_lshrrev_b32 v27, 16, v15
	v_and_b32_e32 v12, 0xffff, v12
	v_and_b32_e32 v13, 0xffff, v13
	;; [unrolled: 1-line block ×4, first 2 shown]
	v_mul_u32_u24_e32 v23, 0x10001, v23
	v_mul_u32_u24_e32 v12, 0x10001, v12
	;; [unrolled: 1-line block ×8, first 2 shown]
	v_pk_fma_f16 v28, v10, v12, v28
	v_pk_fma_f16 v29, v10, v23, v29
	;; [unrolled: 1-line block ×16, first 2 shown]
	ds_load_2addr_b64 v[8:11], v24 offset1:32
	ds_load_b128 v[12:15], v40 offset:26496
	s_wait_dscnt 0x0
	v_dual_lshrrev_b32 v25, 16, v12 :: v_dual_lshrrev_b32 v26, 16, v13
	v_dual_lshrrev_b32 v27, 16, v14 :: v_dual_lshrrev_b32 v53, 16, v15
	v_and_b32_e32 v12, 0xffff, v12
	v_and_b32_e32 v13, 0xffff, v13
	;; [unrolled: 1-line block ×4, first 2 shown]
	v_mul_u32_u24_e32 v25, 0x10001, v25
	v_mul_u32_u24_e32 v12, 0x10001, v12
	;; [unrolled: 1-line block ×6, first 2 shown]
	v_pk_fma_f16 v28, v8, v12, v28
	v_pk_fma_f16 v30, v8, v13, v30
	;; [unrolled: 1-line block ×8, first 2 shown]
	ds_load_b128 v[12:15], v40 offset:26512
	v_mul_u32_u24_e32 v27, 0x10001, v27
	v_mul_u32_u24_e32 v53, 0x10001, v53
	v_pk_fma_f16 v29, v8, v25, v29
	v_pk_fma_f16 v31, v8, v26, v31
	;; [unrolled: 1-line block ×8, first 2 shown]
	s_wait_dscnt 0x0
	v_dual_lshrrev_b32 v23, 16, v12 :: v_dual_lshrrev_b32 v25, 16, v13
	v_dual_lshrrev_b32 v26, 16, v14 :: v_dual_lshrrev_b32 v27, 16, v15
	v_and_b32_e32 v12, 0xffff, v12
	v_and_b32_e32 v13, 0xffff, v13
	;; [unrolled: 1-line block ×4, first 2 shown]
	v_mul_u32_u24_e32 v23, 0x10001, v23
	v_mul_u32_u24_e32 v12, 0x10001, v12
	;; [unrolled: 1-line block ×8, first 2 shown]
	v_pk_fma_f16 v28, v10, v12, v28
	v_pk_fma_f16 v29, v10, v23, v29
	;; [unrolled: 1-line block ×16, first 2 shown]
	ds_load_2addr_b64 v[8:11], v24 offset0:64 offset1:96
	ds_load_b128 v[12:15], v40 offset:26528
	s_wait_dscnt 0x0
	v_dual_lshrrev_b32 v25, 16, v12 :: v_dual_lshrrev_b32 v26, 16, v13
	v_dual_lshrrev_b32 v27, 16, v14 :: v_dual_lshrrev_b32 v53, 16, v15
	v_and_b32_e32 v12, 0xffff, v12
	v_and_b32_e32 v13, 0xffff, v13
	;; [unrolled: 1-line block ×4, first 2 shown]
	v_mul_u32_u24_e32 v25, 0x10001, v25
	v_mul_u32_u24_e32 v12, 0x10001, v12
	;; [unrolled: 1-line block ×6, first 2 shown]
	v_pk_fma_f16 v28, v8, v12, v28
	v_pk_fma_f16 v30, v8, v13, v30
	;; [unrolled: 1-line block ×8, first 2 shown]
	ds_load_b128 v[12:15], v40 offset:26544
	v_mul_u32_u24_e32 v27, 0x10001, v27
	v_mul_u32_u24_e32 v53, 0x10001, v53
	v_pk_fma_f16 v29, v8, v25, v29
	v_pk_fma_f16 v31, v8, v26, v31
	;; [unrolled: 1-line block ×8, first 2 shown]
	s_wait_dscnt 0x0
	v_dual_lshrrev_b32 v23, 16, v12 :: v_dual_lshrrev_b32 v25, 16, v13
	v_dual_lshrrev_b32 v26, 16, v14 :: v_dual_lshrrev_b32 v27, 16, v15
	v_and_b32_e32 v12, 0xffff, v12
	v_and_b32_e32 v13, 0xffff, v13
	;; [unrolled: 1-line block ×4, first 2 shown]
	v_mul_u32_u24_e32 v23, 0x10001, v23
	v_mul_u32_u24_e32 v12, 0x10001, v12
	;; [unrolled: 1-line block ×8, first 2 shown]
	v_pk_fma_f16 v28, v10, v12, v28
	v_pk_fma_f16 v29, v10, v23, v29
	;; [unrolled: 1-line block ×16, first 2 shown]
	ds_load_2addr_b64 v[8:11], v24 offset0:128 offset1:160
	ds_load_b128 v[12:15], v40 offset:26560
	s_wait_dscnt 0x0
	v_dual_lshrrev_b32 v25, 16, v12 :: v_dual_lshrrev_b32 v26, 16, v13
	v_dual_lshrrev_b32 v27, 16, v14 :: v_dual_lshrrev_b32 v53, 16, v15
	v_and_b32_e32 v12, 0xffff, v12
	v_and_b32_e32 v13, 0xffff, v13
	;; [unrolled: 1-line block ×4, first 2 shown]
	v_mul_u32_u24_e32 v25, 0x10001, v25
	v_mul_u32_u24_e32 v12, 0x10001, v12
	;; [unrolled: 1-line block ×6, first 2 shown]
	v_pk_fma_f16 v28, v8, v12, v28
	v_pk_fma_f16 v30, v8, v13, v30
	;; [unrolled: 1-line block ×8, first 2 shown]
	ds_load_b128 v[12:15], v40 offset:26576
	v_mul_u32_u24_e32 v27, 0x10001, v27
	v_mul_u32_u24_e32 v53, 0x10001, v53
	v_pk_fma_f16 v29, v8, v25, v29
	v_pk_fma_f16 v31, v8, v26, v31
	;; [unrolled: 1-line block ×8, first 2 shown]
	s_wait_dscnt 0x0
	v_dual_lshrrev_b32 v23, 16, v12 :: v_dual_lshrrev_b32 v25, 16, v13
	v_dual_lshrrev_b32 v26, 16, v14 :: v_dual_lshrrev_b32 v27, 16, v15
	v_and_b32_e32 v12, 0xffff, v12
	v_and_b32_e32 v13, 0xffff, v13
	;; [unrolled: 1-line block ×4, first 2 shown]
	v_mul_u32_u24_e32 v23, 0x10001, v23
	v_mul_u32_u24_e32 v12, 0x10001, v12
	;; [unrolled: 1-line block ×8, first 2 shown]
	v_pk_fma_f16 v28, v10, v12, v28
	v_pk_fma_f16 v29, v10, v23, v29
	;; [unrolled: 1-line block ×16, first 2 shown]
	ds_load_2addr_b64 v[8:11], v24 offset0:192 offset1:224
	ds_load_b128 v[12:15], v40 offset:26592
	s_wait_dscnt 0x0
	v_dual_lshrrev_b32 v24, 16, v12 :: v_dual_lshrrev_b32 v25, 16, v13
	v_dual_lshrrev_b32 v26, 16, v14 :: v_dual_lshrrev_b32 v27, 16, v15
	v_and_b32_e32 v12, 0xffff, v12
	v_and_b32_e32 v13, 0xffff, v13
	;; [unrolled: 1-line block ×4, first 2 shown]
	v_mul_u32_u24_e32 v24, 0x10001, v24
	v_mul_u32_u24_e32 v12, 0x10001, v12
	;; [unrolled: 1-line block ×6, first 2 shown]
	v_pk_fma_f16 v28, v8, v12, v28
	v_pk_fma_f16 v30, v8, v13, v30
	v_pk_fma_f16 v41, v8, v14, v41
	v_pk_fma_f16 v50, v8, v15, v50
	v_pk_fma_f16 v16, v9, v12, v16
	v_pk_fma_f16 v17, v9, v13, v17
	v_pk_fma_f16 v18, v9, v14, v18
	v_pk_fma_f16 v19, v9, v15, v19
	ds_load_b128 v[12:15], v40 offset:26608
	v_mul_u32_u24_e32 v26, 0x10001, v26
	v_mul_u32_u24_e32 v27, 0x10001, v27
	v_pk_fma_f16 v29, v8, v24, v29
	v_pk_fma_f16 v31, v8, v25, v31
	;; [unrolled: 1-line block ×8, first 2 shown]
	s_wait_dscnt 0x0
	s_barrier_signal -1
	s_barrier_wait -1
	v_dual_lshrrev_b32 v23, 16, v12 :: v_dual_lshrrev_b32 v24, 16, v13
	v_dual_lshrrev_b32 v25, 16, v14 :: v_dual_lshrrev_b32 v26, 16, v15
	v_and_b32_e32 v12, 0xffff, v12
	v_and_b32_e32 v13, 0xffff, v13
	;; [unrolled: 1-line block ×4, first 2 shown]
	v_mul_u32_u24_e32 v23, 0x10001, v23
	v_mul_u32_u24_e32 v12, 0x10001, v12
	v_mul_u32_u24_e32 v13, 0x10001, v13
	v_mul_u32_u24_e32 v24, 0x10001, v24
	v_mul_u32_u24_e32 v14, 0x10001, v14
	v_mul_u32_u24_e32 v25, 0x10001, v25
	v_mul_u32_u24_e32 v15, 0x10001, v15
	v_mul_u32_u24_e32 v26, 0x10001, v26
	v_pk_fma_f16 v115, v10, v12, v28
	v_pk_fma_f16 v113, v10, v23, v29
	;; [unrolled: 1-line block ×14, first 2 shown]
	v_mov_b64_e32 v[24:25], v[32:33]
	v_mov_b64_e32 v[22:23], v[6:7]
	v_mov_b64_e32 v[26:27], v[34:35]
	v_mov_b64_e32 v[28:29], v[36:37]
	v_mov_b64_e32 v[30:31], v[38:39]
	v_mov_b64_e32 v[20:21], v[4:5]
	v_mov_b64_e32 v[18:19], v[2:3]
	v_mov_b64_e32 v[16:17], v[0:1]
	v_pk_fma_f16 v107, v10, v14, v41
	v_pk_fma_f16 v103, v10, v15, v50
.LBB86_257:
	v_cmp_lt_i32_e32 vcc_lo, v47, v42
	s_cmp_eq_u64 s[12:13], 0
	s_cselect_b32 s2, -1, 0
	s_cmp_lg_u32 s20, 0
	v_cndmask_b32_e32 v0, v96, v47, vcc_lo
	v_cmp_lt_i32_e32 vcc_lo, v46, v42
	s_cselect_b32 s3, -1, 0
	s_delay_alu instid0(SALU_CYCLE_1) | instskip(SKIP_3) | instid1(VALU_DEP_3)
	s_or_b32 s2, s3, s2
	v_cndmask_b32_e32 v8, v96, v46, vcc_lo
	v_cmp_lt_i32_e32 vcc_lo, v45, v42
	v_lshlrev_b32_e32 v7, 2, v0
	v_lshlrev_b32_e32 v15, 2, v8
	ds_bpermute_b32 v0, v7, v16
	ds_bpermute_b32 v1, v7, v17
	s_wait_dscnt 0x0
	v_pk_add_f32 v[0:1], v[16:17], v[0:1]
	v_cndmask_b32_e32 v16, v96, v45, vcc_lo
	ds_bpermute_b32 v2, v7, v18
	ds_bpermute_b32 v3, v7, v19
	ds_bpermute_b32 v4, v7, v20
	ds_bpermute_b32 v5, v7, v21
	ds_bpermute_b32 v6, v7, v22
	ds_bpermute_b32 v7, v7, v23
	ds_bpermute_b32 v8, v15, v0
	ds_bpermute_b32 v9, v15, v1
	v_lshlrev_b32_e32 v16, 2, v16
	v_cmp_lt_i32_e32 vcc_lo, v44, v42
	s_wait_dscnt 0x6
	v_pk_add_f32 v[2:3], v[18:19], v[2:3]
	s_wait_dscnt 0x4
	v_pk_add_f32 v[4:5], v[20:21], v[4:5]
	;; [unrolled: 2-line block ×3, first 2 shown]
	ds_bpermute_b32 v10, v15, v2
	ds_bpermute_b32 v11, v15, v3
	;; [unrolled: 1-line block ×6, first 2 shown]
	s_wait_dscnt 0x6
	v_pk_add_f32 v[0:1], v[0:1], v[8:9]
	ds_bpermute_b32 v8, v16, v0
	ds_bpermute_b32 v9, v16, v1
	s_wait_dscnt 0x6
	v_pk_add_f32 v[2:3], v[2:3], v[10:11]
	s_wait_dscnt 0x4
	v_pk_add_f32 v[4:5], v[4:5], v[12:13]
	;; [unrolled: 2-line block ×3, first 2 shown]
	ds_bpermute_b32 v10, v16, v2
	ds_bpermute_b32 v11, v16, v3
	;; [unrolled: 1-line block ×6, first 2 shown]
	v_cndmask_b32_e32 v16, v96, v44, vcc_lo
	s_wait_dscnt 0x6
	v_pk_add_f32 v[0:1], v[0:1], v[8:9]
	v_cmp_lt_i32_e32 vcc_lo, v43, v42
	s_delay_alu instid0(VALU_DEP_3)
	v_lshlrev_b32_e32 v16, 2, v16
	ds_bpermute_b32 v8, v16, v0
	ds_bpermute_b32 v9, v16, v1
	s_wait_dscnt 0x6
	v_pk_add_f32 v[2:3], v[2:3], v[10:11]
	s_wait_dscnt 0x4
	v_pk_add_f32 v[4:5], v[4:5], v[12:13]
	;; [unrolled: 2-line block ×3, first 2 shown]
	ds_bpermute_b32 v10, v16, v2
	ds_bpermute_b32 v11, v16, v3
	;; [unrolled: 1-line block ×6, first 2 shown]
	v_cndmask_b32_e32 v16, v96, v43, vcc_lo
	s_and_b32 vcc_lo, exec_lo, s2
	s_delay_alu instid0(VALU_DEP_1)
	v_lshlrev_b32_e32 v19, 2, v16
	s_wait_dscnt 0x6
	v_pk_add_f32 v[0:1], v[0:1], v[8:9]
	ds_bpermute_b32 v8, v19, v0
	ds_bpermute_b32 v9, v19, v1
	s_wait_dscnt 0x6
	v_pk_add_f32 v[2:3], v[2:3], v[10:11]
	s_wait_dscnt 0x4
	v_pk_add_f32 v[4:5], v[4:5], v[12:13]
	;; [unrolled: 2-line block ×3, first 2 shown]
	ds_bpermute_b32 v10, v19, v2
	ds_bpermute_b32 v11, v19, v3
	;; [unrolled: 1-line block ×6, first 2 shown]
	s_wait_dscnt 0x6
	v_pk_add_f32 v[14:15], v[0:1], v[8:9]
	s_wait_dscnt 0x4
	v_pk_add_f32 v[12:13], v[2:3], v[10:11]
	s_wait_dscnt 0x2
	v_pk_add_f32 v[10:11], v[4:5], v[16:17]
	s_wait_dscnt 0x0
	v_pk_add_f32 v[8:9], v[6:7], v[18:19]
	s_cbranch_vccnz .LBB86_259
; %bb.258:
	v_dual_mov_b32 v0, s33 :: v_dual_max_num_f32 v1, v25, v25
	v_dual_max_num_f32 v4, v28, v28 :: v_dual_max_num_f32 v5, v29, v29
	v_dual_max_num_f32 v6, v30, v30 :: v_dual_max_num_f32 v17, v31, v31
	global_load_b32 v16, v0, s[12:13] scale_offset
	s_wait_xcnt 0x0
	v_dual_max_num_f32 v0, v24, v24 :: v_dual_max_num_f32 v2, v26, v26
	s_wait_loadcnt 0x0
	v_dual_max_num_f32 v3, v27, v27 :: v_dual_max_num_f32 v7, v16, v16
	s_delay_alu instid0(VALU_DEP_1) | instskip(NEXT) | instid1(VALU_DEP_2)
	v_dual_max_num_f32 v0, v0, v7 :: v_dual_max_num_f32 v1, v1, v7
	v_dual_max_num_f32 v2, v2, v7 :: v_dual_max_num_f32 v3, v3, v7
	;; [unrolled: 1-line block ×4, first 2 shown]
	s_delay_alu instid0(VALU_DEP_4)
	v_dual_sub_f32 v17, v24, v0 :: v_dual_sub_f32 v19, v25, v1
	v_dual_sub_f32 v18, v16, v0 :: v_dual_sub_f32 v20, v16, v1
	;; [unrolled: 1-line block ×8, first 2 shown]
	v_dual_mul_f32 v16, 0x3fb8aa3b, v17 :: v_dual_mul_f32 v33, 0x3fb8aa3b, v18
	v_dual_mul_f32 v38, 0x3fb8aa3b, v23 :: v_dual_mul_f32 v39, 0x3fb8aa3b, v24
	;; [unrolled: 1-line block ×3, first 2 shown]
	s_delay_alu instid0(VALU_DEP_4) | instskip(NEXT) | instid1(VALU_DEP_4)
	v_dual_mul_f32 v46, 0x3fb8aa3b, v31 :: v_dual_mul_f32 v47, 0x3fb8aa3b, v32
	v_fma_f32 v49, 0x3fb8aa3b, v17, -v16
	v_rndne_f32_e32 v50, v16
	v_dual_mul_f32 v34, 0x3fb8aa3b, v19 :: v_dual_mul_f32 v35, 0x3fb8aa3b, v20
	v_fma_f32 v52, 0x3fb8aa3b, v18, -v33
	v_rndne_f32_e32 v53, v33
	v_fma_f32 v62, 0x3fb8aa3b, v23, -v38
	v_rndne_f32_e32 v63, v38
	v_rndne_f32_e32 v68, v40
	v_rndne_f32_e32 v97, v47
	v_dual_fmac_f32 v49, 0x32a5705f, v17 :: v_dual_sub_f32 v16, v16, v50
	v_dual_mul_f32 v36, 0x3fb8aa3b, v21 :: v_dual_mul_f32 v37, 0x3fb8aa3b, v22
	v_dual_mul_f32 v44, 0x3fb8aa3b, v29 :: v_dual_mul_f32 v45, 0x3fb8aa3b, v30
	v_fma_f32 v54, 0x3fb8aa3b, v19, -v34
	v_rndne_f32_e32 v55, v34
	v_fma_f32 v67, 0x3fb8aa3b, v25, -v40
	v_fma_f32 v70, 0x3fb8aa3b, v26, -v41
	;; [unrolled: 1-line block ×3, first 2 shown]
	v_dual_fmac_f32 v52, 0x32a5705f, v18 :: v_dual_sub_f32 v33, v33, v53
	v_dual_fmac_f32 v62, 0x32a5705f, v23 :: v_dual_sub_f32 v47, v47, v97
	v_dual_sub_f32 v38, v38, v63 :: v_dual_sub_f32 v40, v40, v68
	v_add_f32_e32 v16, v16, v49
	v_dual_mul_f32 v42, 0x3fb8aa3b, v27 :: v_dual_mul_f32 v43, 0x3fb8aa3b, v28
	v_fma_f32 v56, 0x3fb8aa3b, v20, -v35
	v_rndne_f32_e32 v57, v35
	v_rndne_f32_e32 v61, v37
	;; [unrolled: 1-line block ×3, first 2 shown]
	v_fmac_f32_e32 v54, 0x32a5705f, v19
	v_sub_f32_e32 v34, v34, v55
	v_dual_fmac_f32 v70, 0x32a5705f, v26 :: v_dual_add_f32 v33, v33, v52
	v_add_f32_e32 v38, v38, v62
	v_exp_f32_e32 v16, v16
	v_cvt_i32_f32_e32 v50, v50
	v_fma_f32 v58, 0x3fb8aa3b, v21, -v36
	v_rndne_f32_e32 v59, v36
	v_fma_f32 v60, 0x3fb8aa3b, v22, -v37
	v_rndne_f32_e32 v66, v39
	v_fma_f32 v72, 0x3fb8aa3b, v27, -v42
	v_fma_f32 v76, 0x3fb8aa3b, v29, -v44
	v_dual_fmac_f32 v56, 0x32a5705f, v20 :: v_dual_sub_f32 v35, v35, v57
	v_sub_f32_e32 v37, v37, v61
	v_dual_sub_f32 v44, v44, v77 :: v_dual_add_f32 v34, v34, v54
	v_exp_f32_e32 v33, v33
	v_exp_f32_e32 v38, v38
	v_rndne_f32_e32 v71, v41
	v_rndne_f32_e32 v73, v42
	v_cvt_i32_f32_e32 v53, v53
	v_cvt_i32_f32_e32 v63, v63
	v_ldexp_f32 v16, v16, v50
	v_cmp_ngt_f32_e32 vcc_lo, 0xc2ce8ed0, v17
	v_fma_f32 v64, 0x3fb8aa3b, v24, -v39
	v_dual_fmac_f32 v58, 0x32a5705f, v21 :: v_dual_sub_f32 v41, v41, v71
	v_dual_sub_f32 v36, v36, v59 :: v_dual_fmac_f32 v67, 0x32a5705f, v25
	v_dual_sub_f32 v39, v39, v66 :: v_dual_fmac_f32 v72, 0x32a5705f, v27
	v_add_f32_e32 v35, v35, v56
	v_exp_f32_e32 v34, v34
	v_rndne_f32_e32 v75, v43
	v_cvt_i32_f32_e32 v55, v55
	v_dual_sub_f32 v42, v42, v73 :: v_dual_add_f32 v36, v36, v58
	v_ldexp_f32 v33, v33, v53
	v_ldexp_f32 v38, v38, v63
	v_cndmask_b32_e32 v16, 0, v16, vcc_lo
	v_cmp_ngt_f32_e32 vcc_lo, 0xc2ce8ed0, v18
	v_fma_f32 v78, 0x3fb8aa3b, v30, -v45
	v_rndne_f32_e32 v79, v45
	v_fmac_f32_e32 v60, 0x32a5705f, v22
	v_fmac_f32_e32 v64, 0x32a5705f, v24
	v_exp_f32_e32 v35, v35
	v_fma_f32 v74, 0x3fb8aa3b, v28, -v43
	v_fma_f32 v80, 0x3fb8aa3b, v31, -v46
	v_rndne_f32_e32 v81, v46
	v_cvt_i32_f32_e32 v57, v57
	v_dual_sub_f32 v43, v43, v75 :: v_dual_fmac_f32 v76, 0x32a5705f, v29
	v_add_f32_e32 v37, v37, v60
	v_dual_add_f32 v42, v42, v72 :: v_dual_cndmask_b32 v33, 0, v33
	v_ldexp_f32 v34, v34, v55
	v_cmp_ngt_f32_e32 vcc_lo, 0xc2ce8ed0, v19
	v_dual_sub_f32 v45, v45, v79 :: v_dual_fmac_f32 v78, 0x32a5705f, v30
	v_add_f32_e32 v39, v39, v64
	v_exp_f32_e32 v36, v36
	v_cvt_i32_f32_e32 v59, v59
	v_dual_fmac_f32 v74, 0x32a5705f, v28 :: v_dual_add_f32 v41, v41, v70
	v_fmac_f32_e32 v80, 0x32a5705f, v31
	v_dual_sub_f32 v46, v46, v81 :: v_dual_add_f32 v40, v40, v67
	v_dual_add_f32 v44, v44, v76 :: v_dual_cndmask_b32 v34, 0, v34, vcc_lo
	v_ldexp_f32 v35, v35, v57
	v_cmp_ngt_f32_e32 vcc_lo, 0xc2ce8ed0, v20
	v_exp_f32_e32 v37, v37
	v_exp_f32_e32 v39, v39
	v_cvt_i32_f32_e32 v61, v61
	v_cvt_i32_f32_e32 v66, v66
	v_dual_add_f32 v43, v43, v74 :: v_dual_add_f32 v46, v46, v80
	v_cndmask_b32_e32 v35, 0, v35, vcc_lo
	v_ldexp_f32 v36, v36, v59
	v_cmp_ngt_f32_e32 vcc_lo, 0xc2ce8ed0, v21
	v_dual_fmac_f32 v96, 0x32a5705f, v32 :: v_dual_add_f32 v45, v45, v78
	v_ldexp_f32 v37, v37, v61
	v_ldexp_f32 v39, v39, v66
	v_cndmask_b32_e32 v36, 0, v36, vcc_lo
	v_cmp_ngt_f32_e32 vcc_lo, 0xc2ce8ed0, v22
	v_add_f32_e32 v47, v47, v96
	v_exp_f32_e32 v40, v40
	v_cvt_i32_f32_e32 v68, v68
	v_exp_f32_e32 v41, v41
	v_cndmask_b32_e32 v37, 0, v37, vcc_lo
	v_cmp_ngt_f32_e32 vcc_lo, 0xc2ce8ed0, v23
	v_cvt_i32_f32_e32 v71, v71
	v_exp_f32_e32 v42, v42
	v_ldexp_f32 v40, v40, v68
	v_cvt_i32_f32_e32 v73, v73
	v_cndmask_b32_e32 v38, 0, v38, vcc_lo
	v_cmp_ngt_f32_e32 vcc_lo, 0xc2ce8ed0, v24
	v_ldexp_f32 v41, v41, v71
	v_exp_f32_e32 v43, v43
	v_cvt_i32_f32_e32 v75, v75
	v_ldexp_f32 v42, v42, v73
	v_cndmask_b32_e32 v39, 0, v39, vcc_lo
	v_cmp_ngt_f32_e32 vcc_lo, 0xc2ce8ed0, v25
	v_exp_f32_e32 v44, v44
	v_cvt_i32_f32_e32 v77, v77
	v_ldexp_f32 v43, v43, v75
	v_exp_f32_e32 v45, v45
	v_cndmask_b32_e32 v40, 0, v40, vcc_lo
	v_cmp_ngt_f32_e32 vcc_lo, 0xc2ce8ed0, v26
	v_cvt_i32_f32_e32 v79, v79
	v_ldexp_f32 v44, v44, v77
	v_exp_f32_e32 v46, v46
	v_cvt_i32_f32_e32 v81, v81
	v_cndmask_b32_e32 v41, 0, v41, vcc_lo
	v_cmp_ngt_f32_e32 vcc_lo, 0xc2ce8ed0, v27
	v_ldexp_f32 v45, v45, v79
	v_exp_f32_e32 v47, v47
	v_cvt_i32_f32_e32 v97, v97
	v_ldexp_f32 v46, v46, v81
	v_cndmask_b32_e32 v42, 0, v42, vcc_lo
	v_cmp_ngt_f32_e32 vcc_lo, 0xc2ce8ed0, v28
	s_delay_alu instid0(TRANS32_DEP_1) | instid1(VALU_DEP_4)
	v_ldexp_f32 v47, v47, v97
	v_cndmask_b32_e32 v43, 0, v43, vcc_lo
	v_cmp_ngt_f32_e32 vcc_lo, 0xc2ce8ed0, v29
	v_cndmask_b32_e32 v44, 0, v44, vcc_lo
	v_cmp_ngt_f32_e32 vcc_lo, 0xc2ce8ed0, v30
	;; [unrolled: 2-line block ×4, first 2 shown]
	v_cndmask_b32_e32 v47, 0, v47, vcc_lo
	v_cmp_nlt_f32_e32 vcc_lo, 0x42b17218, v17
	v_cndmask_b32_e32 v16, 0x7f800000, v16, vcc_lo
	v_cmp_nlt_f32_e32 vcc_lo, 0x42b17218, v18
	;; [unrolled: 2-line block ×4, first 2 shown]
	s_delay_alu instid0(VALU_DEP_2) | instskip(SKIP_2) | instid1(VALU_DEP_2)
	v_cvt_f16_f32_e32 v33, v17
	v_cndmask_b32_e32 v19, 0x7f800000, v35, vcc_lo
	v_cmp_nlt_f32_e32 vcc_lo, 0x42b17218, v21
	v_pk_fma_f32 v[14:15], v[14:15], v[16:17], v[18:19]
	v_cndmask_b32_e32 v20, 0x7f800000, v36, vcc_lo
	v_cmp_nlt_f32_e32 vcc_lo, 0x42b17218, v22
	v_and_b32_e32 v17, 0xffff, v33
	s_delay_alu instid0(VALU_DEP_3) | instskip(SKIP_2) | instid1(VALU_DEP_4)
	v_cvt_f16_f32_e32 v34, v20
	v_cndmask_b32_e32 v22, 0x7f800000, v37, vcc_lo
	v_cmp_nlt_f32_e32 vcc_lo, 0x42b17218, v23
	v_mul_u32_u24_e32 v17, 0x10001, v17
	s_delay_alu instid0(VALU_DEP_4) | instskip(SKIP_2) | instid1(VALU_DEP_4)
	v_and_b32_e32 v18, 0xffff, v34
	v_cndmask_b32_e32 v21, 0x7f800000, v38, vcc_lo
	v_cmp_nlt_f32_e32 vcc_lo, 0x42b17218, v24
	v_pk_mul_f16 v113, v113, v17
	s_delay_alu instid0(VALU_DEP_4)
	v_mul_u32_u24_e32 v18, 0x10001, v18
	v_pk_mul_f16 v114, v114, v17
	v_cvt_f16_f32_e32 v35, v21
	v_cndmask_b32_e32 v23, 0x7f800000, v39, vcc_lo
	v_cmp_nlt_f32_e32 vcc_lo, 0x42b17218, v25
	v_pk_mul_f16 v111, v111, v18
	v_pk_mul_f16 v112, v112, v18
	v_and_b32_e32 v19, 0xffff, v35
	v_pk_fma_f32 v[12:13], v[12:13], v[20:21], v[22:23]
	v_cndmask_b32_e32 v24, 0x7f800000, v40, vcc_lo
	v_cmp_nlt_f32_e32 vcc_lo, 0x42b17218, v26
	s_delay_alu instid0(VALU_DEP_4) | instskip(NEXT) | instid1(VALU_DEP_3)
	v_mul_u32_u24_e32 v19, 0x10001, v19
	v_cvt_f16_f32_e32 v36, v24
	v_cndmask_b32_e32 v26, 0x7f800000, v41, vcc_lo
	v_cmp_nlt_f32_e32 vcc_lo, 0x42b17218, v27
	s_delay_alu instid0(VALU_DEP_4) | instskip(SKIP_4) | instid1(VALU_DEP_3)
	v_pk_mul_f16 v109, v109, v19
	v_pk_mul_f16 v110, v110, v19
	v_and_b32_e32 v20, 0xffff, v36
	v_cndmask_b32_e32 v25, 0x7f800000, v42, vcc_lo
	v_cmp_nlt_f32_e32 vcc_lo, 0x42b17218, v28
	v_mul_u32_u24_e32 v20, 0x10001, v20
	s_delay_alu instid0(VALU_DEP_3) | instskip(SKIP_2) | instid1(VALU_DEP_4)
	v_cvt_f16_f32_e32 v37, v25
	v_cndmask_b32_e32 v27, 0x7f800000, v43, vcc_lo
	v_cmp_nlt_f32_e32 vcc_lo, 0x42b17218, v29
	v_pk_mul_f16 v107, v107, v20
	v_pk_mul_f16 v108, v108, v20
	v_and_b32_e32 v21, 0xffff, v37
	v_pk_fma_f32 v[10:11], v[10:11], v[24:25], v[26:27]
	v_cndmask_b32_e32 v28, 0x7f800000, v44, vcc_lo
	v_cmp_nlt_f32_e32 vcc_lo, 0x42b17218, v30
	s_delay_alu instid0(VALU_DEP_4) | instskip(NEXT) | instid1(VALU_DEP_3)
	v_mul_u32_u24_e32 v21, 0x10001, v21
	v_cvt_f16_f32_e32 v38, v28
	v_cndmask_b32_e32 v30, 0x7f800000, v45, vcc_lo
	v_cmp_nlt_f32_e32 vcc_lo, 0x42b17218, v31
	s_delay_alu instid0(VALU_DEP_4)
	v_pk_mul_f16 v105, v105, v21
	v_pk_mul_f16 v106, v106, v21
	v_and_b32_e32 v22, 0xffff, v38
	v_cndmask_b32_e32 v29, 0x7f800000, v46, vcc_lo
	v_cmp_nlt_f32_e32 vcc_lo, 0x42b17218, v32
	v_cvt_f16_f32_e32 v32, v16
	s_delay_alu instid0(VALU_DEP_4) | instskip(NEXT) | instid1(VALU_DEP_4)
	v_mul_u32_u24_e32 v22, 0x10001, v22
	v_cvt_f16_f32_e32 v39, v29
	v_cndmask_b32_e32 v31, 0x7f800000, v47, vcc_lo
	s_delay_alu instid0(VALU_DEP_4) | instskip(NEXT) | instid1(VALU_DEP_4)
	v_and_b32_e32 v16, 0xffff, v32
	v_pk_mul_f16 v103, v103, v22
	v_pk_mul_f16 v104, v104, v22
	v_and_b32_e32 v23, 0xffff, v39
	v_pk_fma_f32 v[8:9], v[8:9], v[28:29], v[30:31]
	v_mul_u32_u24_e32 v16, 0x10001, v16
	v_mov_b64_e32 v[30:31], v[6:7]
	v_mov_b64_e32 v[28:29], v[4:5]
	v_mul_u32_u24_e32 v23, 0x10001, v23
	v_mov_b64_e32 v[26:27], v[2:3]
	v_mov_b64_e32 v[24:25], v[0:1]
	v_pk_mul_f16 v115, v115, v16
	v_pk_mul_f16 v116, v116, v16
	;; [unrolled: 1-line block ×4, first 2 shown]
.LBB86_259:
	s_mov_b32 s2, exec_lo
	v_cmpx_gt_i32_e64 s22, v95
	s_cbranch_execz .LBB86_299
; %bb.260:
	s_load_b32 s0, s[0:1], 0xd4
	v_mov_b32_e32 v0, 1.0
	s_wait_kmcnt 0x0
	s_cmp_lg_u32 s0, 1
	s_cselect_b32 s2, -1, 0
	s_cmp_eq_u32 s0, 1
	s_cselect_b32 s3, -1, 0
	s_and_b32 vcc_lo, exec_lo, s2
	s_cbranch_vccnz .LBB86_262
; %bb.261:
	v_div_scale_f32 v0, null, v14, v14, 1.0
	s_delay_alu instid0(VALU_DEP_1) | instskip(SKIP_1) | instid1(TRANS32_DEP_1)
	v_rcp_f32_e32 v1, v0
	v_nop
	v_fma_f32 v2, -v0, v1, 1.0
	s_delay_alu instid0(VALU_DEP_1) | instskip(SKIP_1) | instid1(VALU_DEP_1)
	v_fmac_f32_e32 v1, v2, v1
	v_div_scale_f32 v2, vcc_lo, 1.0, v14, 1.0
	v_mul_f32_e32 v3, v2, v1
	s_delay_alu instid0(VALU_DEP_1) | instskip(NEXT) | instid1(VALU_DEP_1)
	v_fma_f32 v4, -v0, v3, v2
	v_fmac_f32_e32 v3, v4, v1
	s_delay_alu instid0(VALU_DEP_1) | instskip(NEXT) | instid1(VALU_DEP_1)
	v_fma_f32 v0, -v0, v3, v2
	v_div_fmas_f32 v0, v0, v1, v3
	s_delay_alu instid0(VALU_DEP_1)
	v_div_fixup_f32 v0, v0, v14, 1.0
.LBB86_262:
	s_mul_i32 s1, s34, s22
	v_dual_mov_b32 v5, 0 :: v_dual_lshrrev_b32 v7, 16, v116
	s_add_co_i32 s1, s1, s40
	s_delay_alu instid0(SALU_CYCLE_1) | instskip(SKIP_3) | instid1(VALU_DEP_4)
	v_dual_lshrrev_b32 v3, 16, v115 :: v_dual_add_nc_u32 v1, s1, v92
	v_cvt_f32_f16_e32 v2, v115
	v_cvt_f32_f16_e32 v6, v116
	v_cvt_f32_f16_e32 v7, v7
	v_cvt_f32_f16_e32 v3, v3
	v_mad_u32 v1, v1, s23, s33
	v_cmp_eq_u32_e32 vcc_lo, 0, v48
	s_and_b32 s2, vcc_lo, s2
	s_delay_alu instid0(VALU_DEP_2) | instskip(NEXT) | instid1(VALU_DEP_1)
	v_mad_u32 v1, s0, v1, s20
	v_lshl_add_u32 v4, v1, 7, v65
	v_pk_mul_f32 v[2:3], v[0:1], v[2:3] op_sel_hi:[0,1]
	s_delay_alu instid0(VALU_DEP_2)
	v_lshl_add_u64 v[16:17], v[4:5], 2, s[16:17]
	v_pk_mul_f32 v[4:5], v[0:1], v[6:7] op_sel_hi:[0,1]
	global_store_b128 v[16:17], v[2:5], off
	s_wait_xcnt 0x0
	s_and_saveexec_b32 s4, s2
	s_cbranch_execz .LBB86_264
; %bb.263:
	v_dual_mov_b32 v2, v24 :: v_dual_mov_b32 v3, v14
	global_store_b64 v1, v[2:3], s[18:19] scale_offset
.LBB86_264:
	s_wait_xcnt 0x0
	s_or_b32 exec_lo, exec_lo, s4
	v_cmp_gt_i32_e32 vcc_lo, s22, v94
	s_and_b32 exec_lo, exec_lo, vcc_lo
	s_cbranch_execz .LBB86_299
; %bb.265:
	v_cndmask_b32_e64 v1, 0, 1, s3
	v_mov_b32_e32 v0, 1.0
	s_and_not1_b32 vcc_lo, exec_lo, s3
	s_cbranch_vccnz .LBB86_267
; %bb.266:
	v_div_scale_f32 v0, null, v15, v15, 1.0
	s_delay_alu instid0(VALU_DEP_1) | instskip(SKIP_1) | instid1(TRANS32_DEP_1)
	v_rcp_f32_e32 v2, v0
	v_nop
	v_fma_f32 v3, -v0, v2, 1.0
	s_delay_alu instid0(VALU_DEP_1) | instskip(SKIP_1) | instid1(VALU_DEP_1)
	v_fmac_f32_e32 v2, v3, v2
	v_div_scale_f32 v3, vcc_lo, 1.0, v15, 1.0
	v_mul_f32_e32 v4, v3, v2
	s_delay_alu instid0(VALU_DEP_1) | instskip(NEXT) | instid1(VALU_DEP_1)
	v_fma_f32 v5, -v0, v4, v3
	v_fmac_f32_e32 v4, v5, v2
	s_delay_alu instid0(VALU_DEP_1) | instskip(NEXT) | instid1(VALU_DEP_1)
	v_fma_f32 v0, -v0, v4, v3
	v_div_fmas_f32 v0, v0, v2, v4
	s_delay_alu instid0(VALU_DEP_1)
	v_div_fixup_f32 v0, v0, v15, 1.0
.LBB86_267:
	v_dual_add_nc_u32 v2, s1, v91 :: v_dual_lshrrev_b32 v3, 16, v113
	v_dual_mov_b32 v7, 0 :: v_dual_lshrrev_b32 v14, 16, v114
	v_cvt_f32_f16_e32 v4, v113
	s_delay_alu instid0(VALU_DEP_3) | instskip(SKIP_3) | instid1(VALU_DEP_2)
	v_mad_u32 v2, v2, s23, s33
	v_cvt_f32_f16_e32 v16, v114
	v_cvt_f32_f16_e32 v5, v3
	;; [unrolled: 1-line block ×3, first 2 shown]
	v_pk_mul_f32 v[4:5], v[0:1], v[4:5] op_sel_hi:[0,1]
	v_mad_u32 v2, s0, v2, s20
	s_delay_alu instid0(VALU_DEP_1) | instskip(NEXT) | instid1(VALU_DEP_1)
	v_lshl_add_u32 v6, v2, 7, v65
	v_lshl_add_u64 v[18:19], v[6:7], 2, s[16:17]
	v_pk_mul_f32 v[6:7], v[0:1], v[16:17] op_sel_hi:[0,1]
	global_store_b128 v[18:19], v[4:7], off
	s_wait_xcnt 0x0
	s_and_saveexec_b32 s3, s2
	s_cbranch_execz .LBB86_269
; %bb.268:
	v_mov_b32_e32 v14, v25
	global_store_b64 v2, v[14:15], s[18:19] scale_offset
.LBB86_269:
	s_wait_xcnt 0x0
	s_or_b32 exec_lo, exec_lo, s3
	v_cmp_gt_i32_e32 vcc_lo, s22, v93
	s_and_b32 exec_lo, exec_lo, vcc_lo
	s_cbranch_execz .LBB86_299
; %bb.270:
	v_cmp_ne_u32_e32 vcc_lo, 1, v1
	v_mov_b32_e32 v0, 1.0
	s_cbranch_vccnz .LBB86_272
; %bb.271:
	v_div_scale_f32 v0, null, v12, v12, 1.0
	s_delay_alu instid0(VALU_DEP_1) | instskip(SKIP_1) | instid1(TRANS32_DEP_1)
	v_rcp_f32_e32 v2, v0
	v_nop
	v_fma_f32 v3, -v0, v2, 1.0
	s_delay_alu instid0(VALU_DEP_1) | instskip(SKIP_1) | instid1(VALU_DEP_1)
	v_fmac_f32_e32 v2, v3, v2
	v_div_scale_f32 v3, vcc_lo, 1.0, v12, 1.0
	v_mul_f32_e32 v4, v3, v2
	s_delay_alu instid0(VALU_DEP_1) | instskip(NEXT) | instid1(VALU_DEP_1)
	v_fma_f32 v5, -v0, v4, v3
	v_fmac_f32_e32 v4, v5, v2
	s_delay_alu instid0(VALU_DEP_1) | instskip(NEXT) | instid1(VALU_DEP_1)
	v_fma_f32 v0, -v0, v4, v3
	v_div_fmas_f32 v0, v0, v2, v4
	s_delay_alu instid0(VALU_DEP_1)
	v_div_fixup_f32 v0, v0, v12, 1.0
.LBB86_272:
	v_dual_add_nc_u32 v2, s1, v89 :: v_dual_lshrrev_b32 v3, 16, v111
	v_dual_mov_b32 v7, 0 :: v_dual_lshrrev_b32 v15, 16, v112
	v_cvt_f32_f16_e32 v4, v111
	s_delay_alu instid0(VALU_DEP_3) | instskip(SKIP_3) | instid1(VALU_DEP_2)
	v_mad_u32 v2, v2, s23, s33
	v_cvt_f32_f16_e32 v14, v112
	v_cvt_f32_f16_e32 v5, v3
	;; [unrolled: 1-line block ×3, first 2 shown]
	v_pk_mul_f32 v[4:5], v[0:1], v[4:5] op_sel_hi:[0,1]
	v_mad_u32 v2, s0, v2, s20
	s_delay_alu instid0(VALU_DEP_1) | instskip(NEXT) | instid1(VALU_DEP_1)
	v_lshl_add_u32 v6, v2, 7, v65
	v_lshl_add_u64 v[16:17], v[6:7], 2, s[16:17]
	v_pk_mul_f32 v[6:7], v[0:1], v[14:15] op_sel_hi:[0,1]
	global_store_b128 v[16:17], v[4:7], off
	s_wait_xcnt 0x0
	s_and_saveexec_b32 s3, s2
	s_cbranch_execz .LBB86_274
; %bb.273:
	v_dual_mov_b32 v4, v26 :: v_dual_mov_b32 v5, v12
	global_store_b64 v2, v[4:5], s[18:19] scale_offset
.LBB86_274:
	s_wait_xcnt 0x0
	s_or_b32 exec_lo, exec_lo, s3
	v_cmp_gt_i32_e32 vcc_lo, s22, v90
	s_and_b32 exec_lo, exec_lo, vcc_lo
	s_cbranch_execz .LBB86_299
; %bb.275:
	v_cmp_ne_u32_e32 vcc_lo, 1, v1
	v_mov_b32_e32 v0, 1.0
	s_cbranch_vccnz .LBB86_277
; %bb.276:
	v_div_scale_f32 v0, null, v13, v13, 1.0
	s_delay_alu instid0(VALU_DEP_1) | instskip(SKIP_1) | instid1(TRANS32_DEP_1)
	v_rcp_f32_e32 v2, v0
	v_nop
	v_fma_f32 v3, -v0, v2, 1.0
	s_delay_alu instid0(VALU_DEP_1) | instskip(SKIP_1) | instid1(VALU_DEP_1)
	v_fmac_f32_e32 v2, v3, v2
	v_div_scale_f32 v3, vcc_lo, 1.0, v13, 1.0
	v_mul_f32_e32 v4, v3, v2
	s_delay_alu instid0(VALU_DEP_1) | instskip(NEXT) | instid1(VALU_DEP_1)
	v_fma_f32 v5, -v0, v4, v3
	v_fmac_f32_e32 v4, v5, v2
	s_delay_alu instid0(VALU_DEP_1) | instskip(NEXT) | instid1(VALU_DEP_1)
	v_fma_f32 v0, -v0, v4, v3
	v_div_fmas_f32 v0, v0, v2, v4
	s_delay_alu instid0(VALU_DEP_1)
	v_div_fixup_f32 v0, v0, v13, 1.0
.LBB86_277:
	v_dual_add_nc_u32 v2, s1, v87 :: v_dual_lshrrev_b32 v3, 16, v109
	v_dual_mov_b32 v7, 0 :: v_dual_lshrrev_b32 v12, 16, v110
	v_cvt_f32_f16_e32 v4, v109
	s_delay_alu instid0(VALU_DEP_3) | instskip(SKIP_3) | instid1(VALU_DEP_2)
	v_mad_u32 v2, v2, s23, s33
	v_cvt_f32_f16_e32 v14, v110
	v_cvt_f32_f16_e32 v5, v3
	;; [unrolled: 1-line block ×3, first 2 shown]
	v_pk_mul_f32 v[4:5], v[0:1], v[4:5] op_sel_hi:[0,1]
	v_mad_u32 v2, s0, v2, s20
	s_delay_alu instid0(VALU_DEP_1) | instskip(NEXT) | instid1(VALU_DEP_1)
	v_lshl_add_u32 v6, v2, 7, v65
	v_lshl_add_u64 v[16:17], v[6:7], 2, s[16:17]
	v_pk_mul_f32 v[6:7], v[0:1], v[14:15] op_sel_hi:[0,1]
	global_store_b128 v[16:17], v[4:7], off
	s_wait_xcnt 0x0
	s_and_saveexec_b32 s3, s2
	s_cbranch_execz .LBB86_279
; %bb.278:
	v_mov_b32_e32 v12, v27
	global_store_b64 v2, v[12:13], s[18:19] scale_offset
.LBB86_279:
	s_wait_xcnt 0x0
	s_or_b32 exec_lo, exec_lo, s3
	v_cmp_gt_i32_e32 vcc_lo, s22, v88
	s_and_b32 exec_lo, exec_lo, vcc_lo
	s_cbranch_execz .LBB86_299
; %bb.280:
	v_cmp_ne_u32_e32 vcc_lo, 1, v1
	v_mov_b32_e32 v0, 1.0
	s_cbranch_vccnz .LBB86_282
; %bb.281:
	v_div_scale_f32 v0, null, v10, v10, 1.0
	s_delay_alu instid0(VALU_DEP_1) | instskip(SKIP_1) | instid1(TRANS32_DEP_1)
	v_rcp_f32_e32 v2, v0
	v_nop
	v_fma_f32 v3, -v0, v2, 1.0
	s_delay_alu instid0(VALU_DEP_1) | instskip(SKIP_1) | instid1(VALU_DEP_1)
	v_fmac_f32_e32 v2, v3, v2
	v_div_scale_f32 v3, vcc_lo, 1.0, v10, 1.0
	v_mul_f32_e32 v4, v3, v2
	s_delay_alu instid0(VALU_DEP_1) | instskip(NEXT) | instid1(VALU_DEP_1)
	v_fma_f32 v5, -v0, v4, v3
	v_fmac_f32_e32 v4, v5, v2
	s_delay_alu instid0(VALU_DEP_1) | instskip(NEXT) | instid1(VALU_DEP_1)
	v_fma_f32 v0, -v0, v4, v3
	v_div_fmas_f32 v0, v0, v2, v4
	s_delay_alu instid0(VALU_DEP_1)
	v_div_fixup_f32 v0, v0, v10, 1.0
.LBB86_282:
	v_dual_add_nc_u32 v2, s1, v85 :: v_dual_lshrrev_b32 v3, 16, v107
	v_dual_mov_b32 v7, 0 :: v_dual_lshrrev_b32 v13, 16, v108
	v_cvt_f32_f16_e32 v4, v107
	s_delay_alu instid0(VALU_DEP_3) | instskip(SKIP_3) | instid1(VALU_DEP_2)
	v_mad_u32 v2, v2, s23, s33
	v_cvt_f32_f16_e32 v12, v108
	v_cvt_f32_f16_e32 v5, v3
	v_cvt_f32_f16_e32 v13, v13
	v_pk_mul_f32 v[4:5], v[0:1], v[4:5] op_sel_hi:[0,1]
	v_mad_u32 v2, s0, v2, s20
	s_delay_alu instid0(VALU_DEP_1) | instskip(NEXT) | instid1(VALU_DEP_1)
	v_lshl_add_u32 v6, v2, 7, v65
	v_lshl_add_u64 v[14:15], v[6:7], 2, s[16:17]
	v_pk_mul_f32 v[6:7], v[0:1], v[12:13] op_sel_hi:[0,1]
	global_store_b128 v[14:15], v[4:7], off
	s_wait_xcnt 0x0
	s_and_saveexec_b32 s3, s2
	s_cbranch_execz .LBB86_284
; %bb.283:
	v_dual_mov_b32 v4, v28 :: v_dual_mov_b32 v5, v10
	global_store_b64 v2, v[4:5], s[18:19] scale_offset
.LBB86_284:
	s_wait_xcnt 0x0
	s_or_b32 exec_lo, exec_lo, s3
	v_cmp_gt_i32_e32 vcc_lo, s22, v84
	s_and_b32 exec_lo, exec_lo, vcc_lo
	s_cbranch_execz .LBB86_299
; %bb.285:
	v_cmp_ne_u32_e32 vcc_lo, 1, v1
	v_mov_b32_e32 v0, 1.0
	s_cbranch_vccnz .LBB86_287
; %bb.286:
	v_div_scale_f32 v0, null, v11, v11, 1.0
	s_delay_alu instid0(VALU_DEP_1) | instskip(SKIP_1) | instid1(TRANS32_DEP_1)
	v_rcp_f32_e32 v2, v0
	v_nop
	v_fma_f32 v3, -v0, v2, 1.0
	s_delay_alu instid0(VALU_DEP_1) | instskip(SKIP_1) | instid1(VALU_DEP_1)
	v_fmac_f32_e32 v2, v3, v2
	v_div_scale_f32 v3, vcc_lo, 1.0, v11, 1.0
	v_mul_f32_e32 v4, v3, v2
	s_delay_alu instid0(VALU_DEP_1) | instskip(NEXT) | instid1(VALU_DEP_1)
	v_fma_f32 v5, -v0, v4, v3
	v_fmac_f32_e32 v4, v5, v2
	s_delay_alu instid0(VALU_DEP_1) | instskip(NEXT) | instid1(VALU_DEP_1)
	v_fma_f32 v0, -v0, v4, v3
	v_div_fmas_f32 v0, v0, v2, v4
	s_delay_alu instid0(VALU_DEP_1)
	v_div_fixup_f32 v0, v0, v11, 1.0
.LBB86_287:
	v_dual_add_nc_u32 v2, s1, v82 :: v_dual_lshrrev_b32 v3, 16, v105
	v_dual_mov_b32 v7, 0 :: v_dual_lshrrev_b32 v10, 16, v106
	v_cvt_f32_f16_e32 v4, v105
	s_delay_alu instid0(VALU_DEP_3) | instskip(SKIP_3) | instid1(VALU_DEP_2)
	v_mad_u32 v2, v2, s23, s33
	v_cvt_f32_f16_e32 v12, v106
	v_cvt_f32_f16_e32 v5, v3
	;; [unrolled: 1-line block ×3, first 2 shown]
	v_pk_mul_f32 v[4:5], v[0:1], v[4:5] op_sel_hi:[0,1]
	v_mad_u32 v2, s0, v2, s20
	s_delay_alu instid0(VALU_DEP_1) | instskip(NEXT) | instid1(VALU_DEP_1)
	v_lshl_add_u32 v6, v2, 7, v65
	v_lshl_add_u64 v[14:15], v[6:7], 2, s[16:17]
	v_pk_mul_f32 v[6:7], v[0:1], v[12:13] op_sel_hi:[0,1]
	global_store_b128 v[14:15], v[4:7], off
	s_wait_xcnt 0x0
	s_and_saveexec_b32 s3, s2
	s_cbranch_execz .LBB86_289
; %bb.288:
	v_mov_b32_e32 v10, v29
	global_store_b64 v2, v[10:11], s[18:19] scale_offset
.LBB86_289:
	s_wait_xcnt 0x0
	s_or_b32 exec_lo, exec_lo, s3
	v_cmp_gt_i32_e32 vcc_lo, s22, v86
	s_and_b32 exec_lo, exec_lo, vcc_lo
	s_cbranch_execz .LBB86_299
; %bb.290:
	v_cmp_ne_u32_e32 vcc_lo, 1, v1
	v_mov_b32_e32 v0, 1.0
	s_cbranch_vccnz .LBB86_292
; %bb.291:
	v_div_scale_f32 v0, null, v8, v8, 1.0
	s_delay_alu instid0(VALU_DEP_1) | instskip(SKIP_1) | instid1(TRANS32_DEP_1)
	v_rcp_f32_e32 v2, v0
	v_nop
	v_fma_f32 v3, -v0, v2, 1.0
	s_delay_alu instid0(VALU_DEP_1) | instskip(SKIP_1) | instid1(VALU_DEP_1)
	v_fmac_f32_e32 v2, v3, v2
	v_div_scale_f32 v3, vcc_lo, 1.0, v8, 1.0
	v_mul_f32_e32 v4, v3, v2
	s_delay_alu instid0(VALU_DEP_1) | instskip(NEXT) | instid1(VALU_DEP_1)
	v_fma_f32 v5, -v0, v4, v3
	v_fmac_f32_e32 v4, v5, v2
	s_delay_alu instid0(VALU_DEP_1) | instskip(NEXT) | instid1(VALU_DEP_1)
	v_fma_f32 v0, -v0, v4, v3
	v_div_fmas_f32 v0, v0, v2, v4
	s_delay_alu instid0(VALU_DEP_1)
	v_div_fixup_f32 v0, v0, v8, 1.0
.LBB86_292:
	v_dual_mov_b32 v7, 0 :: v_dual_add_nc_u32 v2, s1, v83
	v_dual_lshrrev_b32 v3, 16, v103 :: v_dual_lshrrev_b32 v11, 16, v104
	v_cvt_f32_f16_e32 v4, v103
	s_delay_alu instid0(VALU_DEP_3) | instskip(SKIP_1) | instid1(VALU_DEP_4)
	v_mad_u32 v2, v2, s23, s33
	v_cvt_f32_f16_e32 v10, v104
	v_cvt_f32_f16_e32 v5, v3
	v_cvt_f32_f16_e32 v11, v11
	s_delay_alu instid0(VALU_DEP_2) | instskip(SKIP_1) | instid1(VALU_DEP_1)
	v_pk_mul_f32 v[4:5], v[0:1], v[4:5] op_sel_hi:[0,1]
	v_mad_u32 v2, s0, v2, s20
	v_lshl_add_u32 v6, v2, 7, v65
	s_delay_alu instid0(VALU_DEP_1)
	v_lshl_add_u64 v[12:13], v[6:7], 2, s[16:17]
	v_pk_mul_f32 v[6:7], v[0:1], v[10:11] op_sel_hi:[0,1]
	global_store_b128 v[12:13], v[4:7], off
	s_wait_xcnt 0x0
	s_and_saveexec_b32 s3, s2
	s_cbranch_execz .LBB86_294
; %bb.293:
	v_dual_mov_b32 v4, v30 :: v_dual_mov_b32 v5, v8
	global_store_b64 v2, v[4:5], s[18:19] scale_offset
.LBB86_294:
	s_wait_xcnt 0x0
	s_or_b32 exec_lo, exec_lo, s3
	v_cmp_gt_i32_e32 vcc_lo, s22, v69
	s_and_b32 exec_lo, exec_lo, vcc_lo
	s_cbranch_execz .LBB86_299
; %bb.295:
	v_cmp_ne_u32_e32 vcc_lo, 1, v1
	v_mov_b32_e32 v0, 1.0
	s_cbranch_vccnz .LBB86_297
; %bb.296:
	v_div_scale_f32 v0, null, v9, v9, 1.0
	s_delay_alu instid0(VALU_DEP_1) | instskip(SKIP_1) | instid1(TRANS32_DEP_1)
	v_rcp_f32_e32 v1, v0
	v_nop
	v_fma_f32 v2, -v0, v1, 1.0
	s_delay_alu instid0(VALU_DEP_1) | instskip(SKIP_1) | instid1(VALU_DEP_1)
	v_fmac_f32_e32 v1, v2, v1
	v_div_scale_f32 v2, vcc_lo, 1.0, v9, 1.0
	v_mul_f32_e32 v3, v2, v1
	s_delay_alu instid0(VALU_DEP_1) | instskip(NEXT) | instid1(VALU_DEP_1)
	v_fma_f32 v4, -v0, v3, v2
	v_fmac_f32_e32 v3, v4, v1
	s_delay_alu instid0(VALU_DEP_1) | instskip(NEXT) | instid1(VALU_DEP_1)
	v_fma_f32 v0, -v0, v3, v2
	v_div_fmas_f32 v0, v0, v1, v3
	s_delay_alu instid0(VALU_DEP_1)
	v_div_fixup_f32 v0, v0, v9, 1.0
.LBB86_297:
	v_dual_add_nc_u32 v1, s1, v51 :: v_dual_lshrrev_b32 v3, 16, v101
	v_dual_mov_b32 v5, 0 :: v_dual_lshrrev_b32 v7, 16, v102
	v_cvt_f32_f16_e32 v2, v101
	s_delay_alu instid0(VALU_DEP_3) | instskip(SKIP_3) | instid1(VALU_DEP_4)
	v_mad_u32 v1, v1, s23, s33
	v_cvt_f32_f16_e32 v6, v102
	v_cvt_f32_f16_e32 v3, v3
	;; [unrolled: 1-line block ×3, first 2 shown]
	v_mad_u32 v1, s0, v1, s20
	s_delay_alu instid0(VALU_DEP_1) | instskip(NEXT) | instid1(VALU_DEP_4)
	v_lshl_add_u32 v4, v1, 7, v65
	v_pk_mul_f32 v[2:3], v[0:1], v[2:3] op_sel_hi:[0,1]
	s_delay_alu instid0(VALU_DEP_2)
	v_lshl_add_u64 v[10:11], v[4:5], 2, s[16:17]
	v_pk_mul_f32 v[4:5], v[0:1], v[6:7] op_sel_hi:[0,1]
	global_store_b128 v[10:11], v[2:5], off
	s_wait_xcnt 0x0
	s_and_b32 exec_lo, exec_lo, s2
	s_cbranch_execz .LBB86_299
; %bb.298:
	v_mov_b32_e32 v8, v31
	global_store_b64 v1, v[8:9], s[18:19] scale_offset
.LBB86_299:
	s_sendmsg sendmsg(MSG_DEALLOC_VGPRS)
	s_endpgm
	.section	.rodata,"a",@progbits
	.p2align	6, 0x0
	.amdhsa_kernel _ZL15flash_attn_tileILi128ELi128ELi64ELi1ELb1EEvPKcS1_S1_S1_S1_PKiPfP15HIP_vector_typeIfLj2EEffffjfiS5_IjLj3EEiiiiiiiiiiiliiliiiiil
		.amdhsa_group_segment_fixed_size 33792
		.amdhsa_private_segment_fixed_size 32
		.amdhsa_kernarg_size 464
		.amdhsa_user_sgpr_count 2
		.amdhsa_user_sgpr_dispatch_ptr 0
		.amdhsa_user_sgpr_queue_ptr 0
		.amdhsa_user_sgpr_kernarg_segment_ptr 1
		.amdhsa_user_sgpr_dispatch_id 0
		.amdhsa_user_sgpr_kernarg_preload_length 0
		.amdhsa_user_sgpr_kernarg_preload_offset 0
		.amdhsa_user_sgpr_private_segment_size 0
		.amdhsa_wavefront_size32 1
		.amdhsa_uses_dynamic_stack 0
		.amdhsa_enable_private_segment 1
		.amdhsa_system_sgpr_workgroup_id_x 1
		.amdhsa_system_sgpr_workgroup_id_y 1
		.amdhsa_system_sgpr_workgroup_id_z 1
		.amdhsa_system_sgpr_workgroup_info 0
		.amdhsa_system_vgpr_workitem_id 1
		.amdhsa_next_free_vgpr 156
		.amdhsa_next_free_sgpr 48
		.amdhsa_named_barrier_count 0
		.amdhsa_reserve_vcc 1
		.amdhsa_float_round_mode_32 0
		.amdhsa_float_round_mode_16_64 0
		.amdhsa_float_denorm_mode_32 3
		.amdhsa_float_denorm_mode_16_64 3
		.amdhsa_fp16_overflow 0
		.amdhsa_memory_ordered 1
		.amdhsa_forward_progress 1
		.amdhsa_inst_pref_size 255
		.amdhsa_round_robin_scheduling 0
		.amdhsa_exception_fp_ieee_invalid_op 0
		.amdhsa_exception_fp_denorm_src 0
		.amdhsa_exception_fp_ieee_div_zero 0
		.amdhsa_exception_fp_ieee_overflow 0
		.amdhsa_exception_fp_ieee_underflow 0
		.amdhsa_exception_fp_ieee_inexact 0
		.amdhsa_exception_int_div_zero 0
	.end_amdhsa_kernel
	.section	.text._ZL15flash_attn_tileILi128ELi128ELi64ELi1ELb1EEvPKcS1_S1_S1_S1_PKiPfP15HIP_vector_typeIfLj2EEffffjfiS5_IjLj3EEiiiiiiiiiiiliiliiiiil,"axG",@progbits,_ZL15flash_attn_tileILi128ELi128ELi64ELi1ELb1EEvPKcS1_S1_S1_S1_PKiPfP15HIP_vector_typeIfLj2EEffffjfiS5_IjLj3EEiiiiiiiiiiiliiliiiiil,comdat
.Lfunc_end86:
	.size	_ZL15flash_attn_tileILi128ELi128ELi64ELi1ELb1EEvPKcS1_S1_S1_S1_PKiPfP15HIP_vector_typeIfLj2EEffffjfiS5_IjLj3EEiiiiiiiiiiiliiliiiiil, .Lfunc_end86-_ZL15flash_attn_tileILi128ELi128ELi64ELi1ELb1EEvPKcS1_S1_S1_S1_PKiPfP15HIP_vector_typeIfLj2EEffffjfiS5_IjLj3EEiiiiiiiiiiiliiliiiiil
                                        ; -- End function
	.set _ZL15flash_attn_tileILi128ELi128ELi64ELi1ELb1EEvPKcS1_S1_S1_S1_PKiPfP15HIP_vector_typeIfLj2EEffffjfiS5_IjLj3EEiiiiiiiiiiiliiliiiiil.num_vgpr, 156
	.set _ZL15flash_attn_tileILi128ELi128ELi64ELi1ELb1EEvPKcS1_S1_S1_S1_PKiPfP15HIP_vector_typeIfLj2EEffffjfiS5_IjLj3EEiiiiiiiiiiiliiliiiiil.num_agpr, 0
	.set _ZL15flash_attn_tileILi128ELi128ELi64ELi1ELb1EEvPKcS1_S1_S1_S1_PKiPfP15HIP_vector_typeIfLj2EEffffjfiS5_IjLj3EEiiiiiiiiiiiliiliiiiil.numbered_sgpr, 48
	.set _ZL15flash_attn_tileILi128ELi128ELi64ELi1ELb1EEvPKcS1_S1_S1_S1_PKiPfP15HIP_vector_typeIfLj2EEffffjfiS5_IjLj3EEiiiiiiiiiiiliiliiiiil.num_named_barrier, 0
	.set _ZL15flash_attn_tileILi128ELi128ELi64ELi1ELb1EEvPKcS1_S1_S1_S1_PKiPfP15HIP_vector_typeIfLj2EEffffjfiS5_IjLj3EEiiiiiiiiiiiliiliiiiil.private_seg_size, 32
	.set _ZL15flash_attn_tileILi128ELi128ELi64ELi1ELb1EEvPKcS1_S1_S1_S1_PKiPfP15HIP_vector_typeIfLj2EEffffjfiS5_IjLj3EEiiiiiiiiiiiliiliiiiil.uses_vcc, 1
	.set _ZL15flash_attn_tileILi128ELi128ELi64ELi1ELb1EEvPKcS1_S1_S1_S1_PKiPfP15HIP_vector_typeIfLj2EEffffjfiS5_IjLj3EEiiiiiiiiiiiliiliiiiil.uses_flat_scratch, 1
	.set _ZL15flash_attn_tileILi128ELi128ELi64ELi1ELb1EEvPKcS1_S1_S1_S1_PKiPfP15HIP_vector_typeIfLj2EEffffjfiS5_IjLj3EEiiiiiiiiiiiliiliiiiil.has_dyn_sized_stack, 0
	.set _ZL15flash_attn_tileILi128ELi128ELi64ELi1ELb1EEvPKcS1_S1_S1_S1_PKiPfP15HIP_vector_typeIfLj2EEffffjfiS5_IjLj3EEiiiiiiiiiiiliiliiiiil.has_recursion, 0
	.set _ZL15flash_attn_tileILi128ELi128ELi64ELi1ELb1EEvPKcS1_S1_S1_S1_PKiPfP15HIP_vector_typeIfLj2EEffffjfiS5_IjLj3EEiiiiiiiiiiiliiliiiiil.has_indirect_call, 0
	.section	.AMDGPU.csdata,"",@progbits
; Kernel info:
; codeLenInByte = 69488
; TotalNumSgprs: 50
; NumVgprs: 156
; ScratchSize: 32
; MemoryBound: 0
; FloatMode: 240
; IeeeMode: 1
; LDSByteSize: 33792 bytes/workgroup (compile time only)
; SGPRBlocks: 0
; VGPRBlocks: 9
; NumSGPRsForWavesPerEU: 50
; NumVGPRsForWavesPerEU: 156
; NamedBarCnt: 0
; Occupancy: 6
; WaveLimiterHint : 0
; COMPUTE_PGM_RSRC2:SCRATCH_EN: 1
; COMPUTE_PGM_RSRC2:USER_SGPR: 2
; COMPUTE_PGM_RSRC2:TRAP_HANDLER: 0
; COMPUTE_PGM_RSRC2:TGID_X_EN: 1
; COMPUTE_PGM_RSRC2:TGID_Y_EN: 1
; COMPUTE_PGM_RSRC2:TGID_Z_EN: 1
; COMPUTE_PGM_RSRC2:TIDIG_COMP_CNT: 1
	.section	.text._ZL15flash_attn_tileILi128ELi128ELi32ELi1ELb1EEvPKcS1_S1_S1_S1_PKiPfP15HIP_vector_typeIfLj2EEffffjfiS5_IjLj3EEiiiiiiiiiiiliiliiiiil,"axG",@progbits,_ZL15flash_attn_tileILi128ELi128ELi32ELi1ELb1EEvPKcS1_S1_S1_S1_PKiPfP15HIP_vector_typeIfLj2EEffffjfiS5_IjLj3EEiiiiiiiiiiiliiliiiiil,comdat
	.globl	_ZL15flash_attn_tileILi128ELi128ELi32ELi1ELb1EEvPKcS1_S1_S1_S1_PKiPfP15HIP_vector_typeIfLj2EEffffjfiS5_IjLj3EEiiiiiiiiiiiliiliiiiil ; -- Begin function _ZL15flash_attn_tileILi128ELi128ELi32ELi1ELb1EEvPKcS1_S1_S1_S1_PKiPfP15HIP_vector_typeIfLj2EEffffjfiS5_IjLj3EEiiiiiiiiiiiliiliiiiil
	.p2align	8
	.type	_ZL15flash_attn_tileILi128ELi128ELi32ELi1ELb1EEvPKcS1_S1_S1_S1_PKiPfP15HIP_vector_typeIfLj2EEffffjfiS5_IjLj3EEiiiiiiiiiiiliiliiiiil,@function
_ZL15flash_attn_tileILi128ELi128ELi32ELi1ELb1EEvPKcS1_S1_S1_S1_PKiPfP15HIP_vector_typeIfLj2EEffffjfiS5_IjLj3EEiiiiiiiiiiiliiliiiiil: ; @_ZL15flash_attn_tileILi128ELi128ELi32ELi1ELb1EEvPKcS1_S1_S1_S1_PKiPfP15HIP_vector_typeIfLj2EEffffjfiS5_IjLj3EEiiiiiiiiiiiliiliiiiil
; %bb.0:
	s_clause 0x1
	s_load_b128 s[20:23], s[0:1], 0x5c
	s_load_b64 s[2:3], s[0:1], 0x80
	s_bfe_u32 s6, ttmp6, 0x40014
	s_lshr_b32 s5, ttmp7, 16
	s_add_co_i32 s6, s6, 1
	s_bfe_u32 s7, ttmp6, 0x40008
	s_mul_i32 s6, s5, s6
	s_getreg_b32 s43, hwreg(HW_REG_IB_STS2, 6, 4)
	s_add_co_i32 s7, s7, s6
	s_load_b64 s[30:31], s[0:1], 0xb8
	s_mov_b32 s39, 0
	s_mov_b64 s[36:37], 0
	s_wait_kmcnt 0x0
	s_cvt_f32_u32 s4, s23
	s_sub_co_i32 s8, 0, s23
	s_delay_alu instid0(SALU_CYCLE_2) | instskip(SKIP_1) | instid1(TRANS32_DEP_1)
	v_rcp_iflag_f32_e32 v1, s4
	v_nop
	v_readfirstlane_b32 s4, v1
	s_mul_f32 s4, s4, 0x4f7ffffe
	s_delay_alu instid0(SALU_CYCLE_3) | instskip(NEXT) | instid1(SALU_CYCLE_3)
	s_cvt_u32_f32 s4, s4
	s_mul_i32 s8, s8, s4
	s_delay_alu instid0(SALU_CYCLE_1) | instskip(NEXT) | instid1(SALU_CYCLE_1)
	s_mul_hi_u32 s8, s4, s8
	s_add_co_i32 s4, s4, s8
	s_cmp_eq_u32 s43, 0
	s_cselect_b32 s5, s5, s7
	s_delay_alu instid0(SALU_CYCLE_1) | instskip(NEXT) | instid1(SALU_CYCLE_1)
	s_mul_hi_u32 s4, s5, s4
	s_mul_i32 s6, s4, s23
	s_add_co_i32 s7, s4, 1
	s_sub_co_i32 s6, s5, s6
	s_delay_alu instid0(SALU_CYCLE_1)
	s_sub_co_i32 s8, s6, s23
	s_cmp_ge_u32 s6, s23
	s_cselect_b32 s4, s7, s4
	s_cselect_b32 s6, s8, s6
	s_add_co_i32 s7, s4, 1
	s_cmp_ge_u32 s6, s23
	s_cselect_b32 s34, s7, s4
	s_abs_i32 s4, s3
	s_mul_i32 s8, s34, s23
	s_cvt_f32_u32 s6, s4
	s_sub_co_i32 s7, 0, s4
	s_abs_i32 s9, s23
	s_sub_co_i32 s33, s5, s8
	v_rcp_iflag_f32_e32 v1, s6
	s_xor_b32 s3, s23, s3
	s_delay_alu instid0(SALU_CYCLE_1) | instskip(SKIP_1) | instid1(TRANS32_DEP_1)
	s_ashr_i32 s3, s3, 31
	v_nop
	v_readfirstlane_b32 s6, v1
	s_mul_f32 s6, s6, 0x4f7ffffe
	s_delay_alu instid0(SALU_CYCLE_3) | instskip(NEXT) | instid1(SALU_CYCLE_3)
	s_cvt_u32_f32 s6, s6
	s_mul_i32 s7, s7, s6
	s_delay_alu instid0(SALU_CYCLE_1) | instskip(NEXT) | instid1(SALU_CYCLE_1)
	s_mul_hi_u32 s7, s6, s7
	s_add_co_i32 s6, s6, s7
	s_delay_alu instid0(SALU_CYCLE_1) | instskip(NEXT) | instid1(SALU_CYCLE_1)
	s_mul_hi_u32 s5, s9, s6
	s_mul_i32 s6, s5, s4
	s_add_co_i32 s7, s5, 1
	s_sub_co_i32 s6, s9, s6
	s_delay_alu instid0(SALU_CYCLE_1)
	s_sub_co_i32 s8, s6, s4
	s_cmp_ge_u32 s6, s4
	s_cselect_b32 s5, s7, s5
	s_cselect_b32 s6, s8, s6
	s_add_co_i32 s7, s5, 1
	s_cmp_ge_u32 s6, s4
	s_cselect_b32 s4, s7, s5
	s_abs_i32 s38, s33
	s_xor_b32 s4, s4, s3
	s_delay_alu instid0(SALU_CYCLE_1) | instskip(NEXT) | instid1(SALU_CYCLE_1)
	s_sub_co_i32 s28, s4, s3
	s_abs_i32 s3, s28
	s_delay_alu instid0(SALU_CYCLE_1) | instskip(SKIP_1) | instid1(SALU_CYCLE_2)
	s_cvt_f32_u32 s4, s3
	s_sub_co_i32 s25, 0, s3
	v_rcp_iflag_f32_e32 v1, s4
	s_load_b512 s[4:19], s[0:1], 0x0
	v_nop
	s_delay_alu instid0(TRANS32_DEP_1) | instskip(SKIP_1) | instid1(SALU_CYCLE_3)
	v_readfirstlane_b32 s24, v1
	s_mul_f32 s24, s24, 0x4f7ffffe
	s_cvt_u32_f32 s24, s24
	s_delay_alu instid0(SALU_CYCLE_3) | instskip(NEXT) | instid1(SALU_CYCLE_1)
	s_mul_i32 s25, s25, s24
	s_mul_hi_u32 s25, s24, s25
	s_delay_alu instid0(SALU_CYCLE_1)
	s_add_co_i32 s40, s24, s25
	s_wait_kmcnt 0x0
	s_cmp_eq_u64 s[10:11], 0
	s_cbranch_scc1 .LBB87_2
; %bb.1:
	s_abs_i32 s26, s30
	s_abs_i32 s27, s34
	s_cvt_f32_u32 s24, s26
	s_sub_co_i32 s25, 0, s26
	s_delay_alu instid0(SALU_CYCLE_2) | instskip(SKIP_1) | instid1(TRANS32_DEP_1)
	v_rcp_iflag_f32_e32 v1, s24
	v_nop
	v_readfirstlane_b32 s24, v1
	s_mul_f32 s24, s24, 0x4f7ffffe
	s_delay_alu instid0(SALU_CYCLE_3) | instskip(NEXT) | instid1(SALU_CYCLE_3)
	s_cvt_u32_f32 s24, s24
	s_mul_i32 s25, s25, s24
	s_delay_alu instid0(SALU_CYCLE_1) | instskip(NEXT) | instid1(SALU_CYCLE_1)
	s_mul_hi_u32 s25, s24, s25
	s_add_co_i32 s24, s24, s25
	s_delay_alu instid0(SALU_CYCLE_1) | instskip(SKIP_2) | instid1(SALU_CYCLE_1)
	s_mul_hi_u32 s29, s27, s24
	s_load_b64 s[24:25], s[0:1], 0xc8
	s_mul_i32 s29, s29, s26
	s_sub_co_i32 s27, s27, s29
	s_ashr_i32 s29, s34, 31
	s_sub_co_i32 s30, s27, s26
	s_cmp_ge_u32 s27, s26
	s_cselect_b32 s27, s30, s27
	s_delay_alu instid0(SALU_CYCLE_1) | instskip(SKIP_2) | instid1(SALU_CYCLE_1)
	s_sub_co_i32 s30, s27, s26
	s_cmp_ge_u32 s27, s26
	s_cselect_b32 s26, s30, s27
	s_xor_b32 s26, s26, s29
	s_delay_alu instid0(SALU_CYCLE_1) | instskip(NEXT) | instid1(SALU_CYCLE_1)
	s_sub_co_i32 s26, s26, s29
	s_ashr_i32 s27, s26, 31
	s_wait_kmcnt 0x0
	s_mul_u64 s[24:25], s[24:25], s[26:27]
	s_delay_alu instid0(SALU_CYCLE_1)
	s_add_nc_u64 s[36:37], s[10:11], s[24:25]
.LBB87_2:
	s_clause 0x1
	s_load_b128 s[24:27], s[0:1], 0x40
	s_load_b64 s[10:11], s[0:1], 0x50
	v_mov_b32_e32 v83, 1.0
	s_mov_b32 s41, s39
	s_wait_kmcnt 0x0
	s_cmp_le_f32 s25, 0
	s_cbranch_scc1 .LBB87_4
; %bb.3:
	v_sub_co_u32 v1, s10, s33, s10
	s_and_b32 s29, s10, exec_lo
	s_cselect_b32 s26, s26, s27
	s_add_co_i32 s27, s33, 1
	v_readfirstlane_b32 s25, v1
	s_lshl_b32 s25, s25, 1
	s_delay_alu instid0(SALU_CYCLE_1) | instskip(SKIP_4) | instid1(SALU_CYCLE_3)
	s_or_b32 s25, s25, 1
	s_and_b32 s10, s10, exec_lo
	s_cselect_b32 s10, s27, s25
	s_cmp_neq_f32 s26, 1.0
	s_cvt_f32_i32 s10, s10
	s_cselect_b32 s25, s10, 1.0
	s_delay_alu instid0(SALU_CYCLE_1) | instskip(SKIP_1) | instid1(SALU_CYCLE_1)
	s_cmp_neq_f32 s25, 0
	s_cselect_b32 s10, s26, 1.0
	v_cvt_f64_f32_e64 v[2:3], |s10|
	s_delay_alu instid0(VALU_DEP_1) | instskip(SKIP_1) | instid1(VALU_DEP_1)
	v_frexp_exp_i32_f64_e32 v1, v[2:3]
	v_frexp_mant_f32_e64 v2, |s10|
	v_readfirstlane_b32 s26, v2
	s_cmp_lt_f32 s26, 0x3f2aaaab
	s_cselect_b32 vcc_lo, -1, 0
	s_delay_alu instid0(SALU_CYCLE_1) | instskip(SKIP_1) | instid1(SALU_CYCLE_1)
	s_and_b32 s27, vcc_lo, exec_lo
	s_cselect_b32 s27, 2.0, 1.0
	s_mul_f32 s26, s26, s27
	s_delay_alu instid0(SALU_CYCLE_3) | instskip(SKIP_1) | instid1(SALU_CYCLE_2)
	s_add_f32 s27, s26, 1.0
	s_add_f32 s30, s26, -1.0
	v_s_rcp_f32 s29, s27
	s_add_f32 s44, s27, -1.0
	v_subrev_co_ci_u32_e64 v1, null, 0, v1, vcc_lo
	s_delay_alu instid0(SALU_CYCLE_2) | instskip(NEXT) | instid1(TRANS32_DEP_1)
	s_sub_f32 s26, s26, s44
	s_mul_f32 s35, s30, s29
	v_cvt_f32_i32_e32 v1, v1
	s_delay_alu instid0(SALU_CYCLE_2) | instskip(NEXT) | instid1(SALU_CYCLE_3)
	s_mul_f32 s42, s27, s35
	v_dual_mov_b32 v3, s30 :: v_dual_mov_b32 v4, s42
	s_xor_b32 s45, s42, 0x80000000
	s_delay_alu instid0(SALU_CYCLE_1) | instskip(NEXT) | instid1(SALU_CYCLE_3)
	s_fmac_f32 s45, s35, s27
	s_fmac_f32 s45, s35, s26
	s_delay_alu instid0(SALU_CYCLE_3) | instskip(NEXT) | instid1(SALU_CYCLE_3)
	s_add_f32 s26, s42, s45
	v_dual_mov_b32 v6, s45 :: v_dual_mov_b32 v7, s26
	s_sub_f32 s27, s30, s26
	s_delay_alu instid0(SALU_CYCLE_3) | instskip(NEXT) | instid1(VALU_DEP_1)
	v_dual_mov_b32 v2, s26 :: v_dual_mov_b32 v5, s27
	v_pk_add_f32 v[2:3], v[2:3], v[4:5] neg_lo:[0,1] neg_hi:[0,1]
	s_delay_alu instid0(VALU_DEP_1) | instskip(NEXT) | instid1(VALU_DEP_1)
	v_pk_add_f32 v[2:3], v[2:3], v[6:7] neg_lo:[0,1] neg_hi:[0,1]
	v_readfirstlane_b32 s26, v3
	s_delay_alu instid0(VALU_DEP_2) | instskip(SKIP_1) | instid1(SALU_CYCLE_3)
	v_readfirstlane_b32 s30, v2
	s_add_f32 s26, s30, s26
	s_add_f32 s26, s27, s26
	s_delay_alu instid0(SALU_CYCLE_3) | instskip(NEXT) | instid1(SALU_CYCLE_3)
	s_mul_f32 s27, s29, s26
	s_add_f32 s26, s35, s27
	s_delay_alu instid0(SALU_CYCLE_3) | instskip(SKIP_1) | instid1(SALU_CYCLE_2)
	s_sub_f32 s29, s26, s35
	s_mul_f32 s30, s26, s26
	s_sub_f32 s29, s27, s29
	s_delay_alu instid0(SALU_CYCLE_2) | instskip(NEXT) | instid1(SALU_CYCLE_1)
	s_xor_b32 s27, s30, 0x80000000
	s_fmac_f32 s27, s26, s26
	s_delay_alu instid0(SALU_CYCLE_1) | instskip(NEXT) | instid1(SALU_CYCLE_3)
	s_add_f32 s35, s29, s29
	s_fmac_f32 s27, s26, s35
	s_mov_b32 s35, 0x3e76c4e1
	s_delay_alu instid0(SALU_CYCLE_2) | instskip(NEXT) | instid1(SALU_CYCLE_3)
	s_add_f32 s44, s30, s27
	s_fmaak_f32 s35, s44, s35, 0x3e91f4c4
	s_sub_f32 s30, s44, s30
	s_delay_alu instid0(SALU_CYCLE_2) | instskip(NEXT) | instid1(SALU_CYCLE_2)
	s_fmaak_f32 s35, s44, s35, 0x3ecccdef
	s_sub_f32 s30, s27, s30
	s_delay_alu instid0(SALU_CYCLE_2) | instskip(NEXT) | instid1(SALU_CYCLE_3)
	s_mul_f32 s42, s44, s35
	s_xor_b32 s45, s42, 0x80000000
	s_delay_alu instid0(SALU_CYCLE_1) | instskip(NEXT) | instid1(SALU_CYCLE_3)
	s_fmac_f32 s45, s44, s35
	s_fmac_f32 s45, s30, s35
	s_delay_alu instid0(SALU_CYCLE_3) | instskip(NEXT) | instid1(SALU_CYCLE_3)
	s_add_f32 s35, s42, s45
	s_sub_f32 s27, s35, s42
	s_add_f32 s42, s35, 0x3f2aaaaa
	s_delay_alu instid0(SALU_CYCLE_2) | instskip(NEXT) | instid1(SALU_CYCLE_2)
	s_sub_f32 s27, s45, s27
	s_add_f32 s45, s42, 0xbf2aaaaa
	s_delay_alu instid0(SALU_CYCLE_2) | instskip(NEXT) | instid1(SALU_CYCLE_2)
	s_add_f32 s27, s27, 0x31739010
	s_sub_f32 s45, s35, s45
	s_delay_alu instid0(SALU_CYCLE_2) | instskip(NEXT) | instid1(SALU_CYCLE_2)
	v_mov_b64_e32 v[2:3], s[26:27]
	v_mov_b64_e32 v[4:5], s[44:45]
	s_delay_alu instid0(VALU_DEP_1) | instskip(SKIP_2) | instid1(VALU_DEP_3)
	v_pk_mul_f32 v[6:7], v[2:3], v[4:5]
	v_pk_add_f32 v[2:3], v[2:3], v[4:5]
	v_mov_b32_e32 v9, s42
	v_xor_b32_e32 v8, 0x80000000, v6
	s_delay_alu instid0(VALU_DEP_3) | instskip(NEXT) | instid1(VALU_DEP_2)
	v_mov_b32_e32 v7, v3
	v_fmac_f32_e64 v8, s44, s26
	s_delay_alu instid0(VALU_DEP_1) | instskip(NEXT) | instid1(VALU_DEP_1)
	v_fmac_f32_e64 v8, s44, s29
	v_fmac_f32_e64 v8, s30, s26
	s_delay_alu instid0(VALU_DEP_1) | instskip(NEXT) | instid1(VALU_DEP_1)
	v_pk_add_f32 v[4:5], v[6:7], v[8:9]
	v_dual_mov_b32 v2, v5 :: v_dual_sub_f32 v7, s42, v5
	v_mul_f32_e32 v12, 0x3f317218, v1
	s_delay_alu instid0(VALU_DEP_2) | instskip(NEXT) | instid1(VALU_DEP_3)
	v_pk_mul_f32 v[10:11], v[4:5], v[2:3]
	v_add_f32_e32 v3, v3, v7
	s_delay_alu instid0(VALU_DEP_3) | instskip(NEXT) | instid1(VALU_DEP_3)
	v_xor_b32_e32 v7, 0x80000000, v12
	v_xor_b32_e32 v2, 0x80000000, v10
	s_delay_alu instid0(VALU_DEP_2) | instskip(NEXT) | instid1(VALU_DEP_2)
	v_dual_sub_f32 v6, v4, v6 :: v_dual_fmac_f32 v7, 0x3f317218, v1
	v_fmac_f32_e32 v2, v4, v5
	s_delay_alu instid0(VALU_DEP_2) | instskip(NEXT) | instid1(VALU_DEP_2)
	v_sub_f32_e32 v6, v8, v6
	v_fmac_f32_e32 v2, v4, v3
	s_delay_alu instid0(VALU_DEP_1) | instskip(SKIP_3) | instid1(VALU_DEP_2)
	v_fmac_f32_e32 v2, v6, v5
	v_fmamk_f32 v4, v1, 0xb102e308, v7
	v_ldexp_f32 v5, s26, 1
	v_ldexp_f32 v1, s29, 1
	v_dual_add_f32 v13, v10, v2 :: v_dual_mov_b32 v11, v5
	s_delay_alu instid0(VALU_DEP_1) | instskip(SKIP_1) | instid1(VALU_DEP_2)
	v_pk_add_f32 v[6:7], v[12:13], v[4:5]
	v_dual_mov_b32 v8, v13 :: v_dual_mov_b32 v3, v13
	v_dual_mov_b32 v9, v7 :: v_dual_mov_b32 v5, v6
	v_mov_b32_e32 v14, v7
	s_delay_alu instid0(VALU_DEP_2) | instskip(NEXT) | instid1(VALU_DEP_1)
	v_pk_add_f32 v[8:9], v[8:9], v[10:11] neg_lo:[0,1] neg_hi:[0,1]
	v_pk_add_f32 v[2:3], v[2:3], v[8:9] neg_lo:[0,1] neg_hi:[0,1]
	s_delay_alu instid0(VALU_DEP_1) | instskip(NEXT) | instid1(VALU_DEP_1)
	v_add_f32_e32 v1, v1, v2
	v_add_f32_e32 v13, v1, v3
	s_delay_alu instid0(VALU_DEP_1) | instskip(SKIP_1) | instid1(VALU_DEP_2)
	v_pk_add_f32 v[2:3], v[6:7], v[12:13]
	v_pk_add_f32 v[8:9], v[6:7], v[12:13] neg_lo:[0,1] neg_hi:[0,1]
	v_mov_b32_e32 v9, v3
	s_delay_alu instid0(VALU_DEP_1) | instskip(SKIP_2) | instid1(VALU_DEP_3)
	v_pk_add_f32 v[10:11], v[4:5], v[8:9]
	v_pk_add_f32 v[4:5], v[4:5], v[8:9] neg_lo:[0,1] neg_hi:[0,1]
	v_dual_mov_b32 v16, v3 :: v_dual_mov_b32 v5, v6
	v_dual_mov_b32 v12, v11 :: v_dual_mov_b32 v17, v11
	s_delay_alu instid0(VALU_DEP_3) | instskip(NEXT) | instid1(VALU_DEP_2)
	v_readfirstlane_b32 s26, v4
	v_pk_add_f32 v[8:9], v[12:13], v[6:7] neg_lo:[0,1] neg_hi:[0,1]
	s_delay_alu instid0(VALU_DEP_2) | instskip(NEXT) | instid1(VALU_DEP_2)
	v_dual_mov_b32 v4, v13 :: v_dual_mov_b32 v10, s26
	v_dual_mov_b32 v15, v8 :: v_dual_mov_b32 v1, v8
	s_delay_alu instid0(VALU_DEP_1) | instskip(NEXT) | instid1(VALU_DEP_2)
	v_pk_add_f32 v[6:7], v[16:17], v[14:15] neg_lo:[0,1] neg_hi:[0,1]
	v_pk_add_f32 v[2:3], v[2:3], v[0:1] neg_lo:[0,1] neg_hi:[0,1]
	v_mov_b32_e32 v2, s26
	s_delay_alu instid0(VALU_DEP_3) | instskip(NEXT) | instid1(VALU_DEP_1)
	v_pk_add_f32 v[4:5], v[4:5], v[6:7] neg_lo:[0,1] neg_hi:[0,1]
	v_pk_add_f32 v[2:3], v[2:3], v[4:5]
	s_delay_alu instid0(VALU_DEP_1) | instskip(NEXT) | instid1(VALU_DEP_2)
	v_readfirstlane_b32 s27, v2
	v_mov_b32_e32 v6, v3
	s_delay_alu instid0(VALU_DEP_1) | instskip(NEXT) | instid1(VALU_DEP_3)
	v_pk_add_f32 v[6:7], v[2:3], v[6:7]
	v_mov_b32_e32 v2, s27
	s_delay_alu instid0(VALU_DEP_2) | instskip(SKIP_1) | instid1(VALU_DEP_2)
	v_pk_add_f32 v[8:9], v[12:13], v[6:7]
	v_mov_b32_e32 v5, v6
	v_readfirstlane_b32 s29, v8
	s_delay_alu instid0(VALU_DEP_1) | instskip(NEXT) | instid1(VALU_DEP_1)
	v_mov_b32_e32 v3, s29
	v_pk_add_f32 v[2:3], v[2:3], v[10:11] neg_lo:[0,1] neg_hi:[0,1]
	s_delay_alu instid0(VALU_DEP_1) | instskip(NEXT) | instid1(VALU_DEP_2)
	v_readfirstlane_b32 s30, v2
	v_pk_add_f32 v[2:3], v[4:5], v[2:3] neg_lo:[0,1] neg_hi:[0,1]
	s_sub_f32 s27, s27, s30
	s_delay_alu instid0(VALU_DEP_1) | instskip(NEXT) | instid1(SALU_CYCLE_2)
	v_readfirstlane_b32 s30, v2
	s_sub_f32 s26, s26, s27
	v_readfirstlane_b32 s27, v3
	s_delay_alu instid0(SALU_CYCLE_2) | instskip(NEXT) | instid1(SALU_CYCLE_3)
	s_add_f32 s26, s30, s26
	s_add_f32 s26, s26, s27
	s_delay_alu instid0(SALU_CYCLE_3) | instskip(NEXT) | instid1(SALU_CYCLE_3)
	s_add_f32 s27, s29, s26
	s_mul_f32 s30, s25, s27
	s_sub_f32 s29, s27, s29
	s_delay_alu instid0(SALU_CYCLE_2) | instskip(NEXT) | instid1(SALU_CYCLE_2)
	s_xor_b32 s35, s30, 0x80000000
	s_sub_f32 s26, s26, s29
	s_fmac_f32 s35, s25, s27
	s_delay_alu instid0(SALU_CYCLE_3) | instskip(SKIP_1) | instid1(SALU_CYCLE_2)
	s_fmac_f32 s35, s25, s26
	v_cmp_class_f32_e64 s26, s30, 0x204
	s_add_f32 s27, s30, s35
	s_and_b32 s26, s26, exec_lo
	s_delay_alu instid0(SALU_CYCLE_2) | instskip(SKIP_1) | instid1(SALU_CYCLE_1)
	s_sub_f32 s26, s27, s30
	s_cselect_b32 s27, s30, s27
	s_and_b32 s29, s27, 0x7fffffff
	s_delay_alu instid0(SALU_CYCLE_1) | instskip(SKIP_1) | instid1(SALU_CYCLE_2)
	s_sub_f32 s26, s35, s26
	s_cmp_neq_f32 s29, 0x7f800000
	s_cselect_b32 s26, s26, 0
	s_cmp_eq_f32 s27, 0x42b17218
	s_cselect_b32 s29, 0x37000000, 0
	s_delay_alu instid0(SALU_CYCLE_1) | instskip(SKIP_1) | instid1(SALU_CYCLE_2)
	s_sub_f32 s27, s27, s29
	s_add_f32 s26, s29, s26
	s_mul_f32 s30, s27, 0x3fb8aa3b
	s_delay_alu instid0(SALU_CYCLE_3) | instskip(SKIP_3) | instid1(SALU_CYCLE_1)
	s_xor_b32 s35, s30, 0x80000000
	s_rndne_f32 s42, s30
	s_fmamk_f32 s35, s27, 0x3fb8aa3b, s35
	s_cmp_nlt_f32 s27, 0xc2ce8ed0
	s_sub_f32 s30, s30, s42
	s_delay_alu instid0(SALU_CYCLE_1)
	s_fmamk_f32 s35, s27, 0x32a5705f, s35
	s_cselect_b32 vcc_lo, -1, 0
	s_cmp_ngt_f32 s27, 0x42b17218
	s_trunc_f32 s27, s25
	s_add_f32 s30, s30, s35
	s_cvt_i32_f32 s35, s42
	s_delay_alu instid0(SALU_CYCLE_2)
	v_s_exp_f32 s30, s30
	v_nop
	s_delay_alu instid0(TRANS32_DEP_1) | instid1(SALU_CYCLE_1)
	v_ldexp_f32 v1, s30, s35
	s_mul_f32 s30, s25, 0.5
	s_delay_alu instid0(VALU_DEP_1) | instskip(SKIP_3) | instid1(VALU_DEP_1)
	v_cndmask_b32_e32 v1, 0, v1, vcc_lo
	s_cselect_b32 vcc_lo, -1, 0
	s_cmp_eq_f32 s27, s25
	s_trunc_f32 s35, s30
	v_cndmask_b32_e32 v1, 0x7f800000, v1, vcc_lo
	s_cselect_b32 s42, -1, 0
	s_delay_alu instid0(SALU_CYCLE_1) | instskip(NEXT) | instid1(VALU_DEP_1)
	s_cmp_neq_f32 s35, s30
	v_fma_f32 v2, s26, v1, v1
	v_cmp_class_f32_e64 vcc_lo, v1, 0x204
	s_cselect_b32 s29, -1, 0
	s_delay_alu instid0(SALU_CYCLE_1)
	s_and_b32 s26, s42, s29
	v_cndmask_b32_e32 v1, v2, v1, vcc_lo
	s_and_b32 s29, s26, exec_lo
	s_cselect_b32 s29, s10, 1.0
	s_cmp_eq_f32 s27, s25
	v_cmp_class_f32_e64 s27, s10, 0x204
	v_bfi_b32 v1, 0x7fffffff, v1, s29
	s_cselect_b32 vcc_lo, -1, 0
	s_cmp_lt_f32 s10, 0
	s_delay_alu instid0(VALU_DEP_1) | instskip(SKIP_2) | instid1(VALU_DEP_1)
	v_cndmask_b32_e32 v2, 0x7fc00000, v1, vcc_lo
	s_cselect_b32 vcc_lo, -1, 0
	s_cmp_eq_f32 s10, 0
	v_cndmask_b32_e32 v1, v1, v2, vcc_lo
	s_cselect_b32 s29, -1, 0
	s_delay_alu instid0(SALU_CYCLE_1) | instskip(SKIP_2) | instid1(SALU_CYCLE_1)
	s_or_b32 vcc_lo, s29, s27
	s_cmp_lt_f32 s25, 0
	s_cselect_b32 s25, -1, 0
	s_xor_b32 s25, s25, s29
	s_delay_alu instid0(SALU_CYCLE_1)
	s_and_b32 s25, s25, exec_lo
	s_cselect_b32 s25, 0, 0x7f800000
	s_and_b32 s26, s26, exec_lo
	s_cselect_b32 s26, s10, 0
	s_cmp_o_f32 s10, s10
	v_mov_b32_e32 v2, s26
	s_delay_alu instid0(VALU_DEP_1) | instskip(NEXT) | instid1(VALU_DEP_1)
	v_bfi_b32 v2, 0x7fffffff, s25, v2
	v_cndmask_b32_e32 v1, v1, v2, vcc_lo
	s_cselect_b32 vcc_lo, -1, 0
	s_delay_alu instid0(VALU_DEP_1)
	v_cndmask_b32_e32 v83, 0x7fc00000, v1, vcc_lo
.LBB87_4:
	s_bfe_u32 s10, ttmp6, 0x4000c
	s_and_b32 s25, ttmp6, 15
	s_add_co_i32 s10, s10, 1
	s_ashr_i32 s44, s33, 31
	s_mul_i32 s10, ttmp9, s10
	v_bfe_u32 v80, v0, 10, 10
	s_ashr_i32 s45, s28, 31
	s_add_co_i32 s25, s25, s10
	s_cmp_eq_u32 s43, 0
	s_load_b96 s[28:30], s[0:1], 0x70
	s_cselect_b32 s10, ttmp9, s25
	v_and_b32_e32 v36, 0x3ff, v0
	s_lshl_b32 s42, s10, 5
	v_dual_lshlrev_b32 v75, 2, v80 :: v_dual_lshlrev_b32 v78, 10, v80
	s_delay_alu instid0(VALU_DEP_2) | instskip(NEXT) | instid1(VALU_DEP_2)
	v_dual_mov_b32 v19, 0 :: v_dual_lshlrev_b32 v18, 4, v36
	v_or_b32_e32 v73, 1, v75
	s_delay_alu instid0(VALU_DEP_1) | instskip(SKIP_2) | instid1(VALU_DEP_3)
	v_dual_add_nc_u32 v74, s42, v73 :: v_dual_add_nc_u32 v76, s42, v75
	v_or_b32_e32 v71, 2, v75
	v_or_b32_e32 v39, 3, v75
	v_mul_hi_u32 v2, v74, s20
	s_delay_alu instid0(VALU_DEP_4) | instskip(NEXT) | instid1(VALU_DEP_4)
	v_mul_hi_u32 v1, v76, s20
	v_dual_mov_b32 v47, v19 :: v_dual_add_nc_u32 v72, s42, v71
	s_wait_kmcnt 0x0
	s_mul_i32 s26, s34, s30
	s_mul_i32 s46, s33, s29
	s_ashr_i32 s27, s26, 31
	s_ashr_i32 s47, s46, 31
	s_add_nc_u64 s[4:5], s[4:5], s[26:27]
	s_ashr_i32 s29, s28, 31
	s_add_nc_u64 s[4:5], s[4:5], s[46:47]
	s_delay_alu instid0(VALU_DEP_2) | instskip(SKIP_3) | instid1(VALU_DEP_4)
	v_dual_add_nc_u32 v2, v74, v2 :: v_dual_add_nc_u32 v0, v76, v1
	v_mul_hi_u32 v1, v72, s20
	v_add_nc_u32_e32 v70, s42, v39
	v_add_nc_u64_e32 v[12:13], s[4:5], v[18:19]
	v_dual_lshrrev_b32 v2, s21, v2 :: v_dual_lshrrev_b32 v0, s21, v0
	s_lshr_b64 s[28:29], s[28:29], 2
	s_delay_alu instid0(VALU_DEP_3)
	v_mul_hi_u32 v3, v70, s20
	s_mul_u64 s[4:5], s[38:39], s[40:41]
	s_cmp_eq_u64 s[14:15], 0
	v_mul_lo_u32 v0, v0, s22
	v_add_nc_u32_e32 v1, v72, v1
	v_mul_lo_u32 v2, v2, s22
	s_delay_alu instid0(VALU_DEP_2) | instskip(NEXT) | instid1(VALU_DEP_1)
	v_dual_lshrrev_b32 v1, s21, v1 :: v_dual_sub_nc_u32 v46, v76, v0
	v_mul_lo_u32 v5, v1, s22
	v_add_nc_u32_e32 v4, v70, v3
	s_delay_alu instid0(VALU_DEP_4) | instskip(NEXT) | instid1(VALU_DEP_4)
	v_sub_nc_u32_e32 v18, v74, v2
	v_mul_u64_e32 v[0:1], s[28:29], v[46:47]
	s_delay_alu instid0(VALU_DEP_2) | instskip(NEXT) | instid1(VALU_DEP_4)
	v_mul_u64_e32 v[2:3], s[28:29], v[18:19]
	v_dual_sub_nc_u32 v18, v72, v5 :: v_dual_lshrrev_b32 v4, s21, v4
	s_delay_alu instid0(VALU_DEP_1) | instskip(NEXT) | instid1(VALU_DEP_2)
	v_mul_u64_e32 v[8:9], s[28:29], v[18:19]
	v_mul_lo_u32 v4, v4, s22
	s_delay_alu instid0(VALU_DEP_1)
	v_sub_nc_u32_e32 v18, v70, v4
	v_lshl_add_u64 v[10:11], v[0:1], 2, v[12:13]
	v_lshl_add_u64 v[16:17], v[2:3], 2, v[12:13]
	s_clause 0x1
	global_load_b128 v[0:3], v[10:11], off
	global_load_b128 v[4:7], v[16:17], off
	v_lshl_add_u64 v[8:9], v[8:9], 2, v[12:13]
	global_load_b128 v[8:11], v[8:9], off
	s_wait_loadcnt 0x2
	v_fma_mixlo_f16 v1, s24, v1, 0
	v_lshlrev_b32_e32 v79, 3, v36
	v_fma_mixlo_f16 v3, s24, v3, 0
	v_fma_mixlo_f16 v0, s24, v0, 0
	;; [unrolled: 1-line block ×3, first 2 shown]
	v_lshlrev_b32_e32 v1, 16, v1
	s_wait_xcnt 0x1
	v_add_nc_u32_e32 v16, 0x6800, v79
	v_lshlrev_b32_e32 v3, 16, v3
	s_wait_loadcnt 0x1
	v_fma_mixlo_f16 v4, s24, v4, 0
	v_fma_mixlo_f16 v5, s24, v5, 0
	;; [unrolled: 1-line block ×3, first 2 shown]
	v_add_nc_u32_e32 v17, v16, v78
	v_mul_u64_e32 v[14:15], s[28:29], v[18:19]
	v_fma_mixlo_f16 v7, s24, v7, 0
	v_and_b32_e32 v0, 0xffff, v0
	v_and_b32_e32 v2, 0xffff, v2
	v_lshlrev_b32_e32 v5, 16, v5
	v_and_b32_e32 v4, 0xffff, v4
	v_lshlrev_b32_e32 v7, 16, v7
	v_and_b32_e32 v6, 0xffff, v6
	v_lshl_add_u32 v18, v73, 8, v16
	v_lshl_add_u32 v20, v71, 8, v16
	s_mov_b32 s29, 0
	v_lshl_add_u32 v16, v39, 8, v16
	v_lshl_add_u64 v[12:13], v[14:15], 2, v[12:13]
	global_load_b128 v[12:15], v[12:13], off
	s_wait_loadcnt 0x1
	s_wait_xcnt 0x1
	v_fma_mixlo_f16 v8, s24, v8, 0
	v_fma_mixlo_f16 v9, s24, v9, 0
	;; [unrolled: 1-line block ×4, first 2 shown]
	v_or_b32_e32 v0, v1, v0
	v_or3_b32 v1, v3, v2, 0
	v_or_b32_e32 v2, v5, v4
	v_or3_b32 v3, v7, v6, 0
	v_and_b32_e32 v5, 0xffff, v8
	v_dual_lshlrev_b32 v4, 16, v9 :: v_dual_lshlrev_b32 v6, 16, v11
	v_and_b32_e32 v9, 0xffff, v10
	v_or3_b32 v0, 0, 0, v0
	v_or3_b32 v2, 0, 0, v2
	s_delay_alu instid0(VALU_DEP_4) | instskip(NEXT) | instid1(VALU_DEP_4)
	v_or_b32_e32 v4, v4, v5
	v_or3_b32 v5, v6, v9, 0
	s_delay_alu instid0(VALU_DEP_2)
	v_or3_b32 v4, 0, 0, v4
	s_wait_loadcnt 0x0
	v_fma_mixlo_f16 v7, s24, v13, 0
	v_fma_mixlo_f16 v8, s24, v12, 0
	;; [unrolled: 1-line block ×4, first 2 shown]
	s_delay_alu instid0(VALU_DEP_4) | instskip(NEXT) | instid1(VALU_DEP_4)
	v_lshlrev_b32_e32 v7, 16, v7
	v_and_b32_e32 v8, 0xffff, v8
	s_delay_alu instid0(VALU_DEP_4) | instskip(NEXT) | instid1(VALU_DEP_2)
	v_and_b32_e32 v10, 0xffff, v10
	v_dual_lshlrev_b32 v11, 16, v11 :: v_dual_bitop2_b32 v8, v7, v8 bitop3:0x54
	s_delay_alu instid0(VALU_DEP_1) | instskip(NEXT) | instid1(VALU_DEP_2)
	v_or3_b32 v7, v11, v10, 0
	v_or3_b32 v6, 0, 0, v8
	ds_store_b64 v17, v[0:1]
	ds_store_b64 v18, v[2:3]
	;; [unrolled: 1-line block ×4, first 2 shown]
	s_wait_dscnt 0x0
	s_barrier_signal -1
	s_barrier_wait -1
	s_cbranch_scc1 .LBB87_6
; %bb.5:
	s_load_b32 s2, s[0:1], 0xd0
	s_wait_kmcnt 0x0
	s_mul_i32 s2, s2, s34
	s_delay_alu instid0(SALU_CYCLE_1)
	s_add_co_i32 s2, s2, s10
	s_load_b32 s2, s[14:15], s2 offset:0x0 scale_offset
.LBB87_6:
	s_wait_xcnt 0x0
	s_clause 0x2
	s_load_b64 s[14:15], s[0:1], 0x8c
	s_load_b128 s[24:27], s[0:1], 0x98
	s_load_b64 s[40:41], s[0:1], 0xa8
	s_mul_i32 s4, s5, s3
	s_mov_b32 s28, s20
	s_sub_co_i32 s38, s38, s4
	s_ashr_i32 s10, s31, 1
	s_ashr_i32 s35, s34, 31
	s_xor_b32 s20, s44, s45
	s_add_co_i32 s39, s5, 1
	s_sub_co_i32 s44, s38, s3
	v_dual_lshlrev_b32 v47, 2, v36 :: v_dual_lshrrev_b32 v49, 3, v36
	v_mul_u32_u24_e32 v37, 0x90, v36
	v_or_b32_e32 v44, 1, v76
	v_or_b32_e32 v42, 2, v76
	s_delay_alu instid0(VALU_DEP_4)
	v_dual_lshrrev_b32 v81, 4, v36 :: v_dual_bitop2_b32 v48, 28, v47 bitop3:0x40
	v_or_b32_e32 v40, 3, v76
	v_add_nc_u32_e32 v82, 0x4800, v78
	s_wait_kmcnt 0x0
	s_ashr_i32 s4, s14, 2
	s_ashr_i32 s14, s26, 2
	s_cmp_ge_u32 s38, s3
	s_mul_u64 s[24:25], s[24:25], s[34:35]
	s_cselect_b32 s5, s39, s5
	s_cselect_b32 s26, s44, s38
	s_mul_u64 s[30:31], s[40:41], s[34:35]
	s_add_co_i32 s35, s5, 1
	s_cmp_ge_u32 s26, s3
	s_add_nc_u64 s[6:7], s[6:7], s[24:25]
	s_cselect_b32 s3, s35, s5
	s_bfe_u32 s24, ttmp6, 0x40010
	s_xor_b32 s3, s3, s20
	s_and_b32 s5, ttmp7, 0xffff
	s_add_co_i32 s24, s24, 1
	s_sub_co_i32 s3, s3, s20
	s_bfe_u32 s25, ttmp6, 0x40004
	s_mul_i32 s20, s5, s24
	s_mul_i32 s24, s3, s15
	;; [unrolled: 1-line block ×3, first 2 shown]
	s_add_co_i32 s3, s25, s20
	s_ashr_i32 s25, s24, 31
	s_ashr_i32 s39, s38, 31
	s_cmp_eq_u32 s43, 0
	v_and_b32_e32 v38, 60, v47
	s_cselect_b32 s20, s5, s3
	v_mbcnt_lo_u32_b32 v77, -1, 0
	s_add_nc_u64 s[26:27], s[6:7], s[24:25]
	s_add_co_i32 s3, s2, 0xffffff80
	s_lshl_b32 s24, s20, 7
	s_add_nc_u64 s[6:7], s[8:9], s[30:31]
	s_cmp_ge_i32 s24, s3
	s_add_nc_u64 s[6:7], s[6:7], s[38:39]
	s_cbranch_scc1 .LBB87_110
; %bb.7:
	v_dual_mov_b32 v51, 0 :: v_dual_add_nc_u32 v6, v49, v75
	s_lshl_b32 s8, s4, 5
	s_ashr_i32 s5, s4, 31
	s_cmp_lg_u64 s[36:37], 0
	s_delay_alu instid0(VALU_DEP_1) | instskip(SKIP_2) | instid1(VALU_DEP_3)
	v_dual_mov_b32 v45, v51 :: v_dual_mov_b32 v43, v51
	v_dual_mov_b32 v41, v51 :: v_dual_lshlrev_b32 v7, 2, v48
	v_mul_lo_u32 v54, s4, v6
	v_mul_u64_e32 v[0:1], s[28:29], v[44:45]
	s_delay_alu instid0(VALU_DEP_4) | instskip(NEXT) | instid1(VALU_DEP_4)
	v_mul_u64_e32 v[2:3], s[28:29], v[42:43]
	v_mul_u64_e32 v[4:5], s[28:29], v[40:41]
	v_lshl_add_u32 v0, v80, 1, v81
	v_dual_mov_b32 v105, 0xfeffffff :: v_dual_lshlrev_b32 v2, 2, v38
	v_mad_u32_u24 v87, 0x90, v6, v7
	s_cselect_b32 s30, -1, 0
	s_delay_alu instid0(VALU_DEP_3) | instskip(NEXT) | instid1(VALU_DEP_3)
	v_mul_lo_u32 v6, s14, v0
	v_lshl_or_b32 v88, v0, 8, v2
	v_dual_ashrrev_i32 v55, 31, v54 :: v_dual_add_nc_u32 v56, s8, v54
	s_lshl_b32 s9, s14, 4
	v_mul_lo_u32 v43, v46, s10
	v_dual_mov_b32 v98, v51 :: v_dual_add_nc_u32 v41, 0x6800, v78
	v_dual_lshlrev_b32 v52, 2, v48 :: v_dual_lshlrev_b32 v50, 2, v38
	v_mbcnt_lo_u32_b32 v45, -1, 0
	v_dual_ashrrev_i32 v7, 31, v6 :: v_dual_add_nc_u32 v0, s9, v6
	v_dual_mov_b32 v53, v51 :: v_dual_mov_b32 v99, v51
	v_dual_mov_b32 v100, v51 :: v_dual_add_nc_u32 v89, 0x1200, v87
	s_delay_alu instid0(VALU_DEP_3)
	v_lshlrev_b64_e32 v[60:61], 2, v[6:7]
	v_dual_mov_b32 v17, v51 :: v_dual_add_nc_u32 v90, 0x2400, v87
	v_dual_mov_b32 v84, v51 :: v_dual_add_nc_u32 v91, 0x3600, v87
	;; [unrolled: 1-line block ×3, first 2 shown]
	v_dual_add_nc_u32 v1, v44, v1 :: v_dual_add_nc_u32 v2, v42, v3
	v_dual_add_nc_u32 v3, v40, v5 :: v_dual_ashrrev_i32 v57, 31, v56
	s_delay_alu instid0(VALU_DEP_2) | instskip(NEXT) | instid1(VALU_DEP_2)
	v_dual_add_nc_u32 v58, s8, v56 :: v_dual_lshrrev_b32 v4, s21, v1
	v_dual_lshrrev_b32 v5, s21, v2 :: v_dual_lshrrev_b32 v3, s21, v3
	v_dual_ashrrev_i32 v1, 31, v0 :: v_dual_add_nc_u32 v2, s9, v0
	s_delay_alu instid0(VALU_DEP_3) | instskip(NEXT) | instid1(VALU_DEP_3)
	v_mul_lo_u32 v8, v4, s22
	v_mul_lo_u32 v9, v5, s22
	s_delay_alu instid0(VALU_DEP_4) | instskip(SKIP_3) | instid1(VALU_DEP_3)
	v_mul_lo_u32 v10, v3, s22
	v_dual_add_nc_u32 v62, s8, v58 :: v_dual_ashrrev_i32 v59, 31, v58
	v_dual_add_nc_u32 v4, s9, v2 :: v_dual_ashrrev_i32 v3, 31, v2
	v_lshlrev_b64_e32 v[64:65], 2, v[0:1]
	v_ashrrev_i32_e32 v63, 31, v62
	v_dual_mov_b32 v16, v51 :: v_dual_add_nc_u32 v93, 0x2000, v88
	v_dual_sub_nc_u32 v0, v44, v8 :: v_dual_sub_nc_u32 v1, v42, v9
	v_dual_sub_nc_u32 v6, v40, v10 :: v_dual_mov_b32 v18, v51
	v_ashrrev_i32_e32 v5, 31, v4
	s_delay_alu instid0(VALU_DEP_3) | instskip(NEXT) | instid1(VALU_DEP_4)
	v_mul_lo_u32 v95, v0, s10
	v_mul_lo_u32 v96, v1, s10
	s_delay_alu instid0(VALU_DEP_4)
	v_mul_lo_u32 v97, v6, s10
	v_lshlrev_b64_e32 v[66:67], 2, v[2:3]
	v_lshlrev_b64_e32 v[68:69], 2, v[4:5]
	v_dual_mov_b32 v101, v51 :: v_dual_add_nc_u32 v94, 0x3000, v88
	v_dual_mov_b32 v85, v51 :: v_dual_mov_b32 v102, v51
	v_dual_mov_b32 v86, v51 :: v_dual_mov_b32 v103, 0xfeffffff
	v_mov_b32_e32 v106, 0xfeffffff
	v_mov_b32_e32 v104, 0xfeffffff
	s_add_nc_u64 s[8:9], s[0:1], 0xd0
	s_mov_b32 s31, 0xbbbac73d
	s_ashr_i32 s15, s14, 31
.LBB87_8:                               ; =>This Inner Loop Header: Depth=1
	s_ashr_i32 s25, s24, 31
	v_dual_mov_b32 v119, 0 :: v_dual_mov_b32 v115, 0
	s_mul_u64 s[38:39], s[24:25], s[4:5]
	v_dual_mov_b32 v111, 0 :: v_dual_mov_b32 v107, 0
	s_lshl_b64 s[38:39], s[38:39], 2
	v_dual_mov_b32 v120, 0 :: v_dual_mov_b32 v116, 0
	s_add_nc_u64 s[38:39], s[26:27], s[38:39]
	v_dual_mov_b32 v112, 0 :: v_dual_mov_b32 v108, 0
	v_lshl_add_u64 v[0:1], v[54:55], 2, s[38:39]
	v_lshl_add_u64 v[2:3], v[56:57], 2, s[38:39]
	;; [unrolled: 1-line block ×4, first 2 shown]
	v_dual_mov_b32 v121, 0 :: v_dual_mov_b32 v117, 0
	v_add_nc_u64_e32 v[0:1], v[0:1], v[52:53]
	v_add_nc_u64_e32 v[2:3], v[2:3], v[52:53]
	;; [unrolled: 1-line block ×4, first 2 shown]
	s_clause 0x3
	global_load_b128 v[8:11], v[0:1], off
	global_load_b128 v[12:15], v[2:3], off
	;; [unrolled: 1-line block ×4, first 2 shown]
	v_dual_mov_b32 v113, 0 :: v_dual_mov_b32 v109, 0
	v_dual_mov_b32 v122, 0 :: v_dual_mov_b32 v118, 0
	;; [unrolled: 1-line block ×3, first 2 shown]
	s_wait_loadcnt 0x3
	ds_store_b128 v87, v[8:11]
	s_wait_loadcnt 0x2
	ds_store_b128 v89, v[12:15]
	;; [unrolled: 2-line block ×4, first 2 shown]
	s_wait_dscnt 0x0
	s_barrier_signal -1
	s_barrier_wait -1
	ds_load_b128 v[8:11], v37
	ds_load_b128 v[12:15], v41
	ds_load_b128 v[20:23], v41 offset:256
	ds_load_b128 v[32:35], v37 offset:4608
	;; [unrolled: 1-line block ×6, first 2 shown]
	s_wait_dscnt 0x6
	;;#ASMSTART
	v_dot2_f32_f16 v119, v8, v12, v119
	;;#ASMEND
	;;#ASMSTART
	v_dot2_f32_f16 v119, v9, v13, v119
	;;#ASMEND
	;;#ASMSTART
	v_dot2_f32_f16 v119, v10, v14, v119
	;;#ASMEND
	;;#ASMSTART
	v_dot2_f32_f16 v119, v11, v15, v119
	;;#ASMEND
	s_wait_dscnt 0x5
	;;#ASMSTART
	v_dot2_f32_f16 v115, v8, v20, v115
	;;#ASMEND
	;;#ASMSTART
	v_dot2_f32_f16 v115, v9, v21, v115
	;;#ASMEND
	;;#ASMSTART
	v_dot2_f32_f16 v115, v10, v22, v115
	;;#ASMEND
	;;#ASMSTART
	v_dot2_f32_f16 v115, v11, v23, v115
	;;#ASMEND
	;; [unrolled: 13-line block ×4, first 2 shown]
	;;#ASMSTART
	v_dot2_f32_f16 v120, v32, v12, v120
	;;#ASMEND
	;;#ASMSTART
	v_dot2_f32_f16 v120, v33, v13, v120
	;;#ASMEND
	;; [unrolled: 3-line block ×16, first 2 shown]
	s_wait_dscnt 0x1
	;;#ASMSTART
	v_dot2_f32_f16 v121, v124, v12, v121
	;;#ASMEND
	;;#ASMSTART
	v_dot2_f32_f16 v121, v125, v13, v121
	;;#ASMEND
	;;#ASMSTART
	v_dot2_f32_f16 v121, v126, v14, v121
	;;#ASMEND
	;;#ASMSTART
	v_dot2_f32_f16 v121, v127, v15, v121
	;;#ASMEND
	;;#ASMSTART
	v_dot2_f32_f16 v117, v124, v20, v117
	;;#ASMEND
	;;#ASMSTART
	v_dot2_f32_f16 v117, v125, v21, v117
	;;#ASMEND
	;;#ASMSTART
	v_dot2_f32_f16 v117, v126, v22, v117
	;;#ASMEND
	;;#ASMSTART
	v_dot2_f32_f16 v117, v127, v23, v117
	;;#ASMEND
	;;#ASMSTART
	v_dot2_f32_f16 v113, v124, v24, v113
	;;#ASMEND
	;;#ASMSTART
	v_dot2_f32_f16 v113, v125, v25, v113
	;;#ASMEND
	;;#ASMSTART
	v_dot2_f32_f16 v113, v126, v26, v113
	;;#ASMEND
	;;#ASMSTART
	v_dot2_f32_f16 v113, v127, v27, v113
	;;#ASMEND
	;;#ASMSTART
	v_dot2_f32_f16 v109, v124, v28, v109
	;;#ASMEND
	;;#ASMSTART
	v_dot2_f32_f16 v109, v125, v29, v109
	;;#ASMEND
	;;#ASMSTART
	v_dot2_f32_f16 v109, v126, v30, v109
	;;#ASMEND
	;;#ASMSTART
	v_dot2_f32_f16 v109, v127, v31, v109
	;;#ASMEND
	s_wait_dscnt 0x0
	;;#ASMSTART
	v_dot2_f32_f16 v122, v128, v12, v122
	;;#ASMEND
	;;#ASMSTART
	v_dot2_f32_f16 v122, v129, v13, v122
	;;#ASMEND
	;; [unrolled: 3-line block ×16, first 2 shown]
	ds_load_b128 v[8:11], v37 offset:16
	ds_load_b128 v[12:15], v41 offset:16
	;; [unrolled: 1-line block ×8, first 2 shown]
	s_wait_dscnt 0x6
	;;#ASMSTART
	v_dot2_f32_f16 v119, v8, v12, v119
	;;#ASMEND
	;;#ASMSTART
	v_dot2_f32_f16 v119, v9, v13, v119
	;;#ASMEND
	;;#ASMSTART
	v_dot2_f32_f16 v119, v10, v14, v119
	;;#ASMEND
	;;#ASMSTART
	v_dot2_f32_f16 v119, v11, v15, v119
	;;#ASMEND
	s_wait_dscnt 0x5
	;;#ASMSTART
	v_dot2_f32_f16 v115, v8, v20, v115
	;;#ASMEND
	;;#ASMSTART
	v_dot2_f32_f16 v115, v9, v21, v115
	;;#ASMEND
	;;#ASMSTART
	v_dot2_f32_f16 v115, v10, v22, v115
	;;#ASMEND
	;;#ASMSTART
	v_dot2_f32_f16 v115, v11, v23, v115
	;;#ASMEND
	;; [unrolled: 13-line block ×5, first 2 shown]
	;;#ASMSTART
	v_dot2_f32_f16 v116, v32, v20, v116
	;;#ASMEND
	;;#ASMSTART
	v_dot2_f32_f16 v116, v33, v21, v116
	;;#ASMEND
	;; [unrolled: 3-line block ×12, first 2 shown]
	s_wait_dscnt 0x1
	;;#ASMSTART
	v_dot2_f32_f16 v121, v124, v12, v121
	;;#ASMEND
	;;#ASMSTART
	v_dot2_f32_f16 v121, v125, v13, v121
	;;#ASMEND
	;; [unrolled: 3-line block ×16, first 2 shown]
	s_wait_dscnt 0x0
	;;#ASMSTART
	v_dot2_f32_f16 v122, v128, v12, v122
	;;#ASMEND
	;;#ASMSTART
	v_dot2_f32_f16 v122, v129, v13, v122
	;;#ASMEND
	;; [unrolled: 3-line block ×16, first 2 shown]
	ds_load_b128 v[8:11], v37 offset:32
	ds_load_b128 v[12:15], v41 offset:32
	;; [unrolled: 1-line block ×8, first 2 shown]
	s_wait_dscnt 0x6
	;;#ASMSTART
	v_dot2_f32_f16 v119, v8, v12, v119
	;;#ASMEND
	;;#ASMSTART
	v_dot2_f32_f16 v119, v9, v13, v119
	;;#ASMEND
	;;#ASMSTART
	v_dot2_f32_f16 v119, v10, v14, v119
	;;#ASMEND
	;;#ASMSTART
	v_dot2_f32_f16 v119, v11, v15, v119
	;;#ASMEND
	s_wait_dscnt 0x5
	;;#ASMSTART
	v_dot2_f32_f16 v115, v8, v20, v115
	;;#ASMEND
	;;#ASMSTART
	v_dot2_f32_f16 v115, v9, v21, v115
	;;#ASMEND
	;;#ASMSTART
	v_dot2_f32_f16 v115, v10, v22, v115
	;;#ASMEND
	;;#ASMSTART
	v_dot2_f32_f16 v115, v11, v23, v115
	;;#ASMEND
	;; [unrolled: 13-line block ×5, first 2 shown]
	;;#ASMSTART
	v_dot2_f32_f16 v116, v32, v20, v116
	;;#ASMEND
	;;#ASMSTART
	v_dot2_f32_f16 v116, v33, v21, v116
	;;#ASMEND
	;; [unrolled: 3-line block ×12, first 2 shown]
	s_wait_dscnt 0x1
	;;#ASMSTART
	v_dot2_f32_f16 v121, v124, v12, v121
	;;#ASMEND
	;;#ASMSTART
	v_dot2_f32_f16 v121, v125, v13, v121
	;;#ASMEND
	;; [unrolled: 3-line block ×16, first 2 shown]
	s_wait_dscnt 0x0
	;;#ASMSTART
	v_dot2_f32_f16 v122, v128, v12, v122
	;;#ASMEND
	;;#ASMSTART
	v_dot2_f32_f16 v122, v129, v13, v122
	;;#ASMEND
	;; [unrolled: 3-line block ×16, first 2 shown]
	ds_load_b128 v[8:11], v37 offset:48
	ds_load_b128 v[12:15], v41 offset:48
	ds_load_b128 v[20:23], v41 offset:304
	ds_load_b128 v[24:27], v41 offset:560
	ds_load_b128 v[28:31], v41 offset:816
	ds_load_b128 v[32:35], v37 offset:4656
	ds_load_b128 v[124:127], v37 offset:9264
	ds_load_b128 v[128:131], v37 offset:13872
	s_wait_dscnt 0x6
	;;#ASMSTART
	v_dot2_f32_f16 v119, v8, v12, v119
	;;#ASMEND
	;;#ASMSTART
	v_dot2_f32_f16 v119, v9, v13, v119
	;;#ASMEND
	;;#ASMSTART
	v_dot2_f32_f16 v119, v10, v14, v119
	;;#ASMEND
	;;#ASMSTART
	v_dot2_f32_f16 v119, v11, v15, v119
	;;#ASMEND
	s_wait_dscnt 0x5
	;;#ASMSTART
	v_dot2_f32_f16 v115, v8, v20, v115
	;;#ASMEND
	;;#ASMSTART
	v_dot2_f32_f16 v115, v9, v21, v115
	;;#ASMEND
	;;#ASMSTART
	v_dot2_f32_f16 v115, v10, v22, v115
	;;#ASMEND
	;;#ASMSTART
	v_dot2_f32_f16 v115, v11, v23, v115
	;;#ASMEND
	;; [unrolled: 13-line block ×5, first 2 shown]
	;;#ASMSTART
	v_dot2_f32_f16 v116, v32, v20, v116
	;;#ASMEND
	;;#ASMSTART
	v_dot2_f32_f16 v116, v33, v21, v116
	;;#ASMEND
	;; [unrolled: 3-line block ×12, first 2 shown]
	s_wait_dscnt 0x1
	;;#ASMSTART
	v_dot2_f32_f16 v121, v124, v12, v121
	;;#ASMEND
	;;#ASMSTART
	v_dot2_f32_f16 v121, v125, v13, v121
	;;#ASMEND
	;; [unrolled: 3-line block ×16, first 2 shown]
	s_wait_dscnt 0x0
	;;#ASMSTART
	v_dot2_f32_f16 v122, v128, v12, v122
	;;#ASMEND
	;;#ASMSTART
	v_dot2_f32_f16 v122, v129, v13, v122
	;;#ASMEND
	;; [unrolled: 3-line block ×16, first 2 shown]
	ds_load_b128 v[8:11], v37 offset:64
	ds_load_b128 v[12:15], v41 offset:64
	;; [unrolled: 1-line block ×8, first 2 shown]
	s_wait_dscnt 0x6
	;;#ASMSTART
	v_dot2_f32_f16 v119, v8, v12, v119
	;;#ASMEND
	;;#ASMSTART
	v_dot2_f32_f16 v119, v9, v13, v119
	;;#ASMEND
	;;#ASMSTART
	v_dot2_f32_f16 v119, v10, v14, v119
	;;#ASMEND
	;;#ASMSTART
	v_dot2_f32_f16 v119, v11, v15, v119
	;;#ASMEND
	s_wait_dscnt 0x5
	;;#ASMSTART
	v_dot2_f32_f16 v115, v8, v20, v115
	;;#ASMEND
	;;#ASMSTART
	v_dot2_f32_f16 v115, v9, v21, v115
	;;#ASMEND
	;;#ASMSTART
	v_dot2_f32_f16 v115, v10, v22, v115
	;;#ASMEND
	;;#ASMSTART
	v_dot2_f32_f16 v115, v11, v23, v115
	;;#ASMEND
	;; [unrolled: 13-line block ×5, first 2 shown]
	;;#ASMSTART
	v_dot2_f32_f16 v116, v32, v20, v116
	;;#ASMEND
	;;#ASMSTART
	v_dot2_f32_f16 v116, v33, v21, v116
	;;#ASMEND
	;; [unrolled: 3-line block ×12, first 2 shown]
	s_wait_dscnt 0x1
	;;#ASMSTART
	v_dot2_f32_f16 v121, v124, v12, v121
	;;#ASMEND
	;;#ASMSTART
	v_dot2_f32_f16 v121, v125, v13, v121
	;;#ASMEND
	;; [unrolled: 3-line block ×16, first 2 shown]
	s_wait_dscnt 0x0
	;;#ASMSTART
	v_dot2_f32_f16 v122, v128, v12, v122
	;;#ASMEND
	;;#ASMSTART
	v_dot2_f32_f16 v122, v129, v13, v122
	;;#ASMEND
	;; [unrolled: 3-line block ×16, first 2 shown]
	ds_load_b128 v[8:11], v37 offset:80
	ds_load_b128 v[12:15], v41 offset:80
	;; [unrolled: 1-line block ×8, first 2 shown]
	s_wait_dscnt 0x6
	;;#ASMSTART
	v_dot2_f32_f16 v119, v8, v12, v119
	;;#ASMEND
	;;#ASMSTART
	v_dot2_f32_f16 v119, v9, v13, v119
	;;#ASMEND
	;;#ASMSTART
	v_dot2_f32_f16 v119, v10, v14, v119
	;;#ASMEND
	;;#ASMSTART
	v_dot2_f32_f16 v119, v11, v15, v119
	;;#ASMEND
	s_wait_dscnt 0x5
	;;#ASMSTART
	v_dot2_f32_f16 v115, v8, v20, v115
	;;#ASMEND
	;;#ASMSTART
	v_dot2_f32_f16 v115, v9, v21, v115
	;;#ASMEND
	;;#ASMSTART
	v_dot2_f32_f16 v115, v10, v22, v115
	;;#ASMEND
	;;#ASMSTART
	v_dot2_f32_f16 v115, v11, v23, v115
	;;#ASMEND
	s_wait_dscnt 0x4
	;;#ASMSTART
	v_dot2_f32_f16 v111, v8, v24, v111
	;;#ASMEND
	;;#ASMSTART
	v_dot2_f32_f16 v111, v9, v25, v111
	;;#ASMEND
	;;#ASMSTART
	v_dot2_f32_f16 v111, v10, v26, v111
	;;#ASMEND
	;;#ASMSTART
	v_dot2_f32_f16 v111, v11, v27, v111
	;;#ASMEND
	s_wait_dscnt 0x3
	;;#ASMSTART
	v_dot2_f32_f16 v107, v8, v28, v107
	;;#ASMEND
	;;#ASMSTART
	v_dot2_f32_f16 v107, v9, v29, v107
	;;#ASMEND
	;;#ASMSTART
	v_dot2_f32_f16 v107, v10, v30, v107
	;;#ASMEND
	;;#ASMSTART
	v_dot2_f32_f16 v107, v11, v31, v107
	;;#ASMEND
	s_wait_dscnt 0x2
	;;#ASMSTART
	v_dot2_f32_f16 v120, v32, v12, v120
	;;#ASMEND
	;;#ASMSTART
	v_dot2_f32_f16 v120, v33, v13, v120
	;;#ASMEND
	;;#ASMSTART
	v_dot2_f32_f16 v120, v34, v14, v120
	;;#ASMEND
	;;#ASMSTART
	v_dot2_f32_f16 v120, v35, v15, v120
	;;#ASMEND
	;;#ASMSTART
	v_dot2_f32_f16 v116, v32, v20, v116
	;;#ASMEND
	;;#ASMSTART
	v_dot2_f32_f16 v116, v33, v21, v116
	;;#ASMEND
	;; [unrolled: 3-line block ×12, first 2 shown]
	s_wait_dscnt 0x1
	;;#ASMSTART
	v_dot2_f32_f16 v121, v124, v12, v121
	;;#ASMEND
	;;#ASMSTART
	v_dot2_f32_f16 v121, v125, v13, v121
	;;#ASMEND
	;; [unrolled: 3-line block ×16, first 2 shown]
	s_wait_dscnt 0x0
	;;#ASMSTART
	v_dot2_f32_f16 v122, v128, v12, v122
	;;#ASMEND
	;;#ASMSTART
	v_dot2_f32_f16 v122, v129, v13, v122
	;;#ASMEND
	;; [unrolled: 3-line block ×16, first 2 shown]
	ds_load_b128 v[8:11], v37 offset:96
	ds_load_b128 v[12:15], v41 offset:96
	;; [unrolled: 1-line block ×8, first 2 shown]
	s_wait_dscnt 0x6
	;;#ASMSTART
	v_dot2_f32_f16 v119, v8, v12, v119
	;;#ASMEND
	;;#ASMSTART
	v_dot2_f32_f16 v119, v9, v13, v119
	;;#ASMEND
	;;#ASMSTART
	v_dot2_f32_f16 v119, v10, v14, v119
	;;#ASMEND
	;;#ASMSTART
	v_dot2_f32_f16 v119, v11, v15, v119
	;;#ASMEND
	s_wait_dscnt 0x5
	;;#ASMSTART
	v_dot2_f32_f16 v115, v8, v20, v115
	;;#ASMEND
	;;#ASMSTART
	v_dot2_f32_f16 v115, v9, v21, v115
	;;#ASMEND
	;;#ASMSTART
	v_dot2_f32_f16 v115, v10, v22, v115
	;;#ASMEND
	;;#ASMSTART
	v_dot2_f32_f16 v115, v11, v23, v115
	;;#ASMEND
	;; [unrolled: 13-line block ×5, first 2 shown]
	;;#ASMSTART
	v_dot2_f32_f16 v116, v32, v20, v116
	;;#ASMEND
	;;#ASMSTART
	v_dot2_f32_f16 v116, v33, v21, v116
	;;#ASMEND
	;; [unrolled: 3-line block ×12, first 2 shown]
	s_wait_dscnt 0x1
	;;#ASMSTART
	v_dot2_f32_f16 v121, v124, v12, v121
	;;#ASMEND
	;;#ASMSTART
	v_dot2_f32_f16 v121, v125, v13, v121
	;;#ASMEND
	;; [unrolled: 3-line block ×16, first 2 shown]
	s_wait_dscnt 0x0
	;;#ASMSTART
	v_dot2_f32_f16 v122, v128, v12, v122
	;;#ASMEND
	;;#ASMSTART
	v_dot2_f32_f16 v122, v129, v13, v122
	;;#ASMEND
	;;#ASMSTART
	v_dot2_f32_f16 v122, v130, v14, v122
	;;#ASMEND
	;;#ASMSTART
	v_dot2_f32_f16 v122, v131, v15, v122
	;;#ASMEND
	;;#ASMSTART
	v_dot2_f32_f16 v118, v128, v20, v118
	;;#ASMEND
	;;#ASMSTART
	v_dot2_f32_f16 v118, v129, v21, v118
	;;#ASMEND
	;;#ASMSTART
	v_dot2_f32_f16 v118, v130, v22, v118
	;;#ASMEND
	;;#ASMSTART
	v_dot2_f32_f16 v118, v131, v23, v118
	;;#ASMEND
	;;#ASMSTART
	v_dot2_f32_f16 v114, v128, v24, v114
	;;#ASMEND
	;;#ASMSTART
	v_dot2_f32_f16 v114, v129, v25, v114
	;;#ASMEND
	;;#ASMSTART
	v_dot2_f32_f16 v114, v130, v26, v114
	;;#ASMEND
	;;#ASMSTART
	v_dot2_f32_f16 v114, v131, v27, v114
	;;#ASMEND
	;;#ASMSTART
	v_dot2_f32_f16 v110, v128, v28, v110
	;;#ASMEND
	;;#ASMSTART
	v_dot2_f32_f16 v110, v129, v29, v110
	;;#ASMEND
	;;#ASMSTART
	v_dot2_f32_f16 v110, v130, v30, v110
	;;#ASMEND
	;;#ASMSTART
	v_dot2_f32_f16 v110, v131, v31, v110
	;;#ASMEND
	ds_load_b128 v[8:11], v37 offset:112
	ds_load_b128 v[12:15], v41 offset:112
	;; [unrolled: 1-line block ×8, first 2 shown]
	s_wait_dscnt 0x6
	;;#ASMSTART
	v_dot2_f32_f16 v119, v8, v12, v119
	;;#ASMEND
	;;#ASMSTART
	v_dot2_f32_f16 v119, v9, v13, v119
	;;#ASMEND
	;;#ASMSTART
	v_dot2_f32_f16 v119, v10, v14, v119
	;;#ASMEND
	;;#ASMSTART
	v_dot2_f32_f16 v119, v11, v15, v119
	;;#ASMEND
	s_wait_dscnt 0x5
	;;#ASMSTART
	v_dot2_f32_f16 v115, v8, v20, v115
	;;#ASMEND
	;;#ASMSTART
	v_dot2_f32_f16 v115, v9, v21, v115
	;;#ASMEND
	;;#ASMSTART
	v_dot2_f32_f16 v115, v10, v22, v115
	;;#ASMEND
	;;#ASMSTART
	v_dot2_f32_f16 v115, v11, v23, v115
	;;#ASMEND
	;; [unrolled: 13-line block ×5, first 2 shown]
	;;#ASMSTART
	v_dot2_f32_f16 v116, v32, v20, v116
	;;#ASMEND
	;;#ASMSTART
	v_dot2_f32_f16 v116, v33, v21, v116
	;;#ASMEND
	;; [unrolled: 3-line block ×12, first 2 shown]
	s_wait_dscnt 0x1
	;;#ASMSTART
	v_dot2_f32_f16 v121, v124, v12, v121
	;;#ASMEND
	;;#ASMSTART
	v_dot2_f32_f16 v121, v125, v13, v121
	;;#ASMEND
	;; [unrolled: 3-line block ×16, first 2 shown]
	s_wait_dscnt 0x0
	;;#ASMSTART
	v_dot2_f32_f16 v122, v128, v12, v122
	;;#ASMEND
	;;#ASMSTART
	v_dot2_f32_f16 v122, v129, v13, v122
	;;#ASMEND
	;; [unrolled: 3-line block ×16, first 2 shown]
	s_barrier_signal -1
	s_barrier_wait -1
	s_clause 0x3
	global_load_b128 v[8:11], v[0:1], off offset:128
	global_load_b128 v[12:15], v[2:3], off offset:128
	;; [unrolled: 1-line block ×4, first 2 shown]
	s_wait_loadcnt 0x3
	ds_store_b128 v87, v[8:11]
	s_wait_loadcnt 0x2
	ds_store_b128 v89, v[12:15]
	;; [unrolled: 2-line block ×4, first 2 shown]
	s_wait_dscnt 0x0
	s_barrier_signal -1
	s_barrier_wait -1
	ds_load_b128 v[0:3], v37
	ds_load_b128 v[4:7], v41 offset:128
	ds_load_b128 v[8:11], v41 offset:384
	;; [unrolled: 1-line block ×7, first 2 shown]
	s_wait_dscnt 0x6
	;;#ASMSTART
	v_dot2_f32_f16 v119, v0, v4, v119
	;;#ASMEND
	;;#ASMSTART
	v_dot2_f32_f16 v119, v1, v5, v119
	;;#ASMEND
	;;#ASMSTART
	v_dot2_f32_f16 v119, v2, v6, v119
	;;#ASMEND
	;;#ASMSTART
	v_dot2_f32_f16 v119, v3, v7, v119
	;;#ASMEND
	s_wait_dscnt 0x5
	;;#ASMSTART
	v_dot2_f32_f16 v115, v0, v8, v115
	;;#ASMEND
	;;#ASMSTART
	v_dot2_f32_f16 v115, v1, v9, v115
	;;#ASMEND
	;;#ASMSTART
	v_dot2_f32_f16 v115, v2, v10, v115
	;;#ASMEND
	;;#ASMSTART
	v_dot2_f32_f16 v115, v3, v11, v115
	;;#ASMEND
	;; [unrolled: 13-line block ×5, first 2 shown]
	;;#ASMSTART
	v_dot2_f32_f16 v116, v24, v8, v116
	;;#ASMEND
	;;#ASMSTART
	v_dot2_f32_f16 v116, v25, v9, v116
	;;#ASMEND
	;; [unrolled: 3-line block ×12, first 2 shown]
	s_wait_dscnt 0x1
	;;#ASMSTART
	v_dot2_f32_f16 v121, v28, v4, v121
	;;#ASMEND
	;;#ASMSTART
	v_dot2_f32_f16 v121, v29, v5, v121
	;;#ASMEND
	;; [unrolled: 3-line block ×16, first 2 shown]
	s_wait_dscnt 0x0
	;;#ASMSTART
	v_dot2_f32_f16 v122, v32, v4, v122
	;;#ASMEND
	;;#ASMSTART
	v_dot2_f32_f16 v122, v33, v5, v122
	;;#ASMEND
	;; [unrolled: 3-line block ×16, first 2 shown]
	ds_load_b128 v[0:3], v37 offset:16
	ds_load_b128 v[4:7], v41 offset:144
	;; [unrolled: 1-line block ×8, first 2 shown]
	s_wait_dscnt 0x6
	;;#ASMSTART
	v_dot2_f32_f16 v119, v0, v4, v119
	;;#ASMEND
	;;#ASMSTART
	v_dot2_f32_f16 v119, v1, v5, v119
	;;#ASMEND
	;;#ASMSTART
	v_dot2_f32_f16 v119, v2, v6, v119
	;;#ASMEND
	;;#ASMSTART
	v_dot2_f32_f16 v119, v3, v7, v119
	;;#ASMEND
	s_wait_dscnt 0x5
	;;#ASMSTART
	v_dot2_f32_f16 v115, v0, v8, v115
	;;#ASMEND
	;;#ASMSTART
	v_dot2_f32_f16 v115, v1, v9, v115
	;;#ASMEND
	;;#ASMSTART
	v_dot2_f32_f16 v115, v2, v10, v115
	;;#ASMEND
	;;#ASMSTART
	v_dot2_f32_f16 v115, v3, v11, v115
	;;#ASMEND
	;; [unrolled: 13-line block ×5, first 2 shown]
	;;#ASMSTART
	v_dot2_f32_f16 v116, v24, v8, v116
	;;#ASMEND
	;;#ASMSTART
	v_dot2_f32_f16 v116, v25, v9, v116
	;;#ASMEND
	;; [unrolled: 3-line block ×12, first 2 shown]
	s_wait_dscnt 0x1
	;;#ASMSTART
	v_dot2_f32_f16 v121, v28, v4, v121
	;;#ASMEND
	;;#ASMSTART
	v_dot2_f32_f16 v121, v29, v5, v121
	;;#ASMEND
	;; [unrolled: 3-line block ×16, first 2 shown]
	s_wait_dscnt 0x0
	;;#ASMSTART
	v_dot2_f32_f16 v122, v32, v4, v122
	;;#ASMEND
	;;#ASMSTART
	v_dot2_f32_f16 v122, v33, v5, v122
	;;#ASMEND
	;; [unrolled: 3-line block ×16, first 2 shown]
	ds_load_b128 v[0:3], v37 offset:32
	ds_load_b128 v[4:7], v41 offset:160
	;; [unrolled: 1-line block ×8, first 2 shown]
	s_wait_dscnt 0x6
	;;#ASMSTART
	v_dot2_f32_f16 v119, v0, v4, v119
	;;#ASMEND
	;;#ASMSTART
	v_dot2_f32_f16 v119, v1, v5, v119
	;;#ASMEND
	;;#ASMSTART
	v_dot2_f32_f16 v119, v2, v6, v119
	;;#ASMEND
	;;#ASMSTART
	v_dot2_f32_f16 v119, v3, v7, v119
	;;#ASMEND
	s_wait_dscnt 0x5
	;;#ASMSTART
	v_dot2_f32_f16 v115, v0, v8, v115
	;;#ASMEND
	;;#ASMSTART
	v_dot2_f32_f16 v115, v1, v9, v115
	;;#ASMEND
	;;#ASMSTART
	v_dot2_f32_f16 v115, v2, v10, v115
	;;#ASMEND
	;;#ASMSTART
	v_dot2_f32_f16 v115, v3, v11, v115
	;;#ASMEND
	;; [unrolled: 13-line block ×5, first 2 shown]
	;;#ASMSTART
	v_dot2_f32_f16 v116, v24, v8, v116
	;;#ASMEND
	;;#ASMSTART
	v_dot2_f32_f16 v116, v25, v9, v116
	;;#ASMEND
	;; [unrolled: 3-line block ×12, first 2 shown]
	s_wait_dscnt 0x1
	;;#ASMSTART
	v_dot2_f32_f16 v121, v28, v4, v121
	;;#ASMEND
	;;#ASMSTART
	v_dot2_f32_f16 v121, v29, v5, v121
	;;#ASMEND
	;;#ASMSTART
	v_dot2_f32_f16 v121, v30, v6, v121
	;;#ASMEND
	;;#ASMSTART
	v_dot2_f32_f16 v121, v31, v7, v121
	;;#ASMEND
	;;#ASMSTART
	v_dot2_f32_f16 v117, v28, v8, v117
	;;#ASMEND
	;;#ASMSTART
	v_dot2_f32_f16 v117, v29, v9, v117
	;;#ASMEND
	;;#ASMSTART
	v_dot2_f32_f16 v117, v30, v10, v117
	;;#ASMEND
	;;#ASMSTART
	v_dot2_f32_f16 v117, v31, v11, v117
	;;#ASMEND
	;;#ASMSTART
	v_dot2_f32_f16 v113, v28, v12, v113
	;;#ASMEND
	;;#ASMSTART
	v_dot2_f32_f16 v113, v29, v13, v113
	;;#ASMEND
	;;#ASMSTART
	v_dot2_f32_f16 v113, v30, v14, v113
	;;#ASMEND
	;;#ASMSTART
	v_dot2_f32_f16 v113, v31, v15, v113
	;;#ASMEND
	;;#ASMSTART
	v_dot2_f32_f16 v109, v28, v20, v109
	;;#ASMEND
	;;#ASMSTART
	v_dot2_f32_f16 v109, v29, v21, v109
	;;#ASMEND
	;;#ASMSTART
	v_dot2_f32_f16 v109, v30, v22, v109
	;;#ASMEND
	;;#ASMSTART
	v_dot2_f32_f16 v109, v31, v23, v109
	;;#ASMEND
	s_wait_dscnt 0x0
	;;#ASMSTART
	v_dot2_f32_f16 v122, v32, v4, v122
	;;#ASMEND
	;;#ASMSTART
	v_dot2_f32_f16 v122, v33, v5, v122
	;;#ASMEND
	;; [unrolled: 3-line block ×16, first 2 shown]
	ds_load_b128 v[0:3], v37 offset:48
	ds_load_b128 v[4:7], v41 offset:176
	ds_load_b128 v[8:11], v41 offset:432
	ds_load_b128 v[12:15], v41 offset:688
	ds_load_b128 v[20:23], v41 offset:944
	ds_load_b128 v[24:27], v37 offset:4656
	ds_load_b128 v[28:31], v37 offset:9264
	ds_load_b128 v[32:35], v37 offset:13872
	s_wait_dscnt 0x6
	;;#ASMSTART
	v_dot2_f32_f16 v119, v0, v4, v119
	;;#ASMEND
	;;#ASMSTART
	v_dot2_f32_f16 v119, v1, v5, v119
	;;#ASMEND
	;;#ASMSTART
	v_dot2_f32_f16 v119, v2, v6, v119
	;;#ASMEND
	;;#ASMSTART
	v_dot2_f32_f16 v119, v3, v7, v119
	;;#ASMEND
	s_wait_dscnt 0x5
	;;#ASMSTART
	v_dot2_f32_f16 v115, v0, v8, v115
	;;#ASMEND
	;;#ASMSTART
	v_dot2_f32_f16 v115, v1, v9, v115
	;;#ASMEND
	;;#ASMSTART
	v_dot2_f32_f16 v115, v2, v10, v115
	;;#ASMEND
	;;#ASMSTART
	v_dot2_f32_f16 v115, v3, v11, v115
	;;#ASMEND
	;; [unrolled: 13-line block ×5, first 2 shown]
	;;#ASMSTART
	v_dot2_f32_f16 v116, v24, v8, v116
	;;#ASMEND
	;;#ASMSTART
	v_dot2_f32_f16 v116, v25, v9, v116
	;;#ASMEND
	;; [unrolled: 3-line block ×12, first 2 shown]
	s_wait_dscnt 0x1
	;;#ASMSTART
	v_dot2_f32_f16 v121, v28, v4, v121
	;;#ASMEND
	;;#ASMSTART
	v_dot2_f32_f16 v121, v29, v5, v121
	;;#ASMEND
	;; [unrolled: 3-line block ×16, first 2 shown]
	s_wait_dscnt 0x0
	;;#ASMSTART
	v_dot2_f32_f16 v122, v32, v4, v122
	;;#ASMEND
	;;#ASMSTART
	v_dot2_f32_f16 v122, v33, v5, v122
	;;#ASMEND
	;; [unrolled: 3-line block ×16, first 2 shown]
	ds_load_b128 v[0:3], v37 offset:64
	ds_load_b128 v[4:7], v41 offset:192
	;; [unrolled: 1-line block ×8, first 2 shown]
	s_wait_dscnt 0x6
	;;#ASMSTART
	v_dot2_f32_f16 v119, v0, v4, v119
	;;#ASMEND
	;;#ASMSTART
	v_dot2_f32_f16 v119, v1, v5, v119
	;;#ASMEND
	;;#ASMSTART
	v_dot2_f32_f16 v119, v2, v6, v119
	;;#ASMEND
	;;#ASMSTART
	v_dot2_f32_f16 v119, v3, v7, v119
	;;#ASMEND
	s_wait_dscnt 0x5
	;;#ASMSTART
	v_dot2_f32_f16 v115, v0, v8, v115
	;;#ASMEND
	;;#ASMSTART
	v_dot2_f32_f16 v115, v1, v9, v115
	;;#ASMEND
	;;#ASMSTART
	v_dot2_f32_f16 v115, v2, v10, v115
	;;#ASMEND
	;;#ASMSTART
	v_dot2_f32_f16 v115, v3, v11, v115
	;;#ASMEND
	;; [unrolled: 13-line block ×5, first 2 shown]
	;;#ASMSTART
	v_dot2_f32_f16 v116, v24, v8, v116
	;;#ASMEND
	;;#ASMSTART
	v_dot2_f32_f16 v116, v25, v9, v116
	;;#ASMEND
	;; [unrolled: 3-line block ×12, first 2 shown]
	s_wait_dscnt 0x1
	;;#ASMSTART
	v_dot2_f32_f16 v121, v28, v4, v121
	;;#ASMEND
	;;#ASMSTART
	v_dot2_f32_f16 v121, v29, v5, v121
	;;#ASMEND
	;; [unrolled: 3-line block ×16, first 2 shown]
	s_wait_dscnt 0x0
	;;#ASMSTART
	v_dot2_f32_f16 v122, v32, v4, v122
	;;#ASMEND
	;;#ASMSTART
	v_dot2_f32_f16 v122, v33, v5, v122
	;;#ASMEND
	;; [unrolled: 3-line block ×16, first 2 shown]
	ds_load_b128 v[0:3], v37 offset:80
	ds_load_b128 v[4:7], v41 offset:208
	;; [unrolled: 1-line block ×8, first 2 shown]
	s_wait_dscnt 0x6
	;;#ASMSTART
	v_dot2_f32_f16 v119, v0, v4, v119
	;;#ASMEND
	;;#ASMSTART
	v_dot2_f32_f16 v119, v1, v5, v119
	;;#ASMEND
	;;#ASMSTART
	v_dot2_f32_f16 v119, v2, v6, v119
	;;#ASMEND
	;;#ASMSTART
	v_dot2_f32_f16 v119, v3, v7, v119
	;;#ASMEND
	s_wait_dscnt 0x5
	;;#ASMSTART
	v_dot2_f32_f16 v115, v0, v8, v115
	;;#ASMEND
	;;#ASMSTART
	v_dot2_f32_f16 v115, v1, v9, v115
	;;#ASMEND
	;;#ASMSTART
	v_dot2_f32_f16 v115, v2, v10, v115
	;;#ASMEND
	;;#ASMSTART
	v_dot2_f32_f16 v115, v3, v11, v115
	;;#ASMEND
	;; [unrolled: 13-line block ×5, first 2 shown]
	;;#ASMSTART
	v_dot2_f32_f16 v116, v24, v8, v116
	;;#ASMEND
	;;#ASMSTART
	v_dot2_f32_f16 v116, v25, v9, v116
	;;#ASMEND
	;; [unrolled: 3-line block ×12, first 2 shown]
	s_wait_dscnt 0x1
	;;#ASMSTART
	v_dot2_f32_f16 v121, v28, v4, v121
	;;#ASMEND
	;;#ASMSTART
	v_dot2_f32_f16 v121, v29, v5, v121
	;;#ASMEND
	;; [unrolled: 3-line block ×16, first 2 shown]
	s_wait_dscnt 0x0
	;;#ASMSTART
	v_dot2_f32_f16 v122, v32, v4, v122
	;;#ASMEND
	;;#ASMSTART
	v_dot2_f32_f16 v122, v33, v5, v122
	;;#ASMEND
	;;#ASMSTART
	v_dot2_f32_f16 v122, v34, v6, v122
	;;#ASMEND
	;;#ASMSTART
	v_dot2_f32_f16 v122, v35, v7, v122
	;;#ASMEND
	;;#ASMSTART
	v_dot2_f32_f16 v118, v32, v8, v118
	;;#ASMEND
	;;#ASMSTART
	v_dot2_f32_f16 v118, v33, v9, v118
	;;#ASMEND
	;;#ASMSTART
	v_dot2_f32_f16 v118, v34, v10, v118
	;;#ASMEND
	;;#ASMSTART
	v_dot2_f32_f16 v118, v35, v11, v118
	;;#ASMEND
	;;#ASMSTART
	v_dot2_f32_f16 v114, v32, v12, v114
	;;#ASMEND
	;;#ASMSTART
	v_dot2_f32_f16 v114, v33, v13, v114
	;;#ASMEND
	;;#ASMSTART
	v_dot2_f32_f16 v114, v34, v14, v114
	;;#ASMEND
	;;#ASMSTART
	v_dot2_f32_f16 v114, v35, v15, v114
	;;#ASMEND
	;;#ASMSTART
	v_dot2_f32_f16 v110, v32, v20, v110
	;;#ASMEND
	;;#ASMSTART
	v_dot2_f32_f16 v110, v33, v21, v110
	;;#ASMEND
	;;#ASMSTART
	v_dot2_f32_f16 v110, v34, v22, v110
	;;#ASMEND
	;;#ASMSTART
	v_dot2_f32_f16 v110, v35, v23, v110
	;;#ASMEND
	ds_load_b128 v[0:3], v37 offset:96
	ds_load_b128 v[4:7], v41 offset:224
	;; [unrolled: 1-line block ×8, first 2 shown]
	s_wait_dscnt 0x6
	;;#ASMSTART
	v_dot2_f32_f16 v119, v0, v4, v119
	;;#ASMEND
	;;#ASMSTART
	v_dot2_f32_f16 v119, v1, v5, v119
	;;#ASMEND
	;;#ASMSTART
	v_dot2_f32_f16 v119, v2, v6, v119
	;;#ASMEND
	;;#ASMSTART
	v_dot2_f32_f16 v119, v3, v7, v119
	;;#ASMEND
	s_wait_dscnt 0x5
	;;#ASMSTART
	v_dot2_f32_f16 v115, v0, v8, v115
	;;#ASMEND
	;;#ASMSTART
	v_dot2_f32_f16 v115, v1, v9, v115
	;;#ASMEND
	;;#ASMSTART
	v_dot2_f32_f16 v115, v2, v10, v115
	;;#ASMEND
	;;#ASMSTART
	v_dot2_f32_f16 v115, v3, v11, v115
	;;#ASMEND
	;; [unrolled: 13-line block ×5, first 2 shown]
	;;#ASMSTART
	v_dot2_f32_f16 v116, v24, v8, v116
	;;#ASMEND
	;;#ASMSTART
	v_dot2_f32_f16 v116, v25, v9, v116
	;;#ASMEND
	;; [unrolled: 3-line block ×12, first 2 shown]
	s_wait_dscnt 0x1
	;;#ASMSTART
	v_dot2_f32_f16 v121, v28, v4, v121
	;;#ASMEND
	;;#ASMSTART
	v_dot2_f32_f16 v121, v29, v5, v121
	;;#ASMEND
	;; [unrolled: 3-line block ×16, first 2 shown]
	s_wait_dscnt 0x0
	;;#ASMSTART
	v_dot2_f32_f16 v122, v32, v4, v122
	;;#ASMEND
	;;#ASMSTART
	v_dot2_f32_f16 v122, v33, v5, v122
	;;#ASMEND
	;; [unrolled: 3-line block ×16, first 2 shown]
	ds_load_b128 v[24:27], v37 offset:112
	ds_load_b128 v[0:3], v41 offset:240
	ds_load_b128 v[4:7], v41 offset:496
	ds_load_b128 v[8:11], v41 offset:752
	ds_load_b128 v[12:15], v41 offset:1008
	ds_load_b128 v[32:35], v37 offset:4720
	ds_load_b128 v[28:31], v37 offset:9328
	ds_load_b128 v[20:23], v37 offset:13936
	s_wait_dscnt 0x6
	;;#ASMSTART
	v_dot2_f32_f16 v119, v24, v0, v119
	;;#ASMEND
	;;#ASMSTART
	v_dot2_f32_f16 v119, v25, v1, v119
	;;#ASMEND
	;;#ASMSTART
	v_dot2_f32_f16 v119, v26, v2, v119
	;;#ASMEND
	;;#ASMSTART
	v_dot2_f32_f16 v119, v27, v3, v119
	;;#ASMEND
	s_wait_dscnt 0x5
	;;#ASMSTART
	v_dot2_f32_f16 v115, v24, v4, v115
	;;#ASMEND
	;;#ASMSTART
	v_dot2_f32_f16 v115, v25, v5, v115
	;;#ASMEND
	;;#ASMSTART
	v_dot2_f32_f16 v115, v26, v6, v115
	;;#ASMEND
	;;#ASMSTART
	v_dot2_f32_f16 v115, v27, v7, v115
	;;#ASMEND
	;; [unrolled: 13-line block ×5, first 2 shown]
	;;#ASMSTART
	v_dot2_f32_f16 v116, v32, v4, v116
	;;#ASMEND
	;;#ASMSTART
	v_dot2_f32_f16 v116, v33, v5, v116
	;;#ASMEND
	;; [unrolled: 3-line block ×12, first 2 shown]
	s_wait_dscnt 0x1
	;;#ASMSTART
	v_dot2_f32_f16 v121, v28, v0, v121
	;;#ASMEND
	;;#ASMSTART
	v_dot2_f32_f16 v121, v29, v1, v121
	;;#ASMEND
	;; [unrolled: 3-line block ×16, first 2 shown]
	s_wait_dscnt 0x0
	;;#ASMSTART
	v_dot2_f32_f16 v122, v20, v0, v122
	;;#ASMEND
	;;#ASMSTART
	v_dot2_f32_f16 v122, v21, v1, v122
	;;#ASMEND
	;; [unrolled: 3-line block ×9, first 2 shown]
	v_cmp_ngt_f32_e64 s35, 0x3f200000, |v119|
	;;#ASMSTART
	v_dot2_f32_f16 v114, v21, v9, v114
	;;#ASMEND
	;;#ASMSTART
	v_dot2_f32_f16 v114, v22, v10, v114
	;;#ASMEND
	;; [unrolled: 3-line block ×7, first 2 shown]
                                        ; implicit-def: $vgpr4
	s_and_saveexec_b32 s38, s35
	s_delay_alu instid0(SALU_CYCLE_1)
	s_xor_b32 s35, exec_lo, s38
	s_cbranch_execz .LBB87_10
; %bb.9:                                ;   in Loop: Header=BB87_8 Depth=1
	v_add_f32_e64 v0, |v119|, |v119|
	s_delay_alu instid0(VALU_DEP_1) | instskip(SKIP_1) | instid1(VALU_DEP_2)
	v_mul_f32_e32 v1, 0x3fb8aa3b, v0
	v_cmp_ngt_f32_e32 vcc_lo, 0xc2ce8ed0, v0
	v_rndne_f32_e32 v2, v1
	v_fma_f32 v3, 0x3fb8aa3b, v0, -v1
	s_delay_alu instid0(VALU_DEP_2) | instskip(NEXT) | instid1(VALU_DEP_2)
	v_sub_f32_e32 v1, v1, v2
	v_fmac_f32_e32 v3, 0x32a5705f, v0
	v_cvt_i32_f32_e32 v2, v2
	s_delay_alu instid0(VALU_DEP_2) | instskip(NEXT) | instid1(VALU_DEP_1)
	v_add_f32_e32 v1, v1, v3
	v_exp_f32_e32 v1, v1
	v_nop
	s_delay_alu instid0(TRANS32_DEP_1) | instskip(NEXT) | instid1(VALU_DEP_1)
	v_ldexp_f32 v1, v1, v2
	v_cndmask_b32_e32 v1, 0, v1, vcc_lo
	v_cmp_nlt_f32_e32 vcc_lo, 0x42b17218, v0
	s_delay_alu instid0(VALU_DEP_2) | instskip(NEXT) | instid1(VALU_DEP_1)
	v_cndmask_b32_e32 v0, 0x7f800000, v1, vcc_lo
	v_add_f32_e32 v0, 1.0, v0
	s_delay_alu instid0(VALU_DEP_1) | instskip(SKIP_1) | instid1(TRANS32_DEP_1)
	v_rcp_f32_e32 v0, v0
	v_nop
	v_fma_f32 v4, v0, -2.0, 1.0
.LBB87_10:                              ;   in Loop: Header=BB87_8 Depth=1
	s_and_not1_saveexec_b32 s35, s35
	s_cbranch_execz .LBB87_12
; %bb.11:                               ;   in Loop: Header=BB87_8 Depth=1
	v_mul_f32_e32 v0, v119, v119
	s_delay_alu instid0(VALU_DEP_1) | instskip(NEXT) | instid1(VALU_DEP_1)
	v_fmaak_f32 v1, s31, v0, 0x3ca908c9
	v_fmaak_f32 v1, v0, v1, 0xbd5c1c4e
	s_delay_alu instid0(VALU_DEP_1) | instskip(NEXT) | instid1(VALU_DEP_1)
	v_fmaak_f32 v1, v0, v1, 0x3e088382
	v_fmaak_f32 v1, v0, v1, 0xbeaaaa99
	s_delay_alu instid0(VALU_DEP_1) | instskip(NEXT) | instid1(VALU_DEP_1)
	v_mul_f32_e64 v1, |v119|, v1
	v_fma_f32 v4, v0, v1, |v119|
.LBB87_12:                              ;   in Loop: Header=BB87_8 Depth=1
	s_or_b32 exec_lo, exec_lo, s35
	v_add_nc_u32_e32 v10, s24, v36
	s_and_not1_b32 vcc_lo, exec_lo, s30
	s_delay_alu instid0(VALU_DEP_1)
	v_add_nc_u32_e32 v3, v10, v43
	s_cbranch_vccnz .LBB87_109
; %bb.13:                               ;   in Loop: Header=BB87_8 Depth=1
	global_load_u16 v0, v3, s[36:37] scale_offset
	s_wait_loadcnt 0x0
	v_cvt_f32_f16_e32 v0, v0
	s_delay_alu instid0(VALU_DEP_1) | instskip(SKIP_2) | instid1(SALU_CYCLE_1)
	v_mul_f32_e32 v0, v83, v0
	v_cmp_ngt_f32_e64 s35, 0x3f200000, |v120|
                                        ; implicit-def: $vgpr5
	s_and_saveexec_b32 s38, s35
	s_xor_b32 s35, exec_lo, s38
	s_cbranch_execz .LBB87_15
.LBB87_14:                              ;   in Loop: Header=BB87_8 Depth=1
	v_add_f32_e64 v1, |v120|, |v120|
	s_delay_alu instid0(VALU_DEP_1) | instskip(SKIP_1) | instid1(VALU_DEP_2)
	v_mul_f32_e32 v2, 0x3fb8aa3b, v1
	v_cmp_ngt_f32_e32 vcc_lo, 0xc2ce8ed0, v1
	v_rndne_f32_e32 v5, v2
	v_fma_f32 v6, 0x3fb8aa3b, v1, -v2
	s_delay_alu instid0(VALU_DEP_2) | instskip(NEXT) | instid1(VALU_DEP_2)
	v_sub_f32_e32 v2, v2, v5
	v_fmac_f32_e32 v6, 0x32a5705f, v1
	v_cvt_i32_f32_e32 v5, v5
	s_delay_alu instid0(VALU_DEP_2) | instskip(NEXT) | instid1(VALU_DEP_1)
	v_add_f32_e32 v2, v2, v6
	v_exp_f32_e32 v2, v2
	v_nop
	s_delay_alu instid0(TRANS32_DEP_1) | instskip(NEXT) | instid1(VALU_DEP_1)
	v_ldexp_f32 v2, v2, v5
	v_cndmask_b32_e32 v2, 0, v2, vcc_lo
	v_cmp_nlt_f32_e32 vcc_lo, 0x42b17218, v1
	s_delay_alu instid0(VALU_DEP_2) | instskip(NEXT) | instid1(VALU_DEP_1)
	v_cndmask_b32_e32 v1, 0x7f800000, v2, vcc_lo
	v_add_f32_e32 v1, 1.0, v1
	s_delay_alu instid0(VALU_DEP_1) | instskip(SKIP_1) | instid1(TRANS32_DEP_1)
	v_rcp_f32_e32 v1, v1
	v_nop
	v_fma_f32 v5, v1, -2.0, 1.0
.LBB87_15:                              ;   in Loop: Header=BB87_8 Depth=1
	s_and_not1_saveexec_b32 s35, s35
	s_cbranch_execz .LBB87_18
; %bb.16:                               ;   in Loop: Header=BB87_8 Depth=1
	v_mul_f32_e32 v1, v120, v120
	s_delay_alu instid0(VALU_DEP_1) | instskip(NEXT) | instid1(VALU_DEP_1)
	v_fmaak_f32 v2, s31, v1, 0x3ca908c9
	v_fmaak_f32 v2, v1, v2, 0xbd5c1c4e
	s_delay_alu instid0(VALU_DEP_1) | instskip(NEXT) | instid1(VALU_DEP_1)
	v_fmaak_f32 v2, v1, v2, 0x3e088382
	v_fmaak_f32 v2, v1, v2, 0xbeaaaa99
	s_delay_alu instid0(VALU_DEP_1) | instskip(NEXT) | instid1(VALU_DEP_1)
	v_mul_f32_e64 v2, |v120|, v2
	v_fma_f32 v5, v1, v2, |v120|
	s_or_b32 exec_lo, exec_lo, s35
	s_delay_alu instid0(SALU_CYCLE_1)
	s_and_not1_b32 vcc_lo, exec_lo, s30
	s_cbranch_vccz .LBB87_19
.LBB87_17:                              ;   in Loop: Header=BB87_8 Depth=1
	v_mov_b32_e32 v1, 0
	v_cmp_ngt_f32_e64 s35, 0x3f200000, |v121|
                                        ; implicit-def: $vgpr6
	s_and_saveexec_b32 s38, s35
	s_delay_alu instid0(SALU_CYCLE_1)
	s_xor_b32 s35, exec_lo, s38
	s_cbranch_execz .LBB87_21
	s_branch .LBB87_20
.LBB87_18:                              ;   in Loop: Header=BB87_8 Depth=1
	s_or_b32 exec_lo, exec_lo, s35
	s_delay_alu instid0(SALU_CYCLE_1)
	s_and_not1_b32 vcc_lo, exec_lo, s30
	s_cbranch_vccnz .LBB87_17
.LBB87_19:                              ;   in Loop: Header=BB87_8 Depth=1
	global_load_u16 v1, v3, s[36:37] offset:64 scale_offset
	s_wait_loadcnt 0x0
	v_cvt_f32_f16_e32 v1, v1
	s_delay_alu instid0(VALU_DEP_1) | instskip(SKIP_2) | instid1(SALU_CYCLE_1)
	v_mul_f32_e32 v1, v83, v1
	v_cmp_ngt_f32_e64 s35, 0x3f200000, |v121|
                                        ; implicit-def: $vgpr6
	s_and_saveexec_b32 s38, s35
	s_xor_b32 s35, exec_lo, s38
	s_cbranch_execz .LBB87_21
.LBB87_20:                              ;   in Loop: Header=BB87_8 Depth=1
	v_add_f32_e64 v2, |v121|, |v121|
	s_delay_alu instid0(VALU_DEP_1) | instskip(SKIP_1) | instid1(VALU_DEP_2)
	v_mul_f32_e32 v6, 0x3fb8aa3b, v2
	v_cmp_ngt_f32_e32 vcc_lo, 0xc2ce8ed0, v2
	v_rndne_f32_e32 v7, v6
	v_fma_f32 v8, 0x3fb8aa3b, v2, -v6
	s_delay_alu instid0(VALU_DEP_2) | instskip(NEXT) | instid1(VALU_DEP_2)
	v_sub_f32_e32 v6, v6, v7
	v_fmac_f32_e32 v8, 0x32a5705f, v2
	v_cvt_i32_f32_e32 v7, v7
	s_delay_alu instid0(VALU_DEP_2) | instskip(NEXT) | instid1(VALU_DEP_1)
	v_add_f32_e32 v6, v6, v8
	v_exp_f32_e32 v6, v6
	v_nop
	s_delay_alu instid0(TRANS32_DEP_1) | instskip(NEXT) | instid1(VALU_DEP_1)
	v_ldexp_f32 v6, v6, v7
	v_cndmask_b32_e32 v6, 0, v6, vcc_lo
	v_cmp_nlt_f32_e32 vcc_lo, 0x42b17218, v2
	s_delay_alu instid0(VALU_DEP_2) | instskip(NEXT) | instid1(VALU_DEP_1)
	v_cndmask_b32_e32 v2, 0x7f800000, v6, vcc_lo
	v_add_f32_e32 v2, 1.0, v2
	s_delay_alu instid0(VALU_DEP_1) | instskip(SKIP_1) | instid1(TRANS32_DEP_1)
	v_rcp_f32_e32 v2, v2
	v_nop
	v_fma_f32 v6, v2, -2.0, 1.0
.LBB87_21:                              ;   in Loop: Header=BB87_8 Depth=1
	s_and_not1_saveexec_b32 s35, s35
	s_cbranch_execz .LBB87_24
; %bb.22:                               ;   in Loop: Header=BB87_8 Depth=1
	v_mul_f32_e32 v2, v121, v121
	s_delay_alu instid0(VALU_DEP_1) | instskip(NEXT) | instid1(VALU_DEP_1)
	v_fmaak_f32 v6, s31, v2, 0x3ca908c9
	v_fmaak_f32 v6, v2, v6, 0xbd5c1c4e
	s_delay_alu instid0(VALU_DEP_1) | instskip(NEXT) | instid1(VALU_DEP_1)
	v_fmaak_f32 v6, v2, v6, 0x3e088382
	v_fmaak_f32 v6, v2, v6, 0xbeaaaa99
	s_delay_alu instid0(VALU_DEP_1) | instskip(NEXT) | instid1(VALU_DEP_1)
	v_mul_f32_e64 v6, |v121|, v6
	v_fma_f32 v6, v2, v6, |v121|
	s_or_b32 exec_lo, exec_lo, s35
	s_delay_alu instid0(SALU_CYCLE_1)
	s_and_not1_b32 vcc_lo, exec_lo, s30
	s_cbranch_vccz .LBB87_25
.LBB87_23:                              ;   in Loop: Header=BB87_8 Depth=1
	v_mov_b32_e32 v2, 0
	v_cmp_ngt_f32_e64 s35, 0x3f200000, |v122|
                                        ; implicit-def: $vgpr7
	s_and_saveexec_b32 s38, s35
	s_delay_alu instid0(SALU_CYCLE_1)
	s_xor_b32 s35, exec_lo, s38
	s_cbranch_execz .LBB87_27
	s_branch .LBB87_26
.LBB87_24:                              ;   in Loop: Header=BB87_8 Depth=1
	s_or_b32 exec_lo, exec_lo, s35
	s_delay_alu instid0(SALU_CYCLE_1)
	s_and_not1_b32 vcc_lo, exec_lo, s30
	s_cbranch_vccnz .LBB87_23
.LBB87_25:                              ;   in Loop: Header=BB87_8 Depth=1
	global_load_u16 v2, v3, s[36:37] offset:128 scale_offset
	s_wait_loadcnt 0x0
	v_cvt_f32_f16_e32 v2, v2
	s_delay_alu instid0(VALU_DEP_1) | instskip(SKIP_2) | instid1(SALU_CYCLE_1)
	v_mul_f32_e32 v2, v83, v2
	v_cmp_ngt_f32_e64 s35, 0x3f200000, |v122|
                                        ; implicit-def: $vgpr7
	s_and_saveexec_b32 s38, s35
	s_xor_b32 s35, exec_lo, s38
	s_cbranch_execz .LBB87_27
.LBB87_26:                              ;   in Loop: Header=BB87_8 Depth=1
	v_add_f32_e64 v7, |v122|, |v122|
	s_delay_alu instid0(VALU_DEP_1) | instskip(SKIP_1) | instid1(VALU_DEP_2)
	v_mul_f32_e32 v8, 0x3fb8aa3b, v7
	v_cmp_ngt_f32_e32 vcc_lo, 0xc2ce8ed0, v7
	v_rndne_f32_e32 v9, v8
	v_fma_f32 v11, 0x3fb8aa3b, v7, -v8
	s_delay_alu instid0(VALU_DEP_1) | instskip(SKIP_1) | instid1(VALU_DEP_2)
	v_dual_sub_f32 v8, v8, v9 :: v_dual_fmac_f32 v11, 0x32a5705f, v7
	v_cvt_i32_f32_e32 v9, v9
	v_add_f32_e32 v8, v8, v11
	s_delay_alu instid0(VALU_DEP_1) | instskip(SKIP_1) | instid1(TRANS32_DEP_1)
	v_exp_f32_e32 v8, v8
	v_nop
	v_ldexp_f32 v8, v8, v9
	s_delay_alu instid0(VALU_DEP_1) | instskip(SKIP_1) | instid1(VALU_DEP_2)
	v_cndmask_b32_e32 v8, 0, v8, vcc_lo
	v_cmp_nlt_f32_e32 vcc_lo, 0x42b17218, v7
	v_cndmask_b32_e32 v7, 0x7f800000, v8, vcc_lo
	s_delay_alu instid0(VALU_DEP_1) | instskip(NEXT) | instid1(VALU_DEP_1)
	v_add_f32_e32 v7, 1.0, v7
	v_rcp_f32_e32 v7, v7
	v_nop
	s_delay_alu instid0(TRANS32_DEP_1)
	v_fma_f32 v7, v7, -2.0, 1.0
.LBB87_27:                              ;   in Loop: Header=BB87_8 Depth=1
	s_and_not1_saveexec_b32 s35, s35
	s_cbranch_execz .LBB87_30
; %bb.28:                               ;   in Loop: Header=BB87_8 Depth=1
	v_mul_f32_e32 v7, v122, v122
	s_delay_alu instid0(VALU_DEP_1) | instskip(NEXT) | instid1(VALU_DEP_1)
	v_fmaak_f32 v8, s31, v7, 0x3ca908c9
	v_fmaak_f32 v8, v7, v8, 0xbd5c1c4e
	s_delay_alu instid0(VALU_DEP_1) | instskip(NEXT) | instid1(VALU_DEP_1)
	v_fmaak_f32 v8, v7, v8, 0x3e088382
	v_fmaak_f32 v8, v7, v8, 0xbeaaaa99
	s_delay_alu instid0(VALU_DEP_1) | instskip(NEXT) | instid1(VALU_DEP_1)
	v_mul_f32_e64 v8, |v122|, v8
	v_fma_f32 v7, v7, v8, |v122|
	s_or_b32 exec_lo, exec_lo, s35
	s_delay_alu instid0(SALU_CYCLE_1)
	s_and_not1_b32 vcc_lo, exec_lo, s30
	s_cbranch_vccz .LBB87_31
.LBB87_29:                              ;   in Loop: Header=BB87_8 Depth=1
	v_mov_b32_e32 v3, 0
	s_branch .LBB87_32
.LBB87_30:                              ;   in Loop: Header=BB87_8 Depth=1
	s_or_b32 exec_lo, exec_lo, s35
	s_delay_alu instid0(SALU_CYCLE_1)
	s_and_not1_b32 vcc_lo, exec_lo, s30
	s_cbranch_vccnz .LBB87_29
.LBB87_31:                              ;   in Loop: Header=BB87_8 Depth=1
	global_load_u16 v3, v3, s[36:37] offset:192 scale_offset
	s_wait_loadcnt 0x0
	v_cvt_f32_f16_e32 v3, v3
	s_delay_alu instid0(VALU_DEP_1)
	v_mul_f32_e32 v3, v83, v3
.LBB87_32:                              ;   in Loop: Header=BB87_8 Depth=1
	v_bfi_b32 v4, 0x7fffffff, v4, v119
	v_bfi_b32 v5, 0x7fffffff, v5, v120
	;; [unrolled: 1-line block ×3, first 2 shown]
	v_cmp_ngt_f32_e64 s35, 0x3f200000, |v115|
                                        ; implicit-def: $vgpr20
	s_delay_alu instid0(VALU_DEP_3) | instskip(SKIP_1) | instid1(VALU_DEP_4)
	v_dual_fmac_f32 v0, s11, v4 :: v_dual_fmac_f32 v1, s11, v5
	v_bfi_b32 v4, 0x7fffffff, v7, v122
	v_dual_fmac_f32 v2, s11, v6 :: v_dual_bitop2_b32 v5, 16, v45 bitop3:0x14
	s_delay_alu instid0(VALU_DEP_3) | instskip(NEXT) | instid1(VALU_DEP_2)
	v_dual_add_f32 v6, 0x40051340, v0 :: v_dual_add_f32 v7, 0x40051340, v1
	v_cmp_gt_i32_e32 vcc_lo, 32, v5
	s_delay_alu instid0(VALU_DEP_4) | instskip(NEXT) | instid1(VALU_DEP_3)
	v_fmac_f32_e32 v3, s11, v4
	v_max3_num_f32 v6, v105, v6, v7
	v_dual_cndmask_b32 v4, v45, v5 :: v_dual_add_f32 v5, 0x40051340, v2
	s_delay_alu instid0(VALU_DEP_1) | instskip(NEXT) | instid1(VALU_DEP_1)
	v_dual_add_f32 v7, 0x40051340, v3 :: v_dual_lshlrev_b32 v4, 2, v4
	v_max3_num_f32 v6, v6, v5, v7
	ds_bpermute_b32 v5, v4, v6
	s_wait_dscnt 0x0
	v_max_num_f32_e32 v8, v5, v5
	s_delay_alu instid0(VALU_DEP_1) | instskip(NEXT) | instid1(VALU_DEP_1)
	v_dual_max_num_f32 v6, v6, v8 :: v_dual_bitop2_b32 v7, 8, v45 bitop3:0x14
	v_cmp_gt_i32_e32 vcc_lo, 32, v7
	v_dual_cndmask_b32 v7, v45, v7, vcc_lo :: v_dual_bitop2_b32 v8, 4, v45 bitop3:0x14
	s_delay_alu instid0(VALU_DEP_1) | instskip(NEXT) | instid1(VALU_DEP_2)
	v_cmp_gt_i32_e32 vcc_lo, 32, v8
	v_dual_cndmask_b32 v8, v45, v8 :: v_dual_lshlrev_b32 v5, 2, v7
	ds_bpermute_b32 v7, v5, v6
	s_wait_dscnt 0x0
	v_dual_max_num_f32 v9, v7, v7 :: v_dual_lshlrev_b32 v7, 2, v8
	s_delay_alu instid0(VALU_DEP_1) | instskip(SKIP_1) | instid1(VALU_DEP_1)
	v_max_num_f32_e32 v6, v6, v9
	v_xor_b32_e32 v9, 2, v45
	v_cmp_gt_i32_e32 vcc_lo, 32, v9
	v_cndmask_b32_e32 v9, v45, v9, vcc_lo
	ds_bpermute_b32 v8, v7, v6
	s_wait_dscnt 0x0
	v_dual_max_num_f32 v11, v8, v8 :: v_dual_lshlrev_b32 v8, 2, v9
	s_delay_alu instid0(VALU_DEP_1) | instskip(SKIP_3) | instid1(VALU_DEP_1)
	v_max_num_f32_e32 v6, v6, v11
	ds_bpermute_b32 v9, v8, v6
	s_wait_dscnt 0x0
	v_max_num_f32_e32 v12, v9, v9
	v_dual_max_num_f32 v12, v6, v12 :: v_dual_bitop2_b32 v11, 1, v45 bitop3:0x14
	s_delay_alu instid0(VALU_DEP_1) | instskip(SKIP_1) | instid1(VALU_DEP_1)
	v_cmp_gt_i32_e32 vcc_lo, 32, v11
	v_cndmask_b32_e32 v11, v45, v11, vcc_lo
	v_lshlrev_b32_e32 v9, 2, v11
	ds_bpermute_b32 v13, v9, v12
	s_and_saveexec_b32 s38, s35
	s_delay_alu instid0(SALU_CYCLE_1)
	s_xor_b32 s35, exec_lo, s38
	s_cbranch_execz .LBB87_40
; %bb.33:                               ;   in Loop: Header=BB87_8 Depth=1
	v_add_f32_e64 v6, |v115|, |v115|
	s_delay_alu instid0(VALU_DEP_1) | instskip(SKIP_1) | instid1(VALU_DEP_2)
	v_mul_f32_e32 v11, 0x3fb8aa3b, v6
	v_cmp_ngt_f32_e32 vcc_lo, 0xc2ce8ed0, v6
	v_rndne_f32_e32 v14, v11
	v_fma_f32 v15, 0x3fb8aa3b, v6, -v11
	s_delay_alu instid0(VALU_DEP_2) | instskip(NEXT) | instid1(VALU_DEP_2)
	v_sub_f32_e32 v11, v11, v14
	v_fmac_f32_e32 v15, 0x32a5705f, v6
	v_cvt_i32_f32_e32 v14, v14
	s_delay_alu instid0(VALU_DEP_2) | instskip(NEXT) | instid1(VALU_DEP_1)
	v_add_f32_e32 v11, v11, v15
	v_exp_f32_e32 v11, v11
	v_nop
	s_delay_alu instid0(TRANS32_DEP_1) | instskip(NEXT) | instid1(VALU_DEP_1)
	v_ldexp_f32 v11, v11, v14
	v_cndmask_b32_e32 v11, 0, v11, vcc_lo
	v_cmp_nlt_f32_e32 vcc_lo, 0x42b17218, v6
	s_delay_alu instid0(VALU_DEP_2) | instskip(NEXT) | instid1(VALU_DEP_1)
	v_cndmask_b32_e32 v6, 0x7f800000, v11, vcc_lo
	v_add_f32_e32 v6, 1.0, v6
	s_delay_alu instid0(VALU_DEP_1) | instskip(SKIP_1) | instid1(TRANS32_DEP_1)
	v_rcp_f32_e32 v6, v6
	v_nop
	v_fma_f32 v20, v6, -2.0, 1.0
	s_and_not1_saveexec_b32 s35, s35
	s_cbranch_execnz .LBB87_41
.LBB87_34:                              ;   in Loop: Header=BB87_8 Depth=1
	s_or_b32 exec_lo, exec_lo, s35
	v_add_nc_u32_e32 v15, v10, v95
	s_and_not1_b32 vcc_lo, exec_lo, s30
	s_cbranch_vccnz .LBB87_42
.LBB87_35:                              ;   in Loop: Header=BB87_8 Depth=1
	global_load_u16 v6, v15, s[36:37] scale_offset
	s_wait_loadcnt 0x0
	v_cvt_f32_f16_e32 v6, v6
	s_delay_alu instid0(VALU_DEP_1) | instskip(SKIP_2) | instid1(SALU_CYCLE_1)
	v_mul_f32_e32 v6, v83, v6
	v_cmp_ngt_f32_e64 s35, 0x3f200000, |v116|
                                        ; implicit-def: $vgpr21
	s_and_saveexec_b32 s38, s35
	s_xor_b32 s35, exec_lo, s38
	s_cbranch_execz .LBB87_37
.LBB87_36:                              ;   in Loop: Header=BB87_8 Depth=1
	v_add_f32_e64 v11, |v116|, |v116|
	s_delay_alu instid0(VALU_DEP_1) | instskip(SKIP_1) | instid1(VALU_DEP_2)
	v_mul_f32_e32 v14, 0x3fb8aa3b, v11
	v_cmp_ngt_f32_e32 vcc_lo, 0xc2ce8ed0, v11
	v_rndne_f32_e32 v21, v14
	v_fma_f32 v22, 0x3fb8aa3b, v11, -v14
	s_delay_alu instid0(VALU_DEP_2) | instskip(NEXT) | instid1(VALU_DEP_2)
	v_sub_f32_e32 v14, v14, v21
	v_fmac_f32_e32 v22, 0x32a5705f, v11
	v_cvt_i32_f32_e32 v21, v21
	s_delay_alu instid0(VALU_DEP_2) | instskip(NEXT) | instid1(VALU_DEP_1)
	v_add_f32_e32 v14, v14, v22
	v_exp_f32_e32 v14, v14
	v_nop
	s_delay_alu instid0(TRANS32_DEP_1) | instskip(NEXT) | instid1(VALU_DEP_1)
	v_ldexp_f32 v14, v14, v21
	v_cndmask_b32_e32 v14, 0, v14, vcc_lo
	v_cmp_nlt_f32_e32 vcc_lo, 0x42b17218, v11
	s_delay_alu instid0(VALU_DEP_2) | instskip(NEXT) | instid1(VALU_DEP_1)
	v_cndmask_b32_e32 v11, 0x7f800000, v14, vcc_lo
	v_add_f32_e32 v11, 1.0, v11
	s_delay_alu instid0(VALU_DEP_1) | instskip(SKIP_1) | instid1(TRANS32_DEP_1)
	v_rcp_f32_e32 v11, v11
	v_nop
	v_fma_f32 v21, v11, -2.0, 1.0
.LBB87_37:                              ;   in Loop: Header=BB87_8 Depth=1
	s_and_not1_saveexec_b32 s35, s35
	s_cbranch_execz .LBB87_43
; %bb.38:                               ;   in Loop: Header=BB87_8 Depth=1
	v_mul_f32_e32 v11, v116, v116
	s_delay_alu instid0(VALU_DEP_1) | instskip(NEXT) | instid1(VALU_DEP_1)
	v_fmaak_f32 v14, s31, v11, 0x3ca908c9
	v_fmaak_f32 v14, v11, v14, 0xbd5c1c4e
	s_delay_alu instid0(VALU_DEP_1) | instskip(NEXT) | instid1(VALU_DEP_1)
	v_fmaak_f32 v14, v11, v14, 0x3e088382
	v_fmaak_f32 v14, v11, v14, 0xbeaaaa99
	s_delay_alu instid0(VALU_DEP_1) | instskip(NEXT) | instid1(VALU_DEP_1)
	v_mul_f32_e64 v14, |v116|, v14
	v_fma_f32 v21, v11, v14, |v116|
	s_or_b32 exec_lo, exec_lo, s35
	s_delay_alu instid0(SALU_CYCLE_1)
	s_and_not1_b32 vcc_lo, exec_lo, s30
	s_cbranch_vccz .LBB87_44
.LBB87_39:                              ;   in Loop: Header=BB87_8 Depth=1
	v_mov_b32_e32 v11, 0
	v_cmp_ngt_f32_e64 s35, 0x3f200000, |v117|
                                        ; implicit-def: $vgpr22
	s_and_saveexec_b32 s38, s35
	s_delay_alu instid0(SALU_CYCLE_1)
	s_xor_b32 s35, exec_lo, s38
	s_cbranch_execz .LBB87_46
	s_branch .LBB87_45
.LBB87_40:                              ;   in Loop: Header=BB87_8 Depth=1
	s_and_not1_saveexec_b32 s35, s35
	s_cbranch_execz .LBB87_34
.LBB87_41:                              ;   in Loop: Header=BB87_8 Depth=1
	v_mul_f32_e32 v6, v115, v115
	s_delay_alu instid0(VALU_DEP_1) | instskip(NEXT) | instid1(VALU_DEP_1)
	v_fmaak_f32 v11, s31, v6, 0x3ca908c9
	v_fmaak_f32 v11, v6, v11, 0xbd5c1c4e
	s_delay_alu instid0(VALU_DEP_1) | instskip(NEXT) | instid1(VALU_DEP_1)
	v_fmaak_f32 v11, v6, v11, 0x3e088382
	v_fmaak_f32 v11, v6, v11, 0xbeaaaa99
	s_delay_alu instid0(VALU_DEP_1) | instskip(NEXT) | instid1(VALU_DEP_1)
	v_mul_f32_e64 v11, |v115|, v11
	v_fma_f32 v20, v6, v11, |v115|
	s_or_b32 exec_lo, exec_lo, s35
	v_add_nc_u32_e32 v15, v10, v95
	s_and_not1_b32 vcc_lo, exec_lo, s30
	s_cbranch_vccz .LBB87_35
.LBB87_42:                              ;   in Loop: Header=BB87_8 Depth=1
	v_mov_b32_e32 v6, 0
	v_cmp_ngt_f32_e64 s35, 0x3f200000, |v116|
                                        ; implicit-def: $vgpr21
	s_and_saveexec_b32 s38, s35
	s_delay_alu instid0(SALU_CYCLE_1)
	s_xor_b32 s35, exec_lo, s38
	s_cbranch_execz .LBB87_37
	s_branch .LBB87_36
.LBB87_43:                              ;   in Loop: Header=BB87_8 Depth=1
	s_or_b32 exec_lo, exec_lo, s35
	s_delay_alu instid0(SALU_CYCLE_1)
	s_and_not1_b32 vcc_lo, exec_lo, s30
	s_cbranch_vccnz .LBB87_39
.LBB87_44:                              ;   in Loop: Header=BB87_8 Depth=1
	global_load_u16 v11, v15, s[36:37] offset:64 scale_offset
	s_wait_loadcnt 0x0
	v_cvt_f32_f16_e32 v11, v11
	s_delay_alu instid0(VALU_DEP_1) | instskip(SKIP_2) | instid1(SALU_CYCLE_1)
	v_mul_f32_e32 v11, v83, v11
	v_cmp_ngt_f32_e64 s35, 0x3f200000, |v117|
                                        ; implicit-def: $vgpr22
	s_and_saveexec_b32 s38, s35
	s_xor_b32 s35, exec_lo, s38
	s_cbranch_execz .LBB87_46
.LBB87_45:                              ;   in Loop: Header=BB87_8 Depth=1
	v_add_f32_e64 v14, |v117|, |v117|
	s_delay_alu instid0(VALU_DEP_1) | instskip(SKIP_1) | instid1(VALU_DEP_2)
	v_mul_f32_e32 v22, 0x3fb8aa3b, v14
	v_cmp_ngt_f32_e32 vcc_lo, 0xc2ce8ed0, v14
	v_rndne_f32_e32 v23, v22
	v_fma_f32 v24, 0x3fb8aa3b, v14, -v22
	s_delay_alu instid0(VALU_DEP_2) | instskip(NEXT) | instid1(VALU_DEP_2)
	v_sub_f32_e32 v22, v22, v23
	v_fmac_f32_e32 v24, 0x32a5705f, v14
	v_cvt_i32_f32_e32 v23, v23
	s_delay_alu instid0(VALU_DEP_2) | instskip(NEXT) | instid1(VALU_DEP_1)
	v_add_f32_e32 v22, v22, v24
	v_exp_f32_e32 v22, v22
	v_nop
	s_delay_alu instid0(TRANS32_DEP_1) | instskip(NEXT) | instid1(VALU_DEP_1)
	v_ldexp_f32 v22, v22, v23
	v_cndmask_b32_e32 v22, 0, v22, vcc_lo
	v_cmp_nlt_f32_e32 vcc_lo, 0x42b17218, v14
	s_delay_alu instid0(VALU_DEP_2) | instskip(NEXT) | instid1(VALU_DEP_1)
	v_cndmask_b32_e32 v14, 0x7f800000, v22, vcc_lo
	v_add_f32_e32 v14, 1.0, v14
	s_delay_alu instid0(VALU_DEP_1) | instskip(SKIP_1) | instid1(TRANS32_DEP_1)
	v_rcp_f32_e32 v14, v14
	v_nop
	v_fma_f32 v22, v14, -2.0, 1.0
.LBB87_46:                              ;   in Loop: Header=BB87_8 Depth=1
	s_and_not1_saveexec_b32 s35, s35
	s_cbranch_execz .LBB87_49
; %bb.47:                               ;   in Loop: Header=BB87_8 Depth=1
	v_mul_f32_e32 v14, v117, v117
	s_delay_alu instid0(VALU_DEP_1) | instskip(NEXT) | instid1(VALU_DEP_1)
	v_fmaak_f32 v22, s31, v14, 0x3ca908c9
	v_fmaak_f32 v22, v14, v22, 0xbd5c1c4e
	s_delay_alu instid0(VALU_DEP_1) | instskip(NEXT) | instid1(VALU_DEP_1)
	v_fmaak_f32 v22, v14, v22, 0x3e088382
	v_fmaak_f32 v22, v14, v22, 0xbeaaaa99
	s_delay_alu instid0(VALU_DEP_1) | instskip(NEXT) | instid1(VALU_DEP_1)
	v_mul_f32_e64 v22, |v117|, v22
	v_fma_f32 v22, v14, v22, |v117|
	s_or_b32 exec_lo, exec_lo, s35
	s_delay_alu instid0(SALU_CYCLE_1)
	s_and_not1_b32 vcc_lo, exec_lo, s30
	s_cbranch_vccz .LBB87_50
.LBB87_48:                              ;   in Loop: Header=BB87_8 Depth=1
	v_mov_b32_e32 v14, 0
	v_cmp_ngt_f32_e64 s35, 0x3f200000, |v118|
                                        ; implicit-def: $vgpr23
	s_and_saveexec_b32 s38, s35
	s_delay_alu instid0(SALU_CYCLE_1)
	s_xor_b32 s35, exec_lo, s38
	s_cbranch_execz .LBB87_52
	s_branch .LBB87_51
.LBB87_49:                              ;   in Loop: Header=BB87_8 Depth=1
	s_or_b32 exec_lo, exec_lo, s35
	s_delay_alu instid0(SALU_CYCLE_1)
	s_and_not1_b32 vcc_lo, exec_lo, s30
	s_cbranch_vccnz .LBB87_48
.LBB87_50:                              ;   in Loop: Header=BB87_8 Depth=1
	global_load_u16 v14, v15, s[36:37] offset:128 scale_offset
	s_wait_loadcnt 0x0
	v_cvt_f32_f16_e32 v14, v14
	s_delay_alu instid0(VALU_DEP_1) | instskip(SKIP_2) | instid1(SALU_CYCLE_1)
	v_mul_f32_e32 v14, v83, v14
	v_cmp_ngt_f32_e64 s35, 0x3f200000, |v118|
                                        ; implicit-def: $vgpr23
	s_and_saveexec_b32 s38, s35
	s_xor_b32 s35, exec_lo, s38
	s_cbranch_execz .LBB87_52
.LBB87_51:                              ;   in Loop: Header=BB87_8 Depth=1
	v_add_f32_e64 v23, |v118|, |v118|
	s_delay_alu instid0(VALU_DEP_1) | instskip(SKIP_1) | instid1(VALU_DEP_2)
	v_mul_f32_e32 v24, 0x3fb8aa3b, v23
	v_cmp_ngt_f32_e32 vcc_lo, 0xc2ce8ed0, v23
	v_rndne_f32_e32 v25, v24
	v_fma_f32 v26, 0x3fb8aa3b, v23, -v24
	s_delay_alu instid0(VALU_DEP_2) | instskip(NEXT) | instid1(VALU_DEP_2)
	v_sub_f32_e32 v24, v24, v25
	v_fmac_f32_e32 v26, 0x32a5705f, v23
	v_cvt_i32_f32_e32 v25, v25
	s_delay_alu instid0(VALU_DEP_2) | instskip(NEXT) | instid1(VALU_DEP_1)
	v_add_f32_e32 v24, v24, v26
	v_exp_f32_e32 v24, v24
	v_nop
	s_delay_alu instid0(TRANS32_DEP_1) | instskip(NEXT) | instid1(VALU_DEP_1)
	v_ldexp_f32 v24, v24, v25
	v_cndmask_b32_e32 v24, 0, v24, vcc_lo
	v_cmp_nlt_f32_e32 vcc_lo, 0x42b17218, v23
	s_delay_alu instid0(VALU_DEP_2) | instskip(NEXT) | instid1(VALU_DEP_1)
	v_cndmask_b32_e32 v23, 0x7f800000, v24, vcc_lo
	v_add_f32_e32 v23, 1.0, v23
	s_delay_alu instid0(VALU_DEP_1) | instskip(SKIP_1) | instid1(TRANS32_DEP_1)
	v_rcp_f32_e32 v23, v23
	v_nop
	v_fma_f32 v23, v23, -2.0, 1.0
.LBB87_52:                              ;   in Loop: Header=BB87_8 Depth=1
	s_and_not1_saveexec_b32 s35, s35
	s_cbranch_execz .LBB87_55
; %bb.53:                               ;   in Loop: Header=BB87_8 Depth=1
	v_mul_f32_e32 v23, v118, v118
	s_delay_alu instid0(VALU_DEP_1) | instskip(NEXT) | instid1(VALU_DEP_1)
	v_fmaak_f32 v24, s31, v23, 0x3ca908c9
	v_fmaak_f32 v24, v23, v24, 0xbd5c1c4e
	s_delay_alu instid0(VALU_DEP_1) | instskip(NEXT) | instid1(VALU_DEP_1)
	v_fmaak_f32 v24, v23, v24, 0x3e088382
	v_fmaak_f32 v24, v23, v24, 0xbeaaaa99
	s_delay_alu instid0(VALU_DEP_1) | instskip(NEXT) | instid1(VALU_DEP_1)
	v_mul_f32_e64 v24, |v118|, v24
	v_fma_f32 v23, v23, v24, |v118|
	s_or_b32 exec_lo, exec_lo, s35
	s_delay_alu instid0(SALU_CYCLE_1)
	s_and_not1_b32 vcc_lo, exec_lo, s30
	s_cbranch_vccz .LBB87_56
.LBB87_54:                              ;   in Loop: Header=BB87_8 Depth=1
	v_mov_b32_e32 v15, 0
	s_branch .LBB87_57
.LBB87_55:                              ;   in Loop: Header=BB87_8 Depth=1
	s_or_b32 exec_lo, exec_lo, s35
	s_delay_alu instid0(SALU_CYCLE_1)
	s_and_not1_b32 vcc_lo, exec_lo, s30
	s_cbranch_vccnz .LBB87_54
.LBB87_56:                              ;   in Loop: Header=BB87_8 Depth=1
	global_load_u16 v15, v15, s[36:37] offset:192 scale_offset
	s_wait_loadcnt 0x0
	v_cvt_f32_f16_e32 v15, v15
	s_delay_alu instid0(VALU_DEP_1)
	v_mul_f32_e32 v15, v83, v15
.LBB87_57:                              ;   in Loop: Header=BB87_8 Depth=1
	v_bfi_b32 v20, 0x7fffffff, v20, v115
	v_bfi_b32 v21, 0x7fffffff, v21, v116
	;; [unrolled: 1-line block ×3, first 2 shown]
	v_cmp_ngt_f32_e64 s35, 0x3f200000, |v111|
	s_delay_alu instid0(VALU_DEP_3) | instskip(SKIP_1) | instid1(VALU_DEP_4)
	v_dual_fmac_f32 v6, s11, v20 :: v_dual_fmac_f32 v11, s11, v21
	v_bfi_b32 v20, 0x7fffffff, v23, v118
	v_fmac_f32_e32 v14, s11, v22
	s_delay_alu instid0(VALU_DEP_3) | instskip(NEXT) | instid1(VALU_DEP_2)
	v_dual_add_f32 v21, 0x40051340, v6 :: v_dual_add_f32 v22, 0x40051340, v11
	v_dual_fmac_f32 v15, s11, v20 :: v_dual_add_f32 v20, 0x40051340, v14
	s_delay_alu instid0(VALU_DEP_2) | instskip(NEXT) | instid1(VALU_DEP_2)
	v_max3_num_f32 v21, v106, v21, v22
	v_add_f32_e32 v22, 0x40051340, v15
	s_delay_alu instid0(VALU_DEP_1) | instskip(SKIP_3) | instid1(VALU_DEP_1)
	v_max3_num_f32 v20, v21, v20, v22
                                        ; implicit-def: $vgpr22
	ds_bpermute_b32 v21, v4, v20
	s_wait_dscnt 0x0
	v_max_num_f32_e32 v21, v21, v21
	v_max_num_f32_e32 v20, v20, v21
	ds_bpermute_b32 v21, v5, v20
	s_wait_dscnt 0x0
	v_max_num_f32_e32 v21, v21, v21
	s_delay_alu instid0(VALU_DEP_1) | instskip(SKIP_3) | instid1(VALU_DEP_1)
	v_max_num_f32_e32 v20, v20, v21
	ds_bpermute_b32 v21, v7, v20
	s_wait_dscnt 0x0
	v_max_num_f32_e32 v21, v21, v21
	v_max_num_f32_e32 v20, v20, v21
	ds_bpermute_b32 v21, v8, v20
	s_wait_dscnt 0x0
	v_max_num_f32_e32 v21, v21, v21
	s_delay_alu instid0(VALU_DEP_1) | instskip(SKIP_2) | instid1(SALU_CYCLE_1)
	v_max_num_f32_e32 v20, v20, v21
	ds_bpermute_b32 v21, v9, v20
	s_and_saveexec_b32 s38, s35
	s_xor_b32 s35, exec_lo, s38
	s_cbranch_execz .LBB87_65
; %bb.58:                               ;   in Loop: Header=BB87_8 Depth=1
	v_add_f32_e64 v22, |v111|, |v111|
	s_delay_alu instid0(VALU_DEP_1) | instskip(SKIP_1) | instid1(VALU_DEP_2)
	v_mul_f32_e32 v23, 0x3fb8aa3b, v22
	v_cmp_ngt_f32_e32 vcc_lo, 0xc2ce8ed0, v22
	v_rndne_f32_e32 v24, v23
	v_fma_f32 v25, 0x3fb8aa3b, v22, -v23
	s_delay_alu instid0(VALU_DEP_2) | instskip(NEXT) | instid1(VALU_DEP_2)
	v_sub_f32_e32 v23, v23, v24
	v_fmac_f32_e32 v25, 0x32a5705f, v22
	v_cvt_i32_f32_e32 v24, v24
	s_delay_alu instid0(VALU_DEP_2) | instskip(NEXT) | instid1(VALU_DEP_1)
	v_add_f32_e32 v23, v23, v25
	v_exp_f32_e32 v23, v23
	v_nop
	s_delay_alu instid0(TRANS32_DEP_1) | instskip(NEXT) | instid1(VALU_DEP_1)
	v_ldexp_f32 v23, v23, v24
	v_cndmask_b32_e32 v23, 0, v23, vcc_lo
	v_cmp_nlt_f32_e32 vcc_lo, 0x42b17218, v22
	s_delay_alu instid0(VALU_DEP_2) | instskip(NEXT) | instid1(VALU_DEP_1)
	v_cndmask_b32_e32 v22, 0x7f800000, v23, vcc_lo
	v_add_f32_e32 v22, 1.0, v22
	s_delay_alu instid0(VALU_DEP_1) | instskip(SKIP_1) | instid1(TRANS32_DEP_1)
	v_rcp_f32_e32 v22, v22
	v_nop
	v_fma_f32 v22, v22, -2.0, 1.0
	s_and_not1_saveexec_b32 s35, s35
	s_cbranch_execnz .LBB87_66
.LBB87_59:                              ;   in Loop: Header=BB87_8 Depth=1
	s_or_b32 exec_lo, exec_lo, s35
	v_add_nc_u32_e32 v23, v10, v96
	s_and_not1_b32 vcc_lo, exec_lo, s30
	s_cbranch_vccnz .LBB87_67
.LBB87_60:                              ;   in Loop: Header=BB87_8 Depth=1
	global_load_u16 v24, v23, s[36:37] scale_offset
	s_wait_loadcnt 0x0
	v_cvt_f32_f16_e32 v24, v24
	s_delay_alu instid0(VALU_DEP_1) | instskip(SKIP_2) | instid1(SALU_CYCLE_1)
	v_mul_f32_e32 v24, v83, v24
	v_cmp_ngt_f32_e64 s35, 0x3f200000, |v112|
                                        ; implicit-def: $vgpr28
	s_and_saveexec_b32 s38, s35
	s_xor_b32 s35, exec_lo, s38
	s_cbranch_execz .LBB87_62
.LBB87_61:                              ;   in Loop: Header=BB87_8 Depth=1
	v_add_f32_e64 v25, |v112|, |v112|
	s_delay_alu instid0(VALU_DEP_1) | instskip(SKIP_1) | instid1(VALU_DEP_2)
	v_mul_f32_e32 v26, 0x3fb8aa3b, v25
	v_cmp_ngt_f32_e32 vcc_lo, 0xc2ce8ed0, v25
	v_rndne_f32_e32 v27, v26
	v_fma_f32 v28, 0x3fb8aa3b, v25, -v26
	s_delay_alu instid0(VALU_DEP_2) | instskip(NEXT) | instid1(VALU_DEP_2)
	v_sub_f32_e32 v26, v26, v27
	v_fmac_f32_e32 v28, 0x32a5705f, v25
	v_cvt_i32_f32_e32 v27, v27
	s_delay_alu instid0(VALU_DEP_2) | instskip(NEXT) | instid1(VALU_DEP_1)
	v_add_f32_e32 v26, v26, v28
	v_exp_f32_e32 v26, v26
	v_nop
	s_delay_alu instid0(TRANS32_DEP_1) | instskip(NEXT) | instid1(VALU_DEP_1)
	v_ldexp_f32 v26, v26, v27
	v_cndmask_b32_e32 v26, 0, v26, vcc_lo
	v_cmp_nlt_f32_e32 vcc_lo, 0x42b17218, v25
	s_delay_alu instid0(VALU_DEP_2) | instskip(NEXT) | instid1(VALU_DEP_1)
	v_cndmask_b32_e32 v25, 0x7f800000, v26, vcc_lo
	v_add_f32_e32 v25, 1.0, v25
	s_delay_alu instid0(VALU_DEP_1) | instskip(SKIP_1) | instid1(TRANS32_DEP_1)
	v_rcp_f32_e32 v25, v25
	v_nop
	v_fma_f32 v28, v25, -2.0, 1.0
.LBB87_62:                              ;   in Loop: Header=BB87_8 Depth=1
	s_and_not1_saveexec_b32 s35, s35
	s_cbranch_execz .LBB87_68
; %bb.63:                               ;   in Loop: Header=BB87_8 Depth=1
	v_mul_f32_e32 v25, v112, v112
	s_delay_alu instid0(VALU_DEP_1) | instskip(NEXT) | instid1(VALU_DEP_1)
	v_fmaak_f32 v26, s31, v25, 0x3ca908c9
	v_fmaak_f32 v26, v25, v26, 0xbd5c1c4e
	s_delay_alu instid0(VALU_DEP_1) | instskip(NEXT) | instid1(VALU_DEP_1)
	v_fmaak_f32 v26, v25, v26, 0x3e088382
	v_fmaak_f32 v26, v25, v26, 0xbeaaaa99
	s_delay_alu instid0(VALU_DEP_1) | instskip(NEXT) | instid1(VALU_DEP_1)
	v_mul_f32_e64 v26, |v112|, v26
	v_fma_f32 v28, v25, v26, |v112|
	s_or_b32 exec_lo, exec_lo, s35
	s_delay_alu instid0(SALU_CYCLE_1)
	s_and_not1_b32 vcc_lo, exec_lo, s30
	s_cbranch_vccz .LBB87_69
.LBB87_64:                              ;   in Loop: Header=BB87_8 Depth=1
	v_mov_b32_e32 v25, 0
	v_cmp_ngt_f32_e64 s35, 0x3f200000, |v113|
                                        ; implicit-def: $vgpr29
	s_and_saveexec_b32 s38, s35
	s_delay_alu instid0(SALU_CYCLE_1)
	s_xor_b32 s35, exec_lo, s38
	s_cbranch_execz .LBB87_71
	s_branch .LBB87_70
.LBB87_65:                              ;   in Loop: Header=BB87_8 Depth=1
	s_and_not1_saveexec_b32 s35, s35
	s_cbranch_execz .LBB87_59
.LBB87_66:                              ;   in Loop: Header=BB87_8 Depth=1
	v_mul_f32_e32 v22, v111, v111
	s_delay_alu instid0(VALU_DEP_1) | instskip(NEXT) | instid1(VALU_DEP_1)
	v_fmaak_f32 v23, s31, v22, 0x3ca908c9
	v_fmaak_f32 v23, v22, v23, 0xbd5c1c4e
	s_delay_alu instid0(VALU_DEP_1) | instskip(NEXT) | instid1(VALU_DEP_1)
	v_fmaak_f32 v23, v22, v23, 0x3e088382
	v_fmaak_f32 v23, v22, v23, 0xbeaaaa99
	s_delay_alu instid0(VALU_DEP_1) | instskip(NEXT) | instid1(VALU_DEP_1)
	v_mul_f32_e64 v23, |v111|, v23
	v_fma_f32 v22, v22, v23, |v111|
	s_or_b32 exec_lo, exec_lo, s35
	v_add_nc_u32_e32 v23, v10, v96
	s_and_not1_b32 vcc_lo, exec_lo, s30
	s_cbranch_vccz .LBB87_60
.LBB87_67:                              ;   in Loop: Header=BB87_8 Depth=1
	v_mov_b32_e32 v24, 0
	v_cmp_ngt_f32_e64 s35, 0x3f200000, |v112|
                                        ; implicit-def: $vgpr28
	s_and_saveexec_b32 s38, s35
	s_delay_alu instid0(SALU_CYCLE_1)
	s_xor_b32 s35, exec_lo, s38
	s_cbranch_execz .LBB87_62
	s_branch .LBB87_61
.LBB87_68:                              ;   in Loop: Header=BB87_8 Depth=1
	s_or_b32 exec_lo, exec_lo, s35
	s_delay_alu instid0(SALU_CYCLE_1)
	s_and_not1_b32 vcc_lo, exec_lo, s30
	s_cbranch_vccnz .LBB87_64
.LBB87_69:                              ;   in Loop: Header=BB87_8 Depth=1
	global_load_u16 v25, v23, s[36:37] offset:64 scale_offset
	s_wait_loadcnt 0x0
	v_cvt_f32_f16_e32 v25, v25
	s_delay_alu instid0(VALU_DEP_1) | instskip(SKIP_2) | instid1(SALU_CYCLE_1)
	v_mul_f32_e32 v25, v83, v25
	v_cmp_ngt_f32_e64 s35, 0x3f200000, |v113|
                                        ; implicit-def: $vgpr29
	s_and_saveexec_b32 s38, s35
	s_xor_b32 s35, exec_lo, s38
	s_cbranch_execz .LBB87_71
.LBB87_70:                              ;   in Loop: Header=BB87_8 Depth=1
	v_add_f32_e64 v26, |v113|, |v113|
	s_delay_alu instid0(VALU_DEP_1) | instskip(SKIP_1) | instid1(VALU_DEP_2)
	v_mul_f32_e32 v27, 0x3fb8aa3b, v26
	v_cmp_ngt_f32_e32 vcc_lo, 0xc2ce8ed0, v26
	v_rndne_f32_e32 v29, v27
	v_fma_f32 v30, 0x3fb8aa3b, v26, -v27
	s_delay_alu instid0(VALU_DEP_1) | instskip(SKIP_1) | instid1(VALU_DEP_2)
	v_dual_sub_f32 v27, v27, v29 :: v_dual_fmac_f32 v30, 0x32a5705f, v26
	v_cvt_i32_f32_e32 v29, v29
	v_add_f32_e32 v27, v27, v30
	s_delay_alu instid0(VALU_DEP_1) | instskip(SKIP_1) | instid1(TRANS32_DEP_1)
	v_exp_f32_e32 v27, v27
	v_nop
	v_ldexp_f32 v27, v27, v29
	s_delay_alu instid0(VALU_DEP_1) | instskip(SKIP_1) | instid1(VALU_DEP_2)
	v_cndmask_b32_e32 v27, 0, v27, vcc_lo
	v_cmp_nlt_f32_e32 vcc_lo, 0x42b17218, v26
	v_cndmask_b32_e32 v26, 0x7f800000, v27, vcc_lo
	s_delay_alu instid0(VALU_DEP_1) | instskip(NEXT) | instid1(VALU_DEP_1)
	v_add_f32_e32 v26, 1.0, v26
	v_rcp_f32_e32 v26, v26
	v_nop
	s_delay_alu instid0(TRANS32_DEP_1)
	v_fma_f32 v29, v26, -2.0, 1.0
.LBB87_71:                              ;   in Loop: Header=BB87_8 Depth=1
	s_and_not1_saveexec_b32 s35, s35
	s_cbranch_execz .LBB87_74
; %bb.72:                               ;   in Loop: Header=BB87_8 Depth=1
	v_mul_f32_e32 v26, v113, v113
	s_delay_alu instid0(VALU_DEP_1) | instskip(NEXT) | instid1(VALU_DEP_1)
	v_fmaak_f32 v27, s31, v26, 0x3ca908c9
	v_fmaak_f32 v27, v26, v27, 0xbd5c1c4e
	s_delay_alu instid0(VALU_DEP_1) | instskip(NEXT) | instid1(VALU_DEP_1)
	v_fmaak_f32 v27, v26, v27, 0x3e088382
	v_fmaak_f32 v27, v26, v27, 0xbeaaaa99
	s_delay_alu instid0(VALU_DEP_1) | instskip(NEXT) | instid1(VALU_DEP_1)
	v_mul_f32_e64 v27, |v113|, v27
	v_fma_f32 v29, v26, v27, |v113|
	s_or_b32 exec_lo, exec_lo, s35
	s_delay_alu instid0(SALU_CYCLE_1)
	s_and_not1_b32 vcc_lo, exec_lo, s30
	s_cbranch_vccz .LBB87_75
.LBB87_73:                              ;   in Loop: Header=BB87_8 Depth=1
	v_mov_b32_e32 v26, 0
	v_cmp_ngt_f32_e64 s35, 0x3f200000, |v114|
                                        ; implicit-def: $vgpr30
	s_and_saveexec_b32 s38, s35
	s_delay_alu instid0(SALU_CYCLE_1)
	s_xor_b32 s35, exec_lo, s38
	s_cbranch_execz .LBB87_77
	s_branch .LBB87_76
.LBB87_74:                              ;   in Loop: Header=BB87_8 Depth=1
	s_or_b32 exec_lo, exec_lo, s35
	s_delay_alu instid0(SALU_CYCLE_1)
	s_and_not1_b32 vcc_lo, exec_lo, s30
	s_cbranch_vccnz .LBB87_73
.LBB87_75:                              ;   in Loop: Header=BB87_8 Depth=1
	global_load_u16 v26, v23, s[36:37] offset:128 scale_offset
	s_wait_loadcnt 0x0
	v_cvt_f32_f16_e32 v26, v26
	s_delay_alu instid0(VALU_DEP_1) | instskip(SKIP_2) | instid1(SALU_CYCLE_1)
	v_mul_f32_e32 v26, v83, v26
	v_cmp_ngt_f32_e64 s35, 0x3f200000, |v114|
                                        ; implicit-def: $vgpr30
	s_and_saveexec_b32 s38, s35
	s_xor_b32 s35, exec_lo, s38
	s_cbranch_execz .LBB87_77
.LBB87_76:                              ;   in Loop: Header=BB87_8 Depth=1
	v_add_f32_e64 v27, |v114|, |v114|
	s_delay_alu instid0(VALU_DEP_1) | instskip(SKIP_1) | instid1(VALU_DEP_2)
	v_mul_f32_e32 v30, 0x3fb8aa3b, v27
	v_cmp_ngt_f32_e32 vcc_lo, 0xc2ce8ed0, v27
	v_rndne_f32_e32 v31, v30
	v_fma_f32 v32, 0x3fb8aa3b, v27, -v30
	s_delay_alu instid0(VALU_DEP_2) | instskip(NEXT) | instid1(VALU_DEP_2)
	v_sub_f32_e32 v30, v30, v31
	v_fmac_f32_e32 v32, 0x32a5705f, v27
	v_cvt_i32_f32_e32 v31, v31
	s_delay_alu instid0(VALU_DEP_2) | instskip(NEXT) | instid1(VALU_DEP_1)
	v_add_f32_e32 v30, v30, v32
	v_exp_f32_e32 v30, v30
	v_nop
	s_delay_alu instid0(TRANS32_DEP_1) | instskip(NEXT) | instid1(VALU_DEP_1)
	v_ldexp_f32 v30, v30, v31
	v_cndmask_b32_e32 v30, 0, v30, vcc_lo
	v_cmp_nlt_f32_e32 vcc_lo, 0x42b17218, v27
	s_delay_alu instid0(VALU_DEP_2) | instskip(NEXT) | instid1(VALU_DEP_1)
	v_cndmask_b32_e32 v27, 0x7f800000, v30, vcc_lo
	v_add_f32_e32 v27, 1.0, v27
	s_delay_alu instid0(VALU_DEP_1) | instskip(SKIP_1) | instid1(TRANS32_DEP_1)
	v_rcp_f32_e32 v27, v27
	v_nop
	v_fma_f32 v30, v27, -2.0, 1.0
.LBB87_77:                              ;   in Loop: Header=BB87_8 Depth=1
	s_and_not1_saveexec_b32 s35, s35
	s_cbranch_execz .LBB87_80
; %bb.78:                               ;   in Loop: Header=BB87_8 Depth=1
	v_mul_f32_e32 v27, v114, v114
	s_delay_alu instid0(VALU_DEP_1) | instskip(NEXT) | instid1(VALU_DEP_1)
	v_fmaak_f32 v30, s31, v27, 0x3ca908c9
	v_fmaak_f32 v30, v27, v30, 0xbd5c1c4e
	s_delay_alu instid0(VALU_DEP_1) | instskip(NEXT) | instid1(VALU_DEP_1)
	v_fmaak_f32 v30, v27, v30, 0x3e088382
	v_fmaak_f32 v30, v27, v30, 0xbeaaaa99
	s_delay_alu instid0(VALU_DEP_1) | instskip(NEXT) | instid1(VALU_DEP_1)
	v_mul_f32_e64 v30, |v114|, v30
	v_fma_f32 v30, v27, v30, |v114|
	s_or_b32 exec_lo, exec_lo, s35
	s_delay_alu instid0(SALU_CYCLE_1)
	s_and_not1_b32 vcc_lo, exec_lo, s30
	s_cbranch_vccz .LBB87_81
.LBB87_79:                              ;   in Loop: Header=BB87_8 Depth=1
	v_mov_b32_e32 v27, 0
	s_branch .LBB87_82
.LBB87_80:                              ;   in Loop: Header=BB87_8 Depth=1
	s_or_b32 exec_lo, exec_lo, s35
	s_delay_alu instid0(SALU_CYCLE_1)
	s_and_not1_b32 vcc_lo, exec_lo, s30
	s_cbranch_vccnz .LBB87_79
.LBB87_81:                              ;   in Loop: Header=BB87_8 Depth=1
	global_load_u16 v23, v23, s[36:37] offset:192 scale_offset
	s_wait_loadcnt 0x0
	v_cvt_f32_f16_e32 v23, v23
	s_delay_alu instid0(VALU_DEP_1)
	v_mul_f32_e32 v27, v83, v23
.LBB87_82:                              ;   in Loop: Header=BB87_8 Depth=1
	v_bfi_b32 v22, 0x7fffffff, v22, v111
	v_bfi_b32 v23, 0x7fffffff, v28, v112
	;; [unrolled: 1-line block ×3, first 2 shown]
	v_cmp_ngt_f32_e64 s35, 0x3f200000, |v107|
                                        ; implicit-def: $vgpr31
	s_delay_alu instid0(VALU_DEP_3) | instskip(SKIP_1) | instid1(VALU_DEP_4)
	v_dual_fmac_f32 v24, s11, v22 :: v_dual_fmac_f32 v25, s11, v23
	v_bfi_b32 v22, 0x7fffffff, v30, v114
	v_fmac_f32_e32 v26, s11, v28
	s_delay_alu instid0(VALU_DEP_3) | instskip(NEXT) | instid1(VALU_DEP_3)
	v_dual_add_f32 v23, 0x40051340, v24 :: v_dual_add_f32 v28, 0x40051340, v25
	v_fmac_f32_e32 v27, s11, v22
	s_delay_alu instid0(VALU_DEP_3) | instskip(NEXT) | instid1(VALU_DEP_3)
	v_add_f32_e32 v22, 0x40051340, v26
	v_max3_num_f32 v23, v104, v23, v28
	s_delay_alu instid0(VALU_DEP_3) | instskip(NEXT) | instid1(VALU_DEP_1)
	v_add_f32_e32 v28, 0x40051340, v27
	v_max3_num_f32 v22, v23, v22, v28
	ds_bpermute_b32 v23, v4, v22
	s_wait_dscnt 0x0
	v_max_num_f32_e32 v23, v23, v23
	s_delay_alu instid0(VALU_DEP_1) | instskip(SKIP_3) | instid1(VALU_DEP_1)
	v_max_num_f32_e32 v22, v22, v23
	ds_bpermute_b32 v23, v5, v22
	s_wait_dscnt 0x0
	v_max_num_f32_e32 v23, v23, v23
	v_max_num_f32_e32 v22, v22, v23
	ds_bpermute_b32 v23, v7, v22
	s_wait_dscnt 0x0
	v_max_num_f32_e32 v23, v23, v23
	s_delay_alu instid0(VALU_DEP_1) | instskip(SKIP_3) | instid1(VALU_DEP_1)
	v_max_num_f32_e32 v22, v22, v23
	ds_bpermute_b32 v23, v8, v22
	s_wait_dscnt 0x0
	v_max_num_f32_e32 v23, v23, v23
	v_max_num_f32_e32 v22, v22, v23
	ds_bpermute_b32 v23, v9, v22
	s_and_saveexec_b32 s38, s35
	s_delay_alu instid0(SALU_CYCLE_1)
	s_xor_b32 s35, exec_lo, s38
	s_cbranch_execz .LBB87_90
; %bb.83:                               ;   in Loop: Header=BB87_8 Depth=1
	v_add_f32_e64 v28, |v107|, |v107|
	s_delay_alu instid0(VALU_DEP_1) | instskip(SKIP_1) | instid1(VALU_DEP_2)
	v_mul_f32_e32 v29, 0x3fb8aa3b, v28
	v_cmp_ngt_f32_e32 vcc_lo, 0xc2ce8ed0, v28
	v_rndne_f32_e32 v30, v29
	v_fma_f32 v31, 0x3fb8aa3b, v28, -v29
	s_delay_alu instid0(VALU_DEP_2) | instskip(NEXT) | instid1(VALU_DEP_2)
	v_sub_f32_e32 v29, v29, v30
	v_fmac_f32_e32 v31, 0x32a5705f, v28
	v_cvt_i32_f32_e32 v30, v30
	s_delay_alu instid0(VALU_DEP_2) | instskip(NEXT) | instid1(VALU_DEP_1)
	v_add_f32_e32 v29, v29, v31
	v_exp_f32_e32 v29, v29
	v_nop
	s_delay_alu instid0(TRANS32_DEP_1) | instskip(NEXT) | instid1(VALU_DEP_1)
	v_ldexp_f32 v29, v29, v30
	v_cndmask_b32_e32 v29, 0, v29, vcc_lo
	v_cmp_nlt_f32_e32 vcc_lo, 0x42b17218, v28
	s_delay_alu instid0(VALU_DEP_2) | instskip(NEXT) | instid1(VALU_DEP_1)
	v_cndmask_b32_e32 v28, 0x7f800000, v29, vcc_lo
	v_add_f32_e32 v28, 1.0, v28
	s_delay_alu instid0(VALU_DEP_1) | instskip(SKIP_1) | instid1(TRANS32_DEP_1)
	v_rcp_f32_e32 v28, v28
	v_nop
	v_fma_f32 v31, v28, -2.0, 1.0
	s_and_not1_saveexec_b32 s35, s35
	s_cbranch_execnz .LBB87_91
.LBB87_84:                              ;   in Loop: Header=BB87_8 Depth=1
	s_or_b32 exec_lo, exec_lo, s35
	v_add_nc_u32_e32 v30, v10, v97
	s_and_not1_b32 vcc_lo, exec_lo, s30
	s_cbranch_vccnz .LBB87_92
.LBB87_85:                              ;   in Loop: Header=BB87_8 Depth=1
	global_load_u16 v10, v30, s[36:37] scale_offset
	s_wait_loadcnt 0x0
	v_cvt_f32_f16_e32 v10, v10
	s_delay_alu instid0(VALU_DEP_1) | instskip(SKIP_2) | instid1(SALU_CYCLE_1)
	v_mul_f32_e32 v10, v83, v10
	v_cmp_ngt_f32_e64 s35, 0x3f200000, |v108|
                                        ; implicit-def: $vgpr32
	s_and_saveexec_b32 s38, s35
	s_xor_b32 s35, exec_lo, s38
	s_cbranch_execz .LBB87_87
.LBB87_86:                              ;   in Loop: Header=BB87_8 Depth=1
	v_add_f32_e64 v28, |v108|, |v108|
	s_delay_alu instid0(VALU_DEP_1) | instskip(SKIP_1) | instid1(VALU_DEP_2)
	v_mul_f32_e32 v29, 0x3fb8aa3b, v28
	v_cmp_ngt_f32_e32 vcc_lo, 0xc2ce8ed0, v28
	v_rndne_f32_e32 v32, v29
	v_fma_f32 v33, 0x3fb8aa3b, v28, -v29
	s_delay_alu instid0(VALU_DEP_2) | instskip(NEXT) | instid1(VALU_DEP_2)
	v_sub_f32_e32 v29, v29, v32
	v_fmac_f32_e32 v33, 0x32a5705f, v28
	v_cvt_i32_f32_e32 v32, v32
	s_delay_alu instid0(VALU_DEP_2) | instskip(NEXT) | instid1(VALU_DEP_1)
	v_add_f32_e32 v29, v29, v33
	v_exp_f32_e32 v29, v29
	v_nop
	s_delay_alu instid0(TRANS32_DEP_1) | instskip(NEXT) | instid1(VALU_DEP_1)
	v_ldexp_f32 v29, v29, v32
	v_cndmask_b32_e32 v29, 0, v29, vcc_lo
	v_cmp_nlt_f32_e32 vcc_lo, 0x42b17218, v28
	s_delay_alu instid0(VALU_DEP_2) | instskip(NEXT) | instid1(VALU_DEP_1)
	v_cndmask_b32_e32 v28, 0x7f800000, v29, vcc_lo
	v_add_f32_e32 v28, 1.0, v28
	s_delay_alu instid0(VALU_DEP_1) | instskip(SKIP_1) | instid1(TRANS32_DEP_1)
	v_rcp_f32_e32 v28, v28
	v_nop
	v_fma_f32 v32, v28, -2.0, 1.0
.LBB87_87:                              ;   in Loop: Header=BB87_8 Depth=1
	s_and_not1_saveexec_b32 s35, s35
	s_cbranch_execz .LBB87_93
; %bb.88:                               ;   in Loop: Header=BB87_8 Depth=1
	v_mul_f32_e32 v28, v108, v108
	s_delay_alu instid0(VALU_DEP_1) | instskip(NEXT) | instid1(VALU_DEP_1)
	v_fmaak_f32 v29, s31, v28, 0x3ca908c9
	v_fmaak_f32 v29, v28, v29, 0xbd5c1c4e
	s_delay_alu instid0(VALU_DEP_1) | instskip(NEXT) | instid1(VALU_DEP_1)
	v_fmaak_f32 v29, v28, v29, 0x3e088382
	v_fmaak_f32 v29, v28, v29, 0xbeaaaa99
	s_delay_alu instid0(VALU_DEP_1) | instskip(NEXT) | instid1(VALU_DEP_1)
	v_mul_f32_e64 v29, |v108|, v29
	v_fma_f32 v32, v28, v29, |v108|
	s_or_b32 exec_lo, exec_lo, s35
	s_delay_alu instid0(SALU_CYCLE_1)
	s_and_not1_b32 vcc_lo, exec_lo, s30
	s_cbranch_vccz .LBB87_94
.LBB87_89:                              ;   in Loop: Header=BB87_8 Depth=1
	v_mov_b32_e32 v28, 0
	v_cmp_ngt_f32_e64 s35, 0x3f200000, |v109|
                                        ; implicit-def: $vgpr33
	s_and_saveexec_b32 s38, s35
	s_delay_alu instid0(SALU_CYCLE_1)
	s_xor_b32 s35, exec_lo, s38
	s_cbranch_execz .LBB87_96
	s_branch .LBB87_95
.LBB87_90:                              ;   in Loop: Header=BB87_8 Depth=1
	s_and_not1_saveexec_b32 s35, s35
	s_cbranch_execz .LBB87_84
.LBB87_91:                              ;   in Loop: Header=BB87_8 Depth=1
	v_mul_f32_e32 v28, v107, v107
	s_delay_alu instid0(VALU_DEP_1) | instskip(NEXT) | instid1(VALU_DEP_1)
	v_fmaak_f32 v29, s31, v28, 0x3ca908c9
	v_fmaak_f32 v29, v28, v29, 0xbd5c1c4e
	s_delay_alu instid0(VALU_DEP_1) | instskip(NEXT) | instid1(VALU_DEP_1)
	v_fmaak_f32 v29, v28, v29, 0x3e088382
	v_fmaak_f32 v29, v28, v29, 0xbeaaaa99
	s_delay_alu instid0(VALU_DEP_1) | instskip(NEXT) | instid1(VALU_DEP_1)
	v_mul_f32_e64 v29, |v107|, v29
	v_fma_f32 v31, v28, v29, |v107|
	s_or_b32 exec_lo, exec_lo, s35
	v_add_nc_u32_e32 v30, v10, v97
	s_and_not1_b32 vcc_lo, exec_lo, s30
	s_cbranch_vccz .LBB87_85
.LBB87_92:                              ;   in Loop: Header=BB87_8 Depth=1
	v_mov_b32_e32 v10, 0
	v_cmp_ngt_f32_e64 s35, 0x3f200000, |v108|
                                        ; implicit-def: $vgpr32
	s_and_saveexec_b32 s38, s35
	s_delay_alu instid0(SALU_CYCLE_1)
	s_xor_b32 s35, exec_lo, s38
	s_cbranch_execz .LBB87_87
	s_branch .LBB87_86
.LBB87_93:                              ;   in Loop: Header=BB87_8 Depth=1
	s_or_b32 exec_lo, exec_lo, s35
	s_delay_alu instid0(SALU_CYCLE_1)
	s_and_not1_b32 vcc_lo, exec_lo, s30
	s_cbranch_vccnz .LBB87_89
.LBB87_94:                              ;   in Loop: Header=BB87_8 Depth=1
	global_load_u16 v28, v30, s[36:37] offset:64 scale_offset
	s_wait_loadcnt 0x0
	v_cvt_f32_f16_e32 v28, v28
	s_delay_alu instid0(VALU_DEP_1) | instskip(SKIP_2) | instid1(SALU_CYCLE_1)
	v_mul_f32_e32 v28, v83, v28
	v_cmp_ngt_f32_e64 s35, 0x3f200000, |v109|
                                        ; implicit-def: $vgpr33
	s_and_saveexec_b32 s38, s35
	s_xor_b32 s35, exec_lo, s38
	s_cbranch_execz .LBB87_96
.LBB87_95:                              ;   in Loop: Header=BB87_8 Depth=1
	v_add_f32_e64 v29, |v109|, |v109|
	s_delay_alu instid0(VALU_DEP_1) | instskip(SKIP_1) | instid1(VALU_DEP_2)
	v_mul_f32_e32 v33, 0x3fb8aa3b, v29
	v_cmp_ngt_f32_e32 vcc_lo, 0xc2ce8ed0, v29
	v_rndne_f32_e32 v34, v33
	v_fma_f32 v35, 0x3fb8aa3b, v29, -v33
	s_delay_alu instid0(VALU_DEP_2) | instskip(NEXT) | instid1(VALU_DEP_2)
	v_sub_f32_e32 v33, v33, v34
	v_fmac_f32_e32 v35, 0x32a5705f, v29
	v_cvt_i32_f32_e32 v34, v34
	s_delay_alu instid0(VALU_DEP_2) | instskip(NEXT) | instid1(VALU_DEP_1)
	v_add_f32_e32 v33, v33, v35
	v_exp_f32_e32 v33, v33
	v_nop
	s_delay_alu instid0(TRANS32_DEP_1) | instskip(NEXT) | instid1(VALU_DEP_1)
	v_ldexp_f32 v33, v33, v34
	v_cndmask_b32_e32 v33, 0, v33, vcc_lo
	v_cmp_nlt_f32_e32 vcc_lo, 0x42b17218, v29
	s_delay_alu instid0(VALU_DEP_2) | instskip(NEXT) | instid1(VALU_DEP_1)
	v_cndmask_b32_e32 v29, 0x7f800000, v33, vcc_lo
	v_add_f32_e32 v29, 1.0, v29
	s_delay_alu instid0(VALU_DEP_1) | instskip(SKIP_1) | instid1(TRANS32_DEP_1)
	v_rcp_f32_e32 v29, v29
	v_nop
	v_fma_f32 v33, v29, -2.0, 1.0
.LBB87_96:                              ;   in Loop: Header=BB87_8 Depth=1
	s_and_not1_saveexec_b32 s35, s35
	s_cbranch_execz .LBB87_99
; %bb.97:                               ;   in Loop: Header=BB87_8 Depth=1
	v_mul_f32_e32 v29, v109, v109
	s_delay_alu instid0(VALU_DEP_1) | instskip(NEXT) | instid1(VALU_DEP_1)
	v_fmaak_f32 v33, s31, v29, 0x3ca908c9
	v_fmaak_f32 v33, v29, v33, 0xbd5c1c4e
	s_delay_alu instid0(VALU_DEP_1) | instskip(NEXT) | instid1(VALU_DEP_1)
	v_fmaak_f32 v33, v29, v33, 0x3e088382
	v_fmaak_f32 v33, v29, v33, 0xbeaaaa99
	s_delay_alu instid0(VALU_DEP_1) | instskip(NEXT) | instid1(VALU_DEP_1)
	v_mul_f32_e64 v33, |v109|, v33
	v_fma_f32 v33, v29, v33, |v109|
	s_or_b32 exec_lo, exec_lo, s35
	s_delay_alu instid0(SALU_CYCLE_1)
	s_and_not1_b32 vcc_lo, exec_lo, s30
	s_cbranch_vccz .LBB87_100
.LBB87_98:                              ;   in Loop: Header=BB87_8 Depth=1
	v_mov_b32_e32 v29, 0
	v_cmp_ngt_f32_e64 s35, 0x3f200000, |v110|
                                        ; implicit-def: $vgpr34
	s_and_saveexec_b32 s38, s35
	s_delay_alu instid0(SALU_CYCLE_1)
	s_xor_b32 s35, exec_lo, s38
	s_cbranch_execz .LBB87_102
	s_branch .LBB87_101
.LBB87_99:                              ;   in Loop: Header=BB87_8 Depth=1
	s_or_b32 exec_lo, exec_lo, s35
	s_delay_alu instid0(SALU_CYCLE_1)
	s_and_not1_b32 vcc_lo, exec_lo, s30
	s_cbranch_vccnz .LBB87_98
.LBB87_100:                             ;   in Loop: Header=BB87_8 Depth=1
	global_load_u16 v29, v30, s[36:37] offset:128 scale_offset
	s_wait_loadcnt 0x0
	v_cvt_f32_f16_e32 v29, v29
	s_delay_alu instid0(VALU_DEP_1) | instskip(SKIP_2) | instid1(SALU_CYCLE_1)
	v_mul_f32_e32 v29, v83, v29
	v_cmp_ngt_f32_e64 s35, 0x3f200000, |v110|
                                        ; implicit-def: $vgpr34
	s_and_saveexec_b32 s38, s35
	s_xor_b32 s35, exec_lo, s38
	s_cbranch_execz .LBB87_102
.LBB87_101:                             ;   in Loop: Header=BB87_8 Depth=1
	v_add_f32_e64 v34, |v110|, |v110|
	s_delay_alu instid0(VALU_DEP_1) | instskip(SKIP_1) | instid1(VALU_DEP_2)
	v_mul_f32_e32 v35, 0x3fb8aa3b, v34
	v_cmp_ngt_f32_e32 vcc_lo, 0xc2ce8ed0, v34
	v_rndne_f32_e32 v111, v35
	v_fma_f32 v112, 0x3fb8aa3b, v34, -v35
	s_delay_alu instid0(VALU_DEP_1) | instskip(SKIP_1) | instid1(VALU_DEP_2)
	v_dual_sub_f32 v35, v35, v111 :: v_dual_fmac_f32 v112, 0x32a5705f, v34
	v_cvt_i32_f32_e32 v111, v111
	v_add_f32_e32 v35, v35, v112
	s_delay_alu instid0(VALU_DEP_1) | instskip(SKIP_1) | instid1(TRANS32_DEP_1)
	v_exp_f32_e32 v35, v35
	v_nop
	v_ldexp_f32 v35, v35, v111
	s_delay_alu instid0(VALU_DEP_1) | instskip(SKIP_1) | instid1(VALU_DEP_2)
	v_cndmask_b32_e32 v35, 0, v35, vcc_lo
	v_cmp_nlt_f32_e32 vcc_lo, 0x42b17218, v34
	v_cndmask_b32_e32 v34, 0x7f800000, v35, vcc_lo
	s_delay_alu instid0(VALU_DEP_1) | instskip(NEXT) | instid1(VALU_DEP_1)
	v_add_f32_e32 v34, 1.0, v34
	v_rcp_f32_e32 v34, v34
	v_nop
	s_delay_alu instid0(TRANS32_DEP_1)
	v_fma_f32 v34, v34, -2.0, 1.0
.LBB87_102:                             ;   in Loop: Header=BB87_8 Depth=1
	s_and_not1_saveexec_b32 s35, s35
	s_cbranch_execz .LBB87_105
; %bb.103:                              ;   in Loop: Header=BB87_8 Depth=1
	v_mul_f32_e32 v34, v110, v110
	s_delay_alu instid0(VALU_DEP_1) | instskip(NEXT) | instid1(VALU_DEP_1)
	v_fmaak_f32 v35, s31, v34, 0x3ca908c9
	v_fmaak_f32 v35, v34, v35, 0xbd5c1c4e
	s_delay_alu instid0(VALU_DEP_1) | instskip(NEXT) | instid1(VALU_DEP_1)
	v_fmaak_f32 v35, v34, v35, 0x3e088382
	v_fmaak_f32 v35, v34, v35, 0xbeaaaa99
	s_delay_alu instid0(VALU_DEP_1) | instskip(NEXT) | instid1(VALU_DEP_1)
	v_mul_f32_e64 v35, |v110|, v35
	v_fma_f32 v34, v34, v35, |v110|
	s_or_b32 exec_lo, exec_lo, s35
	s_delay_alu instid0(SALU_CYCLE_1)
	s_and_not1_b32 vcc_lo, exec_lo, s30
	s_cbranch_vccz .LBB87_106
.LBB87_104:                             ;   in Loop: Header=BB87_8 Depth=1
	v_mov_b32_e32 v30, 0
	s_branch .LBB87_107
.LBB87_105:                             ;   in Loop: Header=BB87_8 Depth=1
	s_or_b32 exec_lo, exec_lo, s35
	s_delay_alu instid0(SALU_CYCLE_1)
	s_and_not1_b32 vcc_lo, exec_lo, s30
	s_cbranch_vccnz .LBB87_104
.LBB87_106:                             ;   in Loop: Header=BB87_8 Depth=1
	global_load_u16 v30, v30, s[36:37] offset:192 scale_offset
	s_wait_loadcnt 0x0
	v_cvt_f32_f16_e32 v30, v30
	s_delay_alu instid0(VALU_DEP_1)
	v_mul_f32_e32 v30, v83, v30
.LBB87_107:                             ;   in Loop: Header=BB87_8 Depth=1
	v_bfi_b32 v31, 0x7fffffff, v31, v107
	v_bfi_b32 v32, 0x7fffffff, v32, v108
	v_dual_max_num_f32 v22, v22, v22 :: v_dual_max_num_f32 v21, v21, v21
	v_bfi_b32 v34, 0x7fffffff, v34, v110
	s_delay_alu instid0(VALU_DEP_3) | instskip(SKIP_2) | instid1(VALU_DEP_2)
	v_dual_fmac_f32 v10, s11, v31 :: v_dual_fmac_f32 v28, s11, v32
	v_dual_max_num_f32 v13, v13, v13 :: v_dual_max_num_f32 v12, v12, v12
	s_mul_u64 s[38:39], s[24:25], s[14:15]
	v_dual_add_f32 v31, 0x40051340, v10 :: v_dual_add_f32 v32, 0x40051340, v28
	s_wait_dscnt 0x0
	s_barrier_signal -1
	s_barrier_wait -1
	s_delay_alu instid0(VALU_DEP_1)
	v_max3_num_f32 v31, v103, v31, v32
	v_bfi_b32 v32, 0x7fffffff, v33, v109
	s_lshl_b64 s[38:39], s[38:39], 2
	v_max_num_f32_e32 v23, v23, v23
	s_add_nc_u64 s[38:39], s[6:7], s[38:39]
	v_max_num_f32_e32 v20, v20, v20
	v_dual_fmac_f32 v29, s11, v32 :: v_dual_fmac_f32 v30, s11, v34
	s_delay_alu instid0(VALU_DEP_2) | instskip(NEXT) | instid1(VALU_DEP_2)
	v_dual_max_num_f32 v22, v22, v23 :: v_dual_max_num_f32 v21, v20, v21
	v_add_f32_e32 v32, 0x40051340, v29
	v_max_num_f32_e32 v20, v12, v13
	s_delay_alu instid0(VALU_DEP_4) | instskip(NEXT) | instid1(VALU_DEP_1)
	v_add_f32_e32 v12, 0x40051340, v30
	v_max3_num_f32 v12, v31, v32, v12
	ds_bpermute_b32 v4, v4, v12
	s_wait_dscnt 0x0
	v_max_num_f32_e32 v4, v4, v4
	s_delay_alu instid0(VALU_DEP_1) | instskip(SKIP_4) | instid1(VALU_DEP_1)
	v_max_num_f32_e32 v4, v12, v4
	v_dual_sub_f32 v0, v0, v20 :: v_dual_sub_f32 v1, v1, v20
	ds_bpermute_b32 v5, v5, v4
	s_wait_dscnt 0x0
	v_max_num_f32_e32 v5, v5, v5
	v_max_num_f32_e32 v4, v4, v5
	ds_bpermute_b32 v5, v7, v4
	s_wait_dscnt 0x0
	v_max_num_f32_e32 v5, v5, v5
	s_delay_alu instid0(VALU_DEP_1) | instskip(SKIP_3) | instid1(VALU_DEP_1)
	v_max_num_f32_e32 v4, v4, v5
	ds_bpermute_b32 v5, v8, v4
	s_wait_dscnt 0x0
	v_max_num_f32_e32 v5, v5, v5
	v_max_num_f32_e32 v4, v4, v5
	ds_bpermute_b32 v5, v9, v4
	s_wait_dscnt 0x0
	v_max_num_f32_e32 v5, v5, v5
	s_delay_alu instid0(VALU_DEP_1) | instskip(NEXT) | instid1(VALU_DEP_1)
	v_dual_max_num_f32 v23, v4, v5 :: v_dual_sub_f32 v4, v105, v20
	v_dual_mul_f32 v5, 0x3fb8aa3b, v0 :: v_dual_sub_f32 v10, v10, v23
	s_delay_alu instid0(VALU_DEP_1) | instskip(SKIP_1) | instid1(VALU_DEP_2)
	v_fma_f32 v7, 0x3fb8aa3b, v0, -v5
	v_rndne_f32_e32 v8, v5
	v_fmac_f32_e32 v7, 0x32a5705f, v0
	s_delay_alu instid0(VALU_DEP_2) | instskip(NEXT) | instid1(VALU_DEP_1)
	v_sub_f32_e32 v5, v5, v8
	v_add_f32_e32 v5, v5, v7
	v_cvt_i32_f32_e32 v7, v8
	v_cmp_ngt_f32_e32 vcc_lo, 0xc2ce8ed0, v0
	s_delay_alu instid0(VALU_DEP_3) | instskip(SKIP_1) | instid1(TRANS32_DEP_1)
	v_exp_f32_e32 v5, v5
	v_nop
	v_ldexp_f32 v5, v5, v7
	s_delay_alu instid0(VALU_DEP_1) | instskip(SKIP_1) | instid1(VALU_DEP_2)
	v_cndmask_b32_e32 v5, 0, v5, vcc_lo
	v_cmp_nlt_f32_e32 vcc_lo, 0x42b17218, v0
	v_cndmask_b32_e32 v0, 0x7f800000, v5, vcc_lo
	v_mul_f32_e32 v5, 0x3fb8aa3b, v1
	v_cmp_ngt_f32_e32 vcc_lo, 0xc2ce8ed0, v1
	s_delay_alu instid0(VALU_DEP_2) | instskip(SKIP_1) | instid1(VALU_DEP_2)
	v_fma_f32 v7, 0x3fb8aa3b, v1, -v5
	v_rndne_f32_e32 v8, v5
	v_fmac_f32_e32 v7, 0x32a5705f, v1
	s_delay_alu instid0(VALU_DEP_2) | instskip(NEXT) | instid1(VALU_DEP_1)
	v_sub_f32_e32 v5, v5, v8
	v_add_f32_e32 v5, v5, v7
	v_cvt_i32_f32_e32 v7, v8
	s_delay_alu instid0(VALU_DEP_2) | instskip(SKIP_1) | instid1(TRANS32_DEP_1)
	v_exp_f32_e32 v5, v5
	v_nop
	v_ldexp_f32 v5, v5, v7
	s_delay_alu instid0(VALU_DEP_1) | instskip(SKIP_1) | instid1(VALU_DEP_2)
	v_cndmask_b32_e32 v5, 0, v5, vcc_lo
	v_cmp_nlt_f32_e32 vcc_lo, 0x42b17218, v1
	v_dual_sub_f32 v1, v2, v20 :: v_dual_cndmask_b32 v12, 0x7f800000, v5
	s_delay_alu instid0(VALU_DEP_1) | instskip(SKIP_1) | instid1(VALU_DEP_2)
	v_mul_f32_e32 v2, 0x3fb8aa3b, v1
	v_cmp_ngt_f32_e32 vcc_lo, 0xc2ce8ed0, v1
	v_fma_f32 v5, 0x3fb8aa3b, v1, -v2
	v_rndne_f32_e32 v7, v2
	s_delay_alu instid0(VALU_DEP_1) | instskip(NEXT) | instid1(VALU_DEP_1)
	v_dual_fmac_f32 v5, 0x32a5705f, v1 :: v_dual_sub_f32 v2, v2, v7
	v_add_f32_e32 v2, v2, v5
	v_cvt_i32_f32_e32 v5, v7
	s_delay_alu instid0(VALU_DEP_2) | instskip(SKIP_1) | instid1(TRANS32_DEP_1)
	v_exp_f32_e32 v2, v2
	v_nop
	v_ldexp_f32 v2, v2, v5
	s_delay_alu instid0(VALU_DEP_1) | instskip(SKIP_2) | instid1(VALU_DEP_1)
	v_cndmask_b32_e32 v2, 0, v2, vcc_lo
	v_cmp_nlt_f32_e32 vcc_lo, 0x42b17218, v1
	v_sub_f32_e32 v1, v3, v20
	v_mul_f32_e32 v3, 0x3fb8aa3b, v1
	s_delay_alu instid0(VALU_DEP_1) | instskip(SKIP_3) | instid1(VALU_DEP_4)
	v_fma_f32 v5, 0x3fb8aa3b, v1, -v3
	v_rndne_f32_e32 v7, v3
	v_cndmask_b32_e32 v2, 0x7f800000, v2, vcc_lo
	v_cmp_ngt_f32_e32 vcc_lo, 0xc2ce8ed0, v1
	v_fmac_f32_e32 v5, 0x32a5705f, v1
	s_delay_alu instid0(VALU_DEP_4) | instskip(NEXT) | instid1(VALU_DEP_1)
	v_sub_f32_e32 v3, v3, v7
	v_add_f32_e32 v3, v3, v5
	v_cvt_i32_f32_e32 v5, v7
	s_delay_alu instid0(VALU_DEP_2) | instskip(SKIP_1) | instid1(TRANS32_DEP_1)
	v_exp_f32_e32 v3, v3
	v_nop
	v_ldexp_f32 v3, v3, v5
	s_delay_alu instid0(VALU_DEP_1) | instskip(SKIP_2) | instid1(VALU_DEP_3)
	v_cndmask_b32_e32 v3, 0, v3, vcc_lo
	v_cmp_nlt_f32_e32 vcc_lo, 0x42b17218, v1
	v_mul_f32_e32 v1, 0x3fb8aa3b, v4
	v_cndmask_b32_e32 v32, 0x7f800000, v3, vcc_lo
	s_delay_alu instid0(VALU_DEP_2) | instskip(SKIP_2) | instid1(VALU_DEP_3)
	v_fma_f32 v3, 0x3fb8aa3b, v4, -v1
	v_rndne_f32_e32 v5, v1
	v_cmp_ngt_f32_e32 vcc_lo, 0xc2ce8ed0, v4
	v_fmac_f32_e32 v3, 0x32a5705f, v4
	s_delay_alu instid0(VALU_DEP_3) | instskip(NEXT) | instid1(VALU_DEP_1)
	v_sub_f32_e32 v1, v1, v5
	v_add_f32_e32 v1, v1, v3
	v_cvt_i32_f32_e32 v3, v5
	s_delay_alu instid0(VALU_DEP_2) | instskip(SKIP_1) | instid1(TRANS32_DEP_1)
	v_exp_f32_e32 v1, v1
	v_nop
	v_ldexp_f32 v1, v1, v3
	s_delay_alu instid0(VALU_DEP_1) | instskip(SKIP_1) | instid1(VALU_DEP_2)
	v_cndmask_b32_e32 v1, 0, v1, vcc_lo
	v_cmp_nlt_f32_e32 vcc_lo, 0x42b17218, v4
	v_cndmask_b32_e32 v34, 0x7f800000, v1, vcc_lo
	s_delay_alu instid0(VALU_DEP_1) | instskip(NEXT) | instid1(VALU_DEP_1)
	v_cvt_f16_f32_e32 v1, v34
	v_and_b32_e32 v1, 0xffff, v1
	s_delay_alu instid0(VALU_DEP_1) | instskip(SKIP_1) | instid1(VALU_DEP_2)
	v_mul_u32_u24_e32 v5, 0x10001, v1
	v_sub_f32_e32 v1, v6, v21
	v_pk_mul_f16 v4, v102, v5
	s_delay_alu instid0(VALU_DEP_2) | instskip(SKIP_1) | instid1(VALU_DEP_2)
	v_mul_f32_e32 v3, 0x3fb8aa3b, v1
	v_cmp_ngt_f32_e32 vcc_lo, 0xc2ce8ed0, v1
	v_fma_f32 v6, 0x3fb8aa3b, v1, -v3
	v_rndne_f32_e32 v8, v3
	s_delay_alu instid0(VALU_DEP_1) | instskip(NEXT) | instid1(VALU_DEP_1)
	v_dual_fmac_f32 v6, 0x32a5705f, v1 :: v_dual_sub_f32 v3, v3, v8
	v_dual_sub_f32 v7, v106, v21 :: v_dual_add_f32 v3, v3, v6
	v_cvt_i32_f32_e32 v6, v8
	s_delay_alu instid0(VALU_DEP_2) | instskip(SKIP_1) | instid1(TRANS32_DEP_1)
	v_exp_f32_e32 v3, v3
	v_nop
	v_ldexp_f32 v3, v3, v6
	s_delay_alu instid0(VALU_DEP_1) | instskip(SKIP_1) | instid1(VALU_DEP_2)
	v_cndmask_b32_e32 v3, 0, v3, vcc_lo
	v_cmp_nlt_f32_e32 vcc_lo, 0x42b17218, v1
	v_cndmask_b32_e32 v1, 0x7f800000, v3, vcc_lo
	v_sub_f32_e32 v3, v11, v21
	s_delay_alu instid0(VALU_DEP_1) | instskip(SKIP_1) | instid1(VALU_DEP_2)
	v_mul_f32_e32 v6, 0x3fb8aa3b, v3
	v_cmp_ngt_f32_e32 vcc_lo, 0xc2ce8ed0, v3
	v_fma_f32 v8, 0x3fb8aa3b, v3, -v6
	v_rndne_f32_e32 v9, v6
	s_delay_alu instid0(VALU_DEP_2) | instskip(NEXT) | instid1(VALU_DEP_2)
	v_fmac_f32_e32 v8, 0x32a5705f, v3
	v_sub_f32_e32 v6, v6, v9
	s_delay_alu instid0(VALU_DEP_1) | instskip(SKIP_1) | instid1(VALU_DEP_2)
	v_add_f32_e32 v6, v6, v8
	v_cvt_i32_f32_e32 v8, v9
	v_exp_f32_e32 v6, v6
	v_nop
	s_delay_alu instid0(TRANS32_DEP_1) | instskip(NEXT) | instid1(VALU_DEP_1)
	v_ldexp_f32 v6, v6, v8
	v_cndmask_b32_e32 v6, 0, v6, vcc_lo
	v_cmp_nlt_f32_e32 vcc_lo, 0x42b17218, v3
	v_sub_f32_e32 v3, v14, v21
	s_delay_alu instid0(VALU_DEP_3) | instskip(NEXT) | instid1(VALU_DEP_2)
	v_cndmask_b32_e32 v13, 0x7f800000, v6, vcc_lo
	v_mul_f32_e32 v6, 0x3fb8aa3b, v3
	v_cmp_ngt_f32_e32 vcc_lo, 0xc2ce8ed0, v3
	s_delay_alu instid0(VALU_DEP_2) | instskip(SKIP_1) | instid1(VALU_DEP_2)
	v_fma_f32 v8, 0x3fb8aa3b, v3, -v6
	v_rndne_f32_e32 v9, v6
	v_fmac_f32_e32 v8, 0x32a5705f, v3
	s_delay_alu instid0(VALU_DEP_2) | instskip(NEXT) | instid1(VALU_DEP_1)
	v_sub_f32_e32 v6, v6, v9
	v_add_f32_e32 v6, v6, v8
	v_cvt_i32_f32_e32 v8, v9
	s_delay_alu instid0(VALU_DEP_2) | instskip(SKIP_1) | instid1(TRANS32_DEP_1)
	v_exp_f32_e32 v6, v6
	v_nop
	v_ldexp_f32 v6, v6, v8
	s_delay_alu instid0(VALU_DEP_1) | instskip(SKIP_1) | instid1(VALU_DEP_2)
	v_cndmask_b32_e32 v6, 0, v6, vcc_lo
	v_cmp_nlt_f32_e32 vcc_lo, 0x42b17218, v3
	v_dual_cndmask_b32 v3, 0x7f800000, v6 :: v_dual_sub_f32 v6, v15, v21
	s_delay_alu instid0(VALU_DEP_1) | instskip(SKIP_1) | instid1(VALU_DEP_2)
	v_mul_f32_e32 v8, 0x3fb8aa3b, v6
	v_cmp_ngt_f32_e32 vcc_lo, 0xc2ce8ed0, v6
	v_fma_f32 v9, 0x3fb8aa3b, v6, -v8
	v_rndne_f32_e32 v11, v8
	s_delay_alu instid0(VALU_DEP_1) | instskip(NEXT) | instid1(VALU_DEP_1)
	v_dual_fmac_f32 v9, 0x32a5705f, v6 :: v_dual_sub_f32 v8, v8, v11
	v_add_f32_e32 v8, v8, v9
	v_cvt_i32_f32_e32 v9, v11
	s_delay_alu instid0(VALU_DEP_2) | instskip(SKIP_1) | instid1(TRANS32_DEP_1)
	v_exp_f32_e32 v8, v8
	v_nop
	v_ldexp_f32 v8, v8, v9
	s_delay_alu instid0(VALU_DEP_1) | instskip(SKIP_2) | instid1(VALU_DEP_3)
	v_cndmask_b32_e32 v8, 0, v8, vcc_lo
	v_cmp_nlt_f32_e32 vcc_lo, 0x42b17218, v6
	v_mul_f32_e32 v6, 0x3fb8aa3b, v7
	v_cndmask_b32_e32 v33, 0x7f800000, v8, vcc_lo
	s_delay_alu instid0(VALU_DEP_2) | instskip(SKIP_2) | instid1(VALU_DEP_3)
	v_fma_f32 v8, 0x3fb8aa3b, v7, -v6
	v_rndne_f32_e32 v9, v6
	v_cmp_ngt_f32_e32 vcc_lo, 0xc2ce8ed0, v7
	v_fmac_f32_e32 v8, 0x32a5705f, v7
	s_delay_alu instid0(VALU_DEP_3) | instskip(NEXT) | instid1(VALU_DEP_1)
	v_sub_f32_e32 v6, v6, v9
	v_add_f32_e32 v6, v6, v8
	v_cvt_i32_f32_e32 v8, v9
	v_sub_f32_e32 v9, v24, v22
	s_delay_alu instid0(VALU_DEP_3) | instskip(NEXT) | instid1(VALU_DEP_1)
	v_exp_f32_e32 v6, v6
	v_mul_f32_e32 v11, 0x3fb8aa3b, v9
	s_delay_alu instid0(TRANS32_DEP_1) | instskip(NEXT) | instid1(VALU_DEP_2)
	v_ldexp_f32 v6, v6, v8
	v_fma_f32 v14, 0x3fb8aa3b, v9, -v11
	v_rndne_f32_e32 v15, v11
	v_sub_f32_e32 v8, v104, v22
	s_delay_alu instid0(VALU_DEP_4) | instskip(SKIP_1) | instid1(VALU_DEP_4)
	v_cndmask_b32_e32 v6, 0, v6, vcc_lo
	v_cmp_nlt_f32_e32 vcc_lo, 0x42b17218, v7
	v_sub_f32_e32 v11, v11, v15
	s_delay_alu instid0(VALU_DEP_3) | instskip(SKIP_2) | instid1(VALU_DEP_3)
	v_cndmask_b32_e32 v35, 0x7f800000, v6, vcc_lo
	v_cmp_ngt_f32_e32 vcc_lo, 0xc2ce8ed0, v9
	v_fmac_f32_e32 v14, 0x32a5705f, v9
	v_cvt_f16_f32_e32 v6, v35
	s_delay_alu instid0(VALU_DEP_2) | instskip(SKIP_1) | instid1(VALU_DEP_3)
	v_add_f32_e32 v11, v11, v14
	v_cvt_i32_f32_e32 v14, v15
	v_and_b32_e32 v6, 0xffff, v6
	s_delay_alu instid0(VALU_DEP_3) | instskip(NEXT) | instid1(VALU_DEP_1)
	v_exp_f32_e32 v11, v11
	v_mul_u32_u24_e32 v7, 0x10001, v6
	s_delay_alu instid0(TRANS32_DEP_1) | instskip(NEXT) | instid1(VALU_DEP_2)
	v_ldexp_f32 v11, v11, v14
	v_pk_mul_f16 v6, v101, v7
	s_delay_alu instid0(VALU_DEP_2) | instskip(SKIP_1) | instid1(VALU_DEP_2)
	v_cndmask_b32_e32 v11, 0, v11, vcc_lo
	v_cmp_nlt_f32_e32 vcc_lo, 0x42b17218, v9
	v_dual_sub_f32 v9, v25, v22 :: v_dual_cndmask_b32 v14, 0x7f800000, v11
	s_delay_alu instid0(VALU_DEP_1) | instskip(SKIP_1) | instid1(VALU_DEP_2)
	v_mul_f32_e32 v11, 0x3fb8aa3b, v9
	v_cmp_ngt_f32_e32 vcc_lo, 0xc2ce8ed0, v9
	v_fma_f32 v15, 0x3fb8aa3b, v9, -v11
	v_rndne_f32_e32 v24, v11
	s_delay_alu instid0(VALU_DEP_2) | instskip(NEXT) | instid1(VALU_DEP_2)
	v_fmac_f32_e32 v15, 0x32a5705f, v9
	v_sub_f32_e32 v11, v11, v24
	s_delay_alu instid0(VALU_DEP_1) | instskip(SKIP_1) | instid1(VALU_DEP_2)
	v_add_f32_e32 v11, v11, v15
	v_cvt_i32_f32_e32 v15, v24
	v_exp_f32_e32 v11, v11
	v_nop
	s_delay_alu instid0(TRANS32_DEP_1) | instskip(NEXT) | instid1(VALU_DEP_1)
	v_ldexp_f32 v11, v11, v15
	v_cndmask_b32_e32 v11, 0, v11, vcc_lo
	v_cmp_nlt_f32_e32 vcc_lo, 0x42b17218, v9
	s_delay_alu instid0(VALU_DEP_2) | instskip(NEXT) | instid1(VALU_DEP_1)
	v_dual_sub_f32 v9, v26, v22 :: v_dual_cndmask_b32 v24, 0x7f800000, v11
	v_mul_f32_e32 v11, 0x3fb8aa3b, v9
	v_cmp_ngt_f32_e32 vcc_lo, 0xc2ce8ed0, v9
	s_delay_alu instid0(VALU_DEP_2) | instskip(SKIP_1) | instid1(VALU_DEP_2)
	v_fma_f32 v15, 0x3fb8aa3b, v9, -v11
	v_rndne_f32_e32 v25, v11
	v_fmac_f32_e32 v15, 0x32a5705f, v9
	s_delay_alu instid0(VALU_DEP_2) | instskip(NEXT) | instid1(VALU_DEP_1)
	v_sub_f32_e32 v11, v11, v25
	v_add_f32_e32 v11, v11, v15
	v_cvt_i32_f32_e32 v15, v25
	s_delay_alu instid0(VALU_DEP_2) | instskip(SKIP_1) | instid1(TRANS32_DEP_1)
	v_exp_f32_e32 v11, v11
	v_nop
	v_ldexp_f32 v11, v11, v15
	s_delay_alu instid0(VALU_DEP_1) | instskip(SKIP_1) | instid1(VALU_DEP_2)
	v_cndmask_b32_e32 v11, 0, v11, vcc_lo
	v_cmp_nlt_f32_e32 vcc_lo, 0x42b17218, v9
	v_dual_sub_f32 v9, v27, v22 :: v_dual_cndmask_b32 v26, 0x7f800000, v11
	s_delay_alu instid0(VALU_DEP_1) | instskip(SKIP_1) | instid1(VALU_DEP_2)
	v_mul_f32_e32 v11, 0x3fb8aa3b, v9
	v_cmp_ngt_f32_e32 vcc_lo, 0xc2ce8ed0, v9
	v_fma_f32 v15, 0x3fb8aa3b, v9, -v11
	v_rndne_f32_e32 v25, v11
	s_delay_alu instid0(VALU_DEP_2) | instskip(NEXT) | instid1(VALU_DEP_2)
	v_fmac_f32_e32 v15, 0x32a5705f, v9
	v_sub_f32_e32 v11, v11, v25
	s_delay_alu instid0(VALU_DEP_1) | instskip(SKIP_1) | instid1(VALU_DEP_2)
	v_add_f32_e32 v11, v11, v15
	v_cvt_i32_f32_e32 v15, v25
	v_exp_f32_e32 v11, v11
	v_nop
	s_delay_alu instid0(TRANS32_DEP_1) | instskip(NEXT) | instid1(VALU_DEP_1)
	v_ldexp_f32 v11, v11, v15
	v_cndmask_b32_e32 v11, 0, v11, vcc_lo
	v_cmp_nlt_f32_e32 vcc_lo, 0x42b17218, v9
	v_mul_f32_e32 v9, 0x3fb8aa3b, v8
	s_delay_alu instid0(VALU_DEP_3) | instskip(NEXT) | instid1(VALU_DEP_2)
	v_cndmask_b32_e32 v102, 0x7f800000, v11, vcc_lo
	v_fma_f32 v11, 0x3fb8aa3b, v8, -v9
	v_rndne_f32_e32 v15, v9
	v_cmp_ngt_f32_e32 vcc_lo, 0xc2ce8ed0, v8
	s_delay_alu instid0(VALU_DEP_3) | instskip(NEXT) | instid1(VALU_DEP_3)
	v_fmac_f32_e32 v11, 0x32a5705f, v8
	v_sub_f32_e32 v9, v9, v15
	s_delay_alu instid0(VALU_DEP_1) | instskip(SKIP_2) | instid1(VALU_DEP_3)
	v_add_f32_e32 v9, v9, v11
	v_cvt_i32_f32_e32 v11, v15
	v_mul_f32_e32 v15, 0x3fb8aa3b, v10
	v_exp_f32_e32 v9, v9
	s_delay_alu instid0(VALU_DEP_1) | instskip(SKIP_1) | instid1(VALU_DEP_2)
	v_fma_f32 v25, 0x3fb8aa3b, v10, -v15
	v_rndne_f32_e32 v27, v15
	v_fmac_f32_e32 v25, 0x32a5705f, v10
	s_delay_alu instid0(VALU_DEP_2) | instskip(NEXT) | instid1(TRANS32_DEP_1)
	v_sub_f32_e32 v15, v15, v27
	v_ldexp_f32 v9, v9, v11
	s_delay_alu instid0(VALU_DEP_2) | instskip(NEXT) | instid1(VALU_DEP_2)
	v_add_f32_e32 v15, v15, v25
	v_cndmask_b32_e32 v9, 0, v9, vcc_lo
	v_cmp_nlt_f32_e32 vcc_lo, 0x42b17218, v8
	v_cvt_i32_f32_e32 v25, v27
	s_delay_alu instid0(VALU_DEP_4) | instskip(NEXT) | instid1(VALU_DEP_3)
	v_exp_f32_e32 v15, v15
	v_cndmask_b32_e32 v104, 0x7f800000, v9, vcc_lo
	v_cmp_ngt_f32_e32 vcc_lo, 0xc2ce8ed0, v10
	s_delay_alu instid0(TRANS32_DEP_1) | instskip(NEXT) | instid1(VALU_DEP_3)
	v_ldexp_f32 v15, v15, v25
	v_cvt_f16_f32_e32 v8, v104
	s_delay_alu instid0(VALU_DEP_2) | instskip(SKIP_2) | instid1(VALU_DEP_4)
	v_cndmask_b32_e32 v15, 0, v15, vcc_lo
	v_cmp_nlt_f32_e32 vcc_lo, 0x42b17218, v10
	v_sub_f32_e32 v10, v28, v23
	v_and_b32_e32 v8, 0xffff, v8
	s_delay_alu instid0(VALU_DEP_4) | instskip(NEXT) | instid1(VALU_DEP_3)
	v_cndmask_b32_e32 v15, 0x7f800000, v15, vcc_lo
	v_mul_f32_e32 v25, 0x3fb8aa3b, v10
	v_cmp_ngt_f32_e32 vcc_lo, 0xc2ce8ed0, v10
	s_delay_alu instid0(VALU_DEP_4) | instskip(NEXT) | instid1(VALU_DEP_3)
	v_mul_u32_u24_e32 v9, 0x10001, v8
	v_fma_f32 v27, 0x3fb8aa3b, v10, -v25
	v_rndne_f32_e32 v28, v25
	v_sub_f32_e32 v11, v103, v23
	s_delay_alu instid0(VALU_DEP_4) | instskip(NEXT) | instid1(VALU_DEP_4)
	v_pk_mul_f16 v8, v100, v9
	v_fmac_f32_e32 v27, 0x32a5705f, v10
	s_delay_alu instid0(VALU_DEP_4) | instskip(NEXT) | instid1(VALU_DEP_1)
	v_sub_f32_e32 v25, v25, v28
	v_add_f32_e32 v25, v25, v27
	v_cvt_i32_f32_e32 v27, v28
	s_delay_alu instid0(VALU_DEP_2) | instskip(SKIP_1) | instid1(TRANS32_DEP_1)
	v_exp_f32_e32 v25, v25
	v_nop
	v_ldexp_f32 v25, v25, v27
	s_delay_alu instid0(VALU_DEP_1) | instskip(SKIP_1) | instid1(VALU_DEP_2)
	v_cndmask_b32_e32 v25, 0, v25, vcc_lo
	v_cmp_nlt_f32_e32 vcc_lo, 0x42b17218, v10
	v_dual_sub_f32 v10, v29, v23 :: v_dual_cndmask_b32 v25, 0x7f800000, v25
	s_delay_alu instid0(VALU_DEP_1) | instskip(SKIP_1) | instid1(VALU_DEP_2)
	v_mul_f32_e32 v27, 0x3fb8aa3b, v10
	v_cmp_ngt_f32_e32 vcc_lo, 0xc2ce8ed0, v10
	v_fma_f32 v28, 0x3fb8aa3b, v10, -v27
	v_rndne_f32_e32 v29, v27
	s_delay_alu instid0(VALU_DEP_1) | instskip(NEXT) | instid1(VALU_DEP_1)
	v_dual_fmac_f32 v28, 0x32a5705f, v10 :: v_dual_sub_f32 v27, v27, v29
	v_add_f32_e32 v27, v27, v28
	v_cvt_i32_f32_e32 v28, v29
	s_delay_alu instid0(VALU_DEP_2) | instskip(SKIP_1) | instid1(TRANS32_DEP_1)
	v_exp_f32_e32 v27, v27
	v_nop
	v_ldexp_f32 v27, v27, v28
	s_delay_alu instid0(VALU_DEP_1) | instskip(SKIP_2) | instid1(VALU_DEP_3)
	v_cndmask_b32_e32 v27, 0, v27, vcc_lo
	v_cmp_nlt_f32_e32 vcc_lo, 0x42b17218, v10
	v_sub_f32_e32 v10, v30, v23
	v_cndmask_b32_e32 v27, 0x7f800000, v27, vcc_lo
	s_delay_alu instid0(VALU_DEP_2) | instskip(SKIP_1) | instid1(VALU_DEP_2)
	v_mul_f32_e32 v28, 0x3fb8aa3b, v10
	v_cmp_ngt_f32_e32 vcc_lo, 0xc2ce8ed0, v10
	v_fma_f32 v29, 0x3fb8aa3b, v10, -v28
	v_rndne_f32_e32 v30, v28
	s_delay_alu instid0(VALU_DEP_2) | instskip(NEXT) | instid1(VALU_DEP_2)
	v_fmac_f32_e32 v29, 0x32a5705f, v10
	v_sub_f32_e32 v28, v28, v30
	s_delay_alu instid0(VALU_DEP_1) | instskip(SKIP_1) | instid1(VALU_DEP_2)
	v_add_f32_e32 v28, v28, v29
	v_cvt_i32_f32_e32 v29, v30
	v_exp_f32_e32 v28, v28
	v_nop
	s_delay_alu instid0(TRANS32_DEP_1) | instskip(NEXT) | instid1(VALU_DEP_1)
	v_ldexp_f32 v28, v28, v29
	v_cndmask_b32_e32 v28, 0, v28, vcc_lo
	v_cmp_nlt_f32_e32 vcc_lo, 0x42b17218, v10
	v_mul_f32_e32 v10, 0x3fb8aa3b, v11
	s_delay_alu instid0(VALU_DEP_3) | instskip(NEXT) | instid1(VALU_DEP_2)
	v_cndmask_b32_e32 v103, 0x7f800000, v28, vcc_lo
	v_fma_f32 v28, 0x3fb8aa3b, v11, -v10
	v_rndne_f32_e32 v29, v10
	v_cmp_ngt_f32_e32 vcc_lo, 0xc2ce8ed0, v11
	s_delay_alu instid0(VALU_DEP_3) | instskip(NEXT) | instid1(VALU_DEP_3)
	v_fmac_f32_e32 v28, 0x32a5705f, v11
	v_sub_f32_e32 v10, v10, v29
	s_delay_alu instid0(VALU_DEP_1) | instskip(SKIP_1) | instid1(VALU_DEP_2)
	v_add_f32_e32 v10, v10, v28
	v_cvt_i32_f32_e32 v28, v29
	v_exp_f32_e32 v10, v10
	v_nop
	s_delay_alu instid0(TRANS32_DEP_1) | instskip(SKIP_3) | instid1(VALU_DEP_4)
	v_ldexp_f32 v10, v10, v28
	v_pk_add_f32 v[28:29], v[14:15], v[24:25]
	v_cvt_pk_f16_f32 v15, v14, v15
	v_cvt_pk_f16_f32 v14, v0, v1
	v_cndmask_b32_e32 v10, 0, v10, vcc_lo
	v_cmp_nlt_f32_e32 vcc_lo, 0x42b17218, v11
	v_pk_add_f32 v[28:29], v[26:27], v[28:29]
	s_delay_alu instid0(VALU_DEP_3) | instskip(NEXT) | instid1(VALU_DEP_2)
	v_cndmask_b32_e32 v105, 0x7f800000, v10, vcc_lo
	v_pk_add_f32 v[28:29], v[102:103], v[28:29]
	v_pk_add_f32 v[10:11], v[0:1], v[12:13]
	v_cvt_pk_f16_f32 v0, v12, v13
	s_delay_alu instid0(VALU_DEP_3)
	v_pk_fma_f32 v[18:19], v[18:19], v[104:105], v[28:29]
	v_add_nc_u32_e32 v28, v82, v79
	v_cvt_pk_f16_f32 v1, v24, v25
	v_pk_add_f32 v[10:11], v[2:3], v[10:11]
	ds_store_2addr_b64 v28, v[14:15], v[0:1] offset1:32
	v_cvt_pk_f16_f32 v1, v26, v27
	v_cvt_pk_f16_f32 v0, v2, v3
	;; [unrolled: 1-line block ×4, first 2 shown]
	v_pk_add_f32 v[10:11], v[32:33], v[10:11]
	ds_store_2addr_b64 v28, v[0:1], v[2:3] offset0:64 offset1:96
	v_add_nc_u64_e32 v[0:1], s[38:39], v[60:61]
	v_pk_fma_f32 v[16:17], v[16:17], v[34:35], v[10:11]
	v_cvt_f16_f32_e32 v10, v105
	s_delay_alu instid0(VALU_DEP_3) | instskip(NEXT) | instid1(VALU_DEP_2)
	v_add_nc_u64_e32 v[0:1], v[0:1], v[50:51]
	v_and_b32_e32 v10, 0xffff, v10
	s_delay_alu instid0(VALU_DEP_1)
	v_mul_u32_u24_e32 v10, 0x10001, v10
	global_load_b128 v[0:3], v[0:1], off
	v_pk_mul_f16 v11, v98, v10
	v_pk_mul_f16 v10, v99, v10
	s_wait_loadcnt 0x0
	ds_store_b128 v88, v[0:3]
	v_add_nc_u64_e32 v[0:1], s[38:39], v[64:65]
	s_delay_alu instid0(VALU_DEP_1) | instskip(SKIP_4) | instid1(VALU_DEP_1)
	v_add_nc_u64_e32 v[0:1], v[0:1], v[50:51]
	global_load_b128 v[0:3], v[0:1], off
	s_wait_loadcnt 0x0
	ds_store_b128 v92, v[0:3]
	v_add_nc_u64_e32 v[0:1], s[38:39], v[66:67]
	v_add_nc_u64_e32 v[0:1], v[0:1], v[50:51]
	global_load_b128 v[0:3], v[0:1], off
	s_wait_loadcnt 0x0
	ds_store_b128 v93, v[0:3]
	v_add_nc_u64_e32 v[0:1], s[38:39], v[68:69]
	s_or_b32 s38, s24, 64
	s_delay_alu instid0(SALU_CYCLE_1) | instskip(NEXT) | instid1(SALU_CYCLE_1)
	s_ashr_i32 s39, s38, 31
	s_mul_u64 s[38:39], s[38:39], s[14:15]
	s_delay_alu instid0(VALU_DEP_1) | instskip(SKIP_1) | instid1(SALU_CYCLE_1)
	v_add_nc_u64_e32 v[0:1], v[0:1], v[50:51]
	s_lshl_b64 s[38:39], s[38:39], 2
	s_add_nc_u64 s[38:39], s[6:7], s[38:39]
	global_load_b128 v[0:3], v[0:1], off
	s_wait_loadcnt 0x0
	ds_store_b128 v94, v[0:3]
	s_wait_dscnt 0x0
	s_barrier_signal -1
	s_barrier_wait -1
	ds_load_2addr_b64 v[12:15], v79 offset1:32
	ds_load_b128 v[24:27], v82
	ds_load_b128 v[28:31], v82 offset:16
	ds_load_b128 v[32:35], v82 offset:32
	;; [unrolled: 1-line block ×3, first 2 shown]
	s_wait_dscnt 0x3
	v_lshrrev_b32_e32 v98, 16, v24
	v_and_b32_e32 v24, 0xffff, v24
	v_lshrrev_b32_e32 v99, 16, v25
	v_and_b32_e32 v25, 0xffff, v25
	s_delay_alu instid0(VALU_DEP_4) | instskip(NEXT) | instid1(VALU_DEP_4)
	v_mul_u32_u24_e32 v98, 0x10001, v98
	v_mul_u32_u24_e32 v24, 0x10001, v24
	s_delay_alu instid0(VALU_DEP_4) | instskip(NEXT) | instid1(VALU_DEP_4)
	v_mul_u32_u24_e32 v99, 0x10001, v99
	v_mul_u32_u24_e32 v25, 0x10001, v25
	s_delay_alu instid0(VALU_DEP_4) | instskip(NEXT) | instid1(VALU_DEP_4)
	v_pk_fma_f16 v6, v13, v98, v6
	v_pk_mul_f16 v100, v12, v24
	s_delay_alu instid0(VALU_DEP_4)
	v_pk_fma_f16 v11, v12, v99, v11
	v_pk_fma_f16 v4, v13, v24, v4
	;; [unrolled: 1-line block ×5, first 2 shown]
	v_pk_mul_f16 v86, v12, v98
	v_lshrrev_b32_e32 v13, 16, v27
	v_and_b32_e32 v24, 0xffff, v26
	s_delay_alu instid0(VALU_DEP_3)
	v_pk_fma_f16 v7, v85, v7, v86
	v_pk_mul_f16 v85, v12, v25
	v_lshrrev_b32_e32 v12, 16, v26
	v_and_b32_e32 v25, 0xffff, v27
	v_mul_u32_u24_e32 v24, 0x10001, v24
	v_mul_u32_u24_e32 v13, 0x10001, v13
	v_pk_fma_f16 v9, v84, v9, v85
	v_mul_u32_u24_e32 v12, 0x10001, v12
	v_mul_u32_u24_e32 v25, 0x10001, v25
	v_pk_fma_f16 v26, v14, v24, v5
	v_pk_fma_f16 v11, v14, v13, v11
	;; [unrolled: 1-line block ×7, first 2 shown]
	ds_load_2addr_b64 v[4:7], v79 offset0:64 offset1:96
	v_pk_fma_f16 v8, v15, v25, v8
	s_wait_dscnt 0x3
	v_dual_lshrrev_b32 v13, 16, v28 :: v_dual_lshrrev_b32 v15, 16, v29
	v_and_b32_e32 v24, 0xffff, v28
	v_and_b32_e32 v25, 0xffff, v29
	s_delay_alu instid0(VALU_DEP_3) | instskip(NEXT) | instid1(VALU_DEP_4)
	v_mul_u32_u24_e32 v13, 0x10001, v13
	v_mul_u32_u24_e32 v15, 0x10001, v15
	s_delay_alu instid0(VALU_DEP_4) | instskip(NEXT) | instid1(VALU_DEP_4)
	v_mul_u32_u24_e32 v24, 0x10001, v24
	v_mul_u32_u24_e32 v25, 0x10001, v25
	s_wait_dscnt 0x0
	s_delay_alu instid0(VALU_DEP_2) | instskip(SKIP_1) | instid1(VALU_DEP_3)
	v_pk_fma_f16 v26, v4, v24, v26
	v_pk_fma_f16 v27, v4, v13, v27
	;; [unrolled: 1-line block ×8, first 2 shown]
	v_dual_lshrrev_b32 v10, 16, v30 :: v_dual_lshrrev_b32 v13, 16, v31
	v_and_b32_e32 v14, 0xffff, v30
	v_and_b32_e32 v15, 0xffff, v31
	s_delay_alu instid0(VALU_DEP_3) | instskip(NEXT) | instid1(VALU_DEP_4)
	v_mul_u32_u24_e32 v10, 0x10001, v10
	v_mul_u32_u24_e32 v13, 0x10001, v13
	s_delay_alu instid0(VALU_DEP_4) | instskip(NEXT) | instid1(VALU_DEP_4)
	v_mul_u32_u24_e32 v14, 0x10001, v14
	v_mul_u32_u24_e32 v15, 0x10001, v15
	s_delay_alu instid0(VALU_DEP_4) | instskip(SKIP_1) | instid1(VALU_DEP_4)
	v_pk_fma_f16 v25, v6, v10, v27
	v_pk_fma_f16 v10, v7, v10, v12
	;; [unrolled: 1-line block ×3, first 2 shown]
	s_delay_alu instid0(VALU_DEP_4)
	v_pk_fma_f16 v9, v6, v15, v9
	v_pk_fma_f16 v26, v6, v13, v4
	;; [unrolled: 1-line block ×5, first 2 shown]
	ds_load_2addr_b64 v[4:7], v79 offset0:128 offset1:160
	v_dual_lshrrev_b32 v13, 16, v32 :: v_dual_lshrrev_b32 v14, 16, v33
	v_and_b32_e32 v15, 0xffff, v32
	v_and_b32_e32 v27, 0xffff, v33
	s_delay_alu instid0(VALU_DEP_3) | instskip(NEXT) | instid1(VALU_DEP_4)
	v_mul_u32_u24_e32 v13, 0x10001, v13
	v_mul_u32_u24_e32 v14, 0x10001, v14
	s_delay_alu instid0(VALU_DEP_4) | instskip(NEXT) | instid1(VALU_DEP_4)
	v_mul_u32_u24_e32 v15, 0x10001, v15
	v_mul_u32_u24_e32 v27, 0x10001, v27
	s_wait_dscnt 0x0
	s_delay_alu instid0(VALU_DEP_2) | instskip(SKIP_1) | instid1(VALU_DEP_3)
	v_pk_fma_f16 v24, v4, v15, v24
	v_pk_fma_f16 v25, v4, v13, v25
	;; [unrolled: 1-line block ×8, first 2 shown]
	v_dual_lshrrev_b32 v12, 16, v34 :: v_dual_lshrrev_b32 v13, 16, v35
	v_and_b32_e32 v14, 0xffff, v34
	v_and_b32_e32 v15, 0xffff, v35
	s_delay_alu instid0(VALU_DEP_3) | instskip(NEXT) | instid1(VALU_DEP_4)
	v_mul_u32_u24_e32 v12, 0x10001, v12
	v_mul_u32_u24_e32 v13, 0x10001, v13
	s_delay_alu instid0(VALU_DEP_4) | instskip(NEXT) | instid1(VALU_DEP_4)
	v_mul_u32_u24_e32 v14, 0x10001, v14
	v_mul_u32_u24_e32 v15, 0x10001, v15
	s_delay_alu instid0(VALU_DEP_4) | instskip(NEXT) | instid1(VALU_DEP_4)
	v_pk_fma_f16 v25, v6, v12, v25
	v_pk_fma_f16 v26, v6, v13, v4
	s_delay_alu instid0(VALU_DEP_4) | instskip(NEXT) | instid1(VALU_DEP_4)
	v_pk_fma_f16 v24, v6, v14, v24
	v_pk_fma_f16 v9, v6, v15, v9
	v_pk_fma_f16 v11, v7, v14, v11
	v_pk_fma_f16 v10, v7, v12, v10
	v_pk_fma_f16 v8, v7, v15, v8
	v_pk_fma_f16 v12, v7, v13, v5
	ds_load_2addr_b64 v[4:7], v79 offset0:192 offset1:224
	v_dual_lshrrev_b32 v13, 16, v0 :: v_dual_lshrrev_b32 v14, 16, v1
	v_and_b32_e32 v0, 0xffff, v0
	v_and_b32_e32 v1, 0xffff, v1
	s_delay_alu instid0(VALU_DEP_3) | instskip(NEXT) | instid1(VALU_DEP_4)
	v_mul_u32_u24_e32 v13, 0x10001, v13
	v_mul_u32_u24_e32 v14, 0x10001, v14
	s_delay_alu instid0(VALU_DEP_4) | instskip(NEXT) | instid1(VALU_DEP_4)
	v_mul_u32_u24_e32 v0, 0x10001, v0
	v_mul_u32_u24_e32 v1, 0x10001, v1
	s_wait_dscnt 0x0
	s_delay_alu instid0(VALU_DEP_2) | instskip(NEXT) | instid1(VALU_DEP_2)
	v_pk_fma_f16 v15, v4, v0, v24
	v_pk_fma_f16 v9, v4, v1, v9
	;; [unrolled: 1-line block ×4, first 2 shown]
	v_dual_lshrrev_b32 v8, 16, v2 :: v_dual_lshrrev_b32 v11, 16, v3
	v_and_b32_e32 v2, 0xffff, v2
	v_and_b32_e32 v3, 0xffff, v3
	v_pk_fma_f16 v24, v4, v13, v25
	v_pk_fma_f16 v4, v4, v14, v26
	v_mul_u32_u24_e32 v8, 0x10001, v8
	v_mul_u32_u24_e32 v2, 0x10001, v2
	;; [unrolled: 1-line block ×4, first 2 shown]
	v_pk_fma_f16 v10, v5, v13, v10
	v_pk_fma_f16 v5, v5, v14, v12
	;; [unrolled: 1-line block ×6, first 2 shown]
	v_add_nc_u32_e32 v6, 0x800, v79
	v_pk_fma_f16 v15, v7, v2, v0
	v_pk_fma_f16 v24, v7, v8, v10
	;; [unrolled: 1-line block ×4, first 2 shown]
	ds_load_2addr_b64 v[0:3], v6 offset1:32
	ds_load_b128 v[8:11], v82 offset:64
	s_wait_dscnt 0x0
	v_dual_lshrrev_b32 v7, 16, v8 :: v_dual_lshrrev_b32 v26, 16, v9
	v_and_b32_e32 v8, 0xffff, v8
	v_and_b32_e32 v9, 0xffff, v9
	s_delay_alu instid0(VALU_DEP_3) | instskip(NEXT) | instid1(VALU_DEP_4)
	v_mul_u32_u24_e32 v7, 0x10001, v7
	v_mul_u32_u24_e32 v26, 0x10001, v26
	s_delay_alu instid0(VALU_DEP_4) | instskip(NEXT) | instid1(VALU_DEP_4)
	v_mul_u32_u24_e32 v8, 0x10001, v8
	v_mul_u32_u24_e32 v9, 0x10001, v9
	s_delay_alu instid0(VALU_DEP_4) | instskip(SKIP_1) | instid1(VALU_DEP_4)
	v_pk_fma_f16 v13, v0, v7, v13
	v_pk_fma_f16 v7, v1, v7, v24
	;; [unrolled: 1-line block ×3, first 2 shown]
	s_delay_alu instid0(VALU_DEP_4)
	v_pk_fma_f16 v14, v0, v9, v14
	v_pk_fma_f16 v0, v0, v26, v4
	;; [unrolled: 1-line block ×5, first 2 shown]
	v_dual_lshrrev_b32 v5, 16, v10 :: v_dual_lshrrev_b32 v9, 16, v11
	v_and_b32_e32 v10, 0xffff, v10
	v_and_b32_e32 v11, 0xffff, v11
	s_delay_alu instid0(VALU_DEP_3) | instskip(NEXT) | instid1(VALU_DEP_4)
	v_mul_u32_u24_e32 v5, 0x10001, v5
	v_mul_u32_u24_e32 v9, 0x10001, v9
	s_delay_alu instid0(VALU_DEP_4) | instskip(NEXT) | instid1(VALU_DEP_4)
	v_mul_u32_u24_e32 v10, 0x10001, v10
	v_mul_u32_u24_e32 v11, 0x10001, v11
	s_delay_alu instid0(VALU_DEP_4) | instskip(NEXT) | instid1(VALU_DEP_4)
	v_pk_fma_f16 v13, v2, v5, v13
	v_pk_fma_f16 v15, v2, v9, v0
	s_delay_alu instid0(VALU_DEP_4) | instskip(NEXT) | instid1(VALU_DEP_4)
	v_pk_fma_f16 v12, v2, v10, v12
	v_pk_fma_f16 v14, v2, v11, v14
	v_pk_fma_f16 v4, v3, v10, v4
	v_pk_fma_f16 v5, v3, v5, v7
	v_pk_fma_f16 v7, v3, v11, v8
	v_pk_fma_f16 v24, v3, v9, v1
	ds_load_2addr_b64 v[0:3], v6 offset0:64 offset1:96
	ds_load_b128 v[8:11], v82 offset:80
	s_wait_dscnt 0x0
	v_dual_lshrrev_b32 v25, 16, v8 :: v_dual_lshrrev_b32 v26, 16, v9
	v_and_b32_e32 v8, 0xffff, v8
	v_and_b32_e32 v9, 0xffff, v9
	s_delay_alu instid0(VALU_DEP_3) | instskip(NEXT) | instid1(VALU_DEP_4)
	v_mul_u32_u24_e32 v25, 0x10001, v25
	v_mul_u32_u24_e32 v26, 0x10001, v26
	s_delay_alu instid0(VALU_DEP_4) | instskip(NEXT) | instid1(VALU_DEP_4)
	v_mul_u32_u24_e32 v8, 0x10001, v8
	v_mul_u32_u24_e32 v9, 0x10001, v9
	s_delay_alu instid0(VALU_DEP_4) | instskip(SKIP_1) | instid1(VALU_DEP_4)
	v_pk_fma_f16 v13, v0, v25, v13
	v_pk_fma_f16 v5, v1, v25, v5
	v_pk_fma_f16 v12, v0, v8, v12
	s_delay_alu instid0(VALU_DEP_4)
	v_pk_fma_f16 v14, v0, v9, v14
	v_pk_fma_f16 v4, v1, v8, v4
	v_pk_fma_f16 v7, v1, v9, v7
	v_dual_lshrrev_b32 v8, 16, v10 :: v_dual_lshrrev_b32 v9, 16, v11
	v_and_b32_e32 v10, 0xffff, v10
	v_and_b32_e32 v11, 0xffff, v11
	v_pk_fma_f16 v0, v0, v26, v15
	v_pk_fma_f16 v1, v1, v26, v24
	v_mul_u32_u24_e32 v8, 0x10001, v8
	v_mul_u32_u24_e32 v10, 0x10001, v10
	v_mul_u32_u24_e32 v11, 0x10001, v11
	v_mul_u32_u24_e32 v9, 0x10001, v9
	s_delay_alu instid0(VALU_DEP_4) | instskip(NEXT) | instid1(VALU_DEP_4)
	v_pk_fma_f16 v13, v2, v8, v13
	v_pk_fma_f16 v12, v2, v10, v12
	s_delay_alu instid0(VALU_DEP_4) | instskip(NEXT) | instid1(VALU_DEP_4)
	v_pk_fma_f16 v14, v2, v11, v14
	v_pk_fma_f16 v15, v2, v9, v0
	v_pk_fma_f16 v4, v3, v10, v4
	v_pk_fma_f16 v5, v3, v8, v5
	v_pk_fma_f16 v7, v3, v11, v7
	v_pk_fma_f16 v24, v3, v9, v1
	ds_load_2addr_b64 v[0:3], v6 offset0:128 offset1:160
	ds_load_b128 v[8:11], v82 offset:96
	s_wait_dscnt 0x0
	v_dual_lshrrev_b32 v25, 16, v8 :: v_dual_lshrrev_b32 v26, 16, v9
	v_and_b32_e32 v8, 0xffff, v8
	v_and_b32_e32 v9, 0xffff, v9
	s_delay_alu instid0(VALU_DEP_3) | instskip(NEXT) | instid1(VALU_DEP_4)
	v_mul_u32_u24_e32 v25, 0x10001, v25
	v_mul_u32_u24_e32 v26, 0x10001, v26
	s_delay_alu instid0(VALU_DEP_4) | instskip(NEXT) | instid1(VALU_DEP_4)
	v_mul_u32_u24_e32 v8, 0x10001, v8
	v_mul_u32_u24_e32 v9, 0x10001, v9
	s_delay_alu instid0(VALU_DEP_4) | instskip(SKIP_1) | instid1(VALU_DEP_4)
	v_pk_fma_f16 v13, v0, v25, v13
	v_pk_fma_f16 v5, v1, v25, v5
	v_pk_fma_f16 v12, v0, v8, v12
	s_delay_alu instid0(VALU_DEP_4)
	v_pk_fma_f16 v14, v0, v9, v14
	v_pk_fma_f16 v4, v1, v8, v4
	v_pk_fma_f16 v7, v1, v9, v7
	v_dual_lshrrev_b32 v8, 16, v10 :: v_dual_lshrrev_b32 v9, 16, v11
	v_and_b32_e32 v10, 0xffff, v10
	v_and_b32_e32 v11, 0xffff, v11
	v_pk_fma_f16 v0, v0, v26, v15
	v_pk_fma_f16 v1, v1, v26, v24
	v_mul_u32_u24_e32 v8, 0x10001, v8
	v_mul_u32_u24_e32 v10, 0x10001, v10
	;; [unrolled: 39-line block ×3, first 2 shown]
	v_mul_u32_u24_e32 v10, 0x10001, v10
	v_mul_u32_u24_e32 v9, 0x10001, v9
	s_delay_alu instid0(VALU_DEP_4) | instskip(NEXT) | instid1(VALU_DEP_4)
	v_pk_fma_f16 v13, v2, v8, v13
	v_pk_fma_f16 v24, v3, v11, v7
	v_add_nc_u32_e32 v7, 0x1000, v79
	v_pk_fma_f16 v12, v2, v10, v12
	v_pk_fma_f16 v14, v2, v11, v14
	;; [unrolled: 1-line block ×6, first 2 shown]
	ds_load_2addr_b64 v[0:3], v7 offset1:32
	ds_load_b128 v[8:11], v82 offset:128
	s_wait_dscnt 0x0
	v_dual_lshrrev_b32 v26, 16, v8 :: v_dual_lshrrev_b32 v27, 16, v9
	v_and_b32_e32 v8, 0xffff, v8
	v_and_b32_e32 v9, 0xffff, v9
	s_delay_alu instid0(VALU_DEP_3) | instskip(NEXT) | instid1(VALU_DEP_4)
	v_mul_u32_u24_e32 v26, 0x10001, v26
	v_mul_u32_u24_e32 v27, 0x10001, v27
	s_delay_alu instid0(VALU_DEP_4) | instskip(NEXT) | instid1(VALU_DEP_4)
	v_mul_u32_u24_e32 v8, 0x10001, v8
	v_mul_u32_u24_e32 v9, 0x10001, v9
	s_delay_alu instid0(VALU_DEP_4) | instskip(SKIP_1) | instid1(VALU_DEP_4)
	v_pk_fma_f16 v13, v0, v26, v13
	v_pk_fma_f16 v5, v1, v26, v5
	v_pk_fma_f16 v12, v0, v8, v12
	s_delay_alu instid0(VALU_DEP_4)
	v_pk_fma_f16 v14, v0, v9, v14
	v_pk_fma_f16 v0, v0, v27, v15
	v_pk_fma_f16 v4, v1, v8, v4
	v_pk_fma_f16 v8, v1, v9, v24
	v_dual_lshrrev_b32 v9, 16, v10 :: v_dual_lshrrev_b32 v15, 16, v11
	v_and_b32_e32 v10, 0xffff, v10
	v_and_b32_e32 v11, 0xffff, v11
	v_pk_fma_f16 v1, v1, v27, v25
	s_delay_alu instid0(VALU_DEP_4) | instskip(SKIP_3) | instid1(VALU_DEP_4)
	v_mul_u32_u24_e32 v9, 0x10001, v9
	v_mul_u32_u24_e32 v15, 0x10001, v15
	v_mul_u32_u24_e32 v10, 0x10001, v10
	v_mul_u32_u24_e32 v11, 0x10001, v11
	v_pk_fma_f16 v13, v2, v9, v13
	s_delay_alu instid0(VALU_DEP_4) | instskip(NEXT) | instid1(VALU_DEP_4)
	v_pk_fma_f16 v24, v2, v15, v0
	v_pk_fma_f16 v12, v2, v10, v12
	s_delay_alu instid0(VALU_DEP_4)
	v_pk_fma_f16 v14, v2, v11, v14
	v_pk_fma_f16 v4, v3, v10, v4
	v_pk_fma_f16 v5, v3, v9, v5
	v_pk_fma_f16 v25, v3, v11, v8
	v_pk_fma_f16 v15, v3, v15, v1
	ds_load_2addr_b64 v[0:3], v7 offset0:64 offset1:96
	ds_load_b128 v[8:11], v82 offset:144
	s_wait_dscnt 0x0
	v_dual_lshrrev_b32 v26, 16, v8 :: v_dual_lshrrev_b32 v27, 16, v9
	v_and_b32_e32 v8, 0xffff, v8
	v_and_b32_e32 v9, 0xffff, v9
	s_delay_alu instid0(VALU_DEP_3) | instskip(NEXT) | instid1(VALU_DEP_4)
	v_mul_u32_u24_e32 v26, 0x10001, v26
	v_mul_u32_u24_e32 v27, 0x10001, v27
	s_delay_alu instid0(VALU_DEP_4) | instskip(NEXT) | instid1(VALU_DEP_4)
	v_mul_u32_u24_e32 v8, 0x10001, v8
	v_mul_u32_u24_e32 v9, 0x10001, v9
	s_delay_alu instid0(VALU_DEP_4) | instskip(SKIP_1) | instid1(VALU_DEP_4)
	v_pk_fma_f16 v5, v1, v26, v5
	v_pk_fma_f16 v13, v0, v26, v13
	v_pk_fma_f16 v12, v0, v8, v12
	s_delay_alu instid0(VALU_DEP_4)
	v_pk_fma_f16 v14, v0, v9, v14
	v_pk_fma_f16 v4, v1, v8, v4
	v_pk_fma_f16 v8, v1, v9, v25
	v_pk_fma_f16 v1, v1, v27, v15
	v_dual_lshrrev_b32 v9, 16, v10 :: v_dual_lshrrev_b32 v15, 16, v11
	v_and_b32_e32 v10, 0xffff, v10
	v_and_b32_e32 v11, 0xffff, v11
	v_pk_fma_f16 v0, v0, v27, v24
	s_delay_alu instid0(VALU_DEP_4) | instskip(SKIP_3) | instid1(VALU_DEP_4)
	v_mul_u32_u24_e32 v9, 0x10001, v9
	v_mul_u32_u24_e32 v15, 0x10001, v15
	v_mul_u32_u24_e32 v10, 0x10001, v10
	v_mul_u32_u24_e32 v11, 0x10001, v11
	v_pk_fma_f16 v13, v2, v9, v13
	s_delay_alu instid0(VALU_DEP_4) | instskip(NEXT) | instid1(VALU_DEP_4)
	v_pk_fma_f16 v24, v2, v15, v0
	v_pk_fma_f16 v12, v2, v10, v12
	s_delay_alu instid0(VALU_DEP_4)
	v_pk_fma_f16 v14, v2, v11, v14
	v_pk_fma_f16 v4, v3, v10, v4
	v_pk_fma_f16 v5, v3, v9, v5
	v_pk_fma_f16 v25, v3, v11, v8
	v_pk_fma_f16 v15, v3, v15, v1
	ds_load_2addr_b64 v[0:3], v7 offset0:128 offset1:160
	;; [unrolled: 40-line block ×3, first 2 shown]
	ds_load_b128 v[8:11], v82 offset:176
	s_wait_dscnt 0x0
	v_dual_lshrrev_b32 v26, 16, v8 :: v_dual_lshrrev_b32 v27, 16, v9
	v_and_b32_e32 v8, 0xffff, v8
	v_and_b32_e32 v9, 0xffff, v9
	s_delay_alu instid0(VALU_DEP_3) | instskip(NEXT) | instid1(VALU_DEP_4)
	v_mul_u32_u24_e32 v26, 0x10001, v26
	v_mul_u32_u24_e32 v27, 0x10001, v27
	s_delay_alu instid0(VALU_DEP_4) | instskip(NEXT) | instid1(VALU_DEP_4)
	v_mul_u32_u24_e32 v8, 0x10001, v8
	v_mul_u32_u24_e32 v9, 0x10001, v9
	s_delay_alu instid0(VALU_DEP_4) | instskip(SKIP_1) | instid1(VALU_DEP_4)
	v_pk_fma_f16 v5, v1, v26, v5
	v_pk_fma_f16 v13, v0, v26, v13
	;; [unrolled: 1-line block ×3, first 2 shown]
	s_delay_alu instid0(VALU_DEP_4)
	v_pk_fma_f16 v14, v0, v9, v14
	v_pk_fma_f16 v4, v1, v8, v4
	;; [unrolled: 1-line block ×4, first 2 shown]
	v_dual_lshrrev_b32 v9, 16, v10 :: v_dual_lshrrev_b32 v15, 16, v11
	v_and_b32_e32 v11, 0xffff, v11
	v_and_b32_e32 v10, 0xffff, v10
	v_pk_fma_f16 v0, v0, v27, v24
	s_delay_alu instid0(VALU_DEP_4) | instskip(SKIP_3) | instid1(VALU_DEP_4)
	v_mul_u32_u24_e32 v9, 0x10001, v9
	v_mul_u32_u24_e32 v15, 0x10001, v15
	;; [unrolled: 1-line block ×4, first 2 shown]
	v_pk_fma_f16 v25, v2, v9, v13
	v_pk_fma_f16 v5, v3, v9, v5
	s_delay_alu instid0(VALU_DEP_4)
	v_pk_fma_f16 v9, v3, v11, v8
	v_add_nc_u32_e32 v8, 0x1800, v79
	v_pk_fma_f16 v24, v2, v10, v12
	v_pk_fma_f16 v14, v2, v11, v14
	;; [unrolled: 1-line block ×5, first 2 shown]
	ds_load_2addr_b64 v[0:3], v8 offset1:32
	ds_load_b128 v[10:13], v82 offset:192
	s_wait_dscnt 0x0
	v_dual_lshrrev_b32 v27, 16, v10 :: v_dual_lshrrev_b32 v28, 16, v11
	v_and_b32_e32 v10, 0xffff, v10
	v_and_b32_e32 v11, 0xffff, v11
	s_delay_alu instid0(VALU_DEP_3) | instskip(NEXT) | instid1(VALU_DEP_4)
	v_mul_u32_u24_e32 v27, 0x10001, v27
	v_mul_u32_u24_e32 v28, 0x10001, v28
	s_delay_alu instid0(VALU_DEP_4) | instskip(NEXT) | instid1(VALU_DEP_4)
	v_mul_u32_u24_e32 v10, 0x10001, v10
	v_mul_u32_u24_e32 v11, 0x10001, v11
	s_delay_alu instid0(VALU_DEP_4) | instskip(SKIP_1) | instid1(VALU_DEP_4)
	v_pk_fma_f16 v25, v0, v27, v25
	v_pk_fma_f16 v5, v1, v27, v5
	;; [unrolled: 1-line block ×3, first 2 shown]
	s_delay_alu instid0(VALU_DEP_4)
	v_pk_fma_f16 v14, v0, v11, v14
	v_pk_fma_f16 v4, v1, v10, v4
	;; [unrolled: 1-line block ×3, first 2 shown]
	v_dual_lshrrev_b32 v10, 16, v12 :: v_dual_lshrrev_b32 v11, 16, v13
	v_and_b32_e32 v12, 0xffff, v12
	v_and_b32_e32 v13, 0xffff, v13
	v_pk_fma_f16 v0, v0, v28, v26
	v_pk_fma_f16 v1, v1, v28, v15
	v_mul_u32_u24_e32 v10, 0x10001, v10
	v_mul_u32_u24_e32 v12, 0x10001, v12
	v_mul_u32_u24_e32 v13, 0x10001, v13
	v_mul_u32_u24_e32 v11, 0x10001, v11
	s_delay_alu instid0(VALU_DEP_4) | instskip(NEXT) | instid1(VALU_DEP_4)
	v_pk_fma_f16 v5, v3, v10, v5
	v_pk_fma_f16 v15, v2, v12, v24
	;; [unrolled: 1-line block ×8, first 2 shown]
	ds_load_2addr_b64 v[0:3], v8 offset0:64 offset1:96
	ds_load_b128 v[10:13], v82 offset:208
	s_wait_dscnt 0x0
	v_dual_lshrrev_b32 v27, 16, v10 :: v_dual_lshrrev_b32 v28, 16, v11
	v_and_b32_e32 v10, 0xffff, v10
	v_and_b32_e32 v11, 0xffff, v11
	s_delay_alu instid0(VALU_DEP_3) | instskip(NEXT) | instid1(VALU_DEP_4)
	v_mul_u32_u24_e32 v27, 0x10001, v27
	v_mul_u32_u24_e32 v28, 0x10001, v28
	s_delay_alu instid0(VALU_DEP_4) | instskip(NEXT) | instid1(VALU_DEP_4)
	v_mul_u32_u24_e32 v10, 0x10001, v10
	v_mul_u32_u24_e32 v11, 0x10001, v11
	s_delay_alu instid0(VALU_DEP_4) | instskip(SKIP_1) | instid1(VALU_DEP_4)
	v_pk_fma_f16 v24, v0, v27, v24
	v_pk_fma_f16 v5, v1, v27, v5
	;; [unrolled: 1-line block ×3, first 2 shown]
	s_delay_alu instid0(VALU_DEP_4)
	v_pk_fma_f16 v14, v0, v11, v14
	v_pk_fma_f16 v4, v1, v10, v4
	v_pk_fma_f16 v9, v1, v11, v9
	v_dual_lshrrev_b32 v10, 16, v12 :: v_dual_lshrrev_b32 v11, 16, v13
	v_and_b32_e32 v12, 0xffff, v12
	v_and_b32_e32 v13, 0xffff, v13
	v_pk_fma_f16 v0, v0, v28, v25
	v_pk_fma_f16 v1, v1, v28, v26
	v_mul_u32_u24_e32 v10, 0x10001, v10
	v_mul_u32_u24_e32 v12, 0x10001, v12
	;; [unrolled: 1-line block ×4, first 2 shown]
	s_delay_alu instid0(VALU_DEP_4) | instskip(NEXT) | instid1(VALU_DEP_4)
	v_pk_fma_f16 v24, v2, v10, v24
	v_pk_fma_f16 v15, v2, v12, v15
	s_delay_alu instid0(VALU_DEP_4) | instskip(NEXT) | instid1(VALU_DEP_4)
	v_pk_fma_f16 v14, v2, v13, v14
	v_pk_fma_f16 v25, v2, v11, v0
	;; [unrolled: 1-line block ×6, first 2 shown]
	ds_load_2addr_b64 v[0:3], v8 offset0:128 offset1:160
	ds_load_b128 v[10:13], v82 offset:224
	s_wait_dscnt 0x0
	v_dual_lshrrev_b32 v27, 16, v10 :: v_dual_lshrrev_b32 v28, 16, v11
	v_and_b32_e32 v10, 0xffff, v10
	v_and_b32_e32 v11, 0xffff, v11
	s_delay_alu instid0(VALU_DEP_3) | instskip(NEXT) | instid1(VALU_DEP_4)
	v_mul_u32_u24_e32 v27, 0x10001, v27
	v_mul_u32_u24_e32 v28, 0x10001, v28
	s_delay_alu instid0(VALU_DEP_4) | instskip(NEXT) | instid1(VALU_DEP_4)
	v_mul_u32_u24_e32 v10, 0x10001, v10
	v_mul_u32_u24_e32 v11, 0x10001, v11
	s_delay_alu instid0(VALU_DEP_4) | instskip(SKIP_1) | instid1(VALU_DEP_4)
	v_pk_fma_f16 v24, v0, v27, v24
	v_pk_fma_f16 v5, v1, v27, v5
	;; [unrolled: 1-line block ×3, first 2 shown]
	s_delay_alu instid0(VALU_DEP_4)
	v_pk_fma_f16 v14, v0, v11, v14
	v_pk_fma_f16 v4, v1, v10, v4
	;; [unrolled: 1-line block ×3, first 2 shown]
	v_dual_lshrrev_b32 v10, 16, v12 :: v_dual_lshrrev_b32 v11, 16, v13
	v_and_b32_e32 v12, 0xffff, v12
	v_and_b32_e32 v13, 0xffff, v13
	v_pk_fma_f16 v0, v0, v28, v25
	v_pk_fma_f16 v1, v1, v28, v26
	v_mul_u32_u24_e32 v10, 0x10001, v10
	v_mul_u32_u24_e32 v12, 0x10001, v12
	;; [unrolled: 1-line block ×4, first 2 shown]
	s_delay_alu instid0(VALU_DEP_4) | instskip(NEXT) | instid1(VALU_DEP_4)
	v_pk_fma_f16 v24, v2, v10, v24
	v_pk_fma_f16 v15, v2, v12, v15
	s_delay_alu instid0(VALU_DEP_4) | instskip(NEXT) | instid1(VALU_DEP_4)
	v_pk_fma_f16 v14, v2, v13, v14
	v_pk_fma_f16 v25, v2, v11, v0
	;; [unrolled: 1-line block ×6, first 2 shown]
	ds_load_2addr_b64 v[0:3], v8 offset0:192 offset1:224
	ds_load_b128 v[10:13], v82 offset:240
	s_wait_dscnt 0x0
	v_dual_lshrrev_b32 v27, 16, v10 :: v_dual_lshrrev_b32 v28, 16, v11
	v_and_b32_e32 v10, 0xffff, v10
	v_and_b32_e32 v11, 0xffff, v11
	s_delay_alu instid0(VALU_DEP_3) | instskip(NEXT) | instid1(VALU_DEP_4)
	v_mul_u32_u24_e32 v27, 0x10001, v27
	v_mul_u32_u24_e32 v28, 0x10001, v28
	s_delay_alu instid0(VALU_DEP_4) | instskip(NEXT) | instid1(VALU_DEP_4)
	v_mul_u32_u24_e32 v10, 0x10001, v10
	v_mul_u32_u24_e32 v11, 0x10001, v11
	s_delay_alu instid0(VALU_DEP_4) | instskip(SKIP_1) | instid1(VALU_DEP_4)
	v_pk_fma_f16 v24, v0, v27, v24
	v_pk_fma_f16 v5, v1, v27, v5
	;; [unrolled: 1-line block ×3, first 2 shown]
	s_delay_alu instid0(VALU_DEP_4)
	v_pk_fma_f16 v14, v0, v11, v14
	v_pk_fma_f16 v4, v1, v10, v4
	;; [unrolled: 1-line block ×3, first 2 shown]
	v_dual_lshrrev_b32 v10, 16, v12 :: v_dual_lshrrev_b32 v11, 16, v13
	v_and_b32_e32 v13, 0xffff, v13
	v_and_b32_e32 v12, 0xffff, v12
	v_pk_fma_f16 v0, v0, v28, v25
	v_pk_fma_f16 v1, v1, v28, v26
	v_mul_u32_u24_e32 v10, 0x10001, v10
	v_mul_u32_u24_e32 v13, 0x10001, v13
	v_mul_u32_u24_e32 v12, 0x10001, v12
	v_mul_u32_u24_e32 v11, 0x10001, v11
	s_delay_alu instid0(VALU_DEP_4) | instskip(NEXT) | instid1(VALU_DEP_4)
	v_pk_fma_f16 v24, v2, v10, v24
	v_pk_fma_f16 v26, v3, v13, v9
	v_add_nc_u32_e32 v9, 0x2000, v79
	v_pk_fma_f16 v15, v2, v12, v15
	v_pk_fma_f16 v14, v2, v13, v14
	;; [unrolled: 1-line block ×6, first 2 shown]
	ds_load_2addr_b64 v[0:3], v9 offset1:32
	ds_load_b128 v[10:13], v82 offset:256
	s_wait_dscnt 0x0
	v_dual_lshrrev_b32 v28, 16, v10 :: v_dual_lshrrev_b32 v29, 16, v11
	v_and_b32_e32 v10, 0xffff, v10
	v_and_b32_e32 v11, 0xffff, v11
	s_delay_alu instid0(VALU_DEP_3) | instskip(NEXT) | instid1(VALU_DEP_4)
	v_mul_u32_u24_e32 v28, 0x10001, v28
	v_mul_u32_u24_e32 v29, 0x10001, v29
	s_delay_alu instid0(VALU_DEP_4) | instskip(NEXT) | instid1(VALU_DEP_4)
	v_mul_u32_u24_e32 v10, 0x10001, v10
	v_mul_u32_u24_e32 v11, 0x10001, v11
	s_delay_alu instid0(VALU_DEP_4) | instskip(SKIP_1) | instid1(VALU_DEP_4)
	v_pk_fma_f16 v24, v0, v28, v24
	v_pk_fma_f16 v5, v1, v28, v5
	v_pk_fma_f16 v15, v0, v10, v15
	s_delay_alu instid0(VALU_DEP_4)
	v_pk_fma_f16 v14, v0, v11, v14
	v_pk_fma_f16 v0, v0, v29, v25
	v_pk_fma_f16 v4, v1, v10, v4
	v_pk_fma_f16 v10, v1, v11, v26
	v_dual_lshrrev_b32 v11, 16, v12 :: v_dual_lshrrev_b32 v25, 16, v13
	v_and_b32_e32 v12, 0xffff, v12
	v_and_b32_e32 v13, 0xffff, v13
	v_pk_fma_f16 v1, v1, v29, v27
	s_delay_alu instid0(VALU_DEP_4) | instskip(SKIP_3) | instid1(VALU_DEP_4)
	v_mul_u32_u24_e32 v11, 0x10001, v11
	v_mul_u32_u24_e32 v25, 0x10001, v25
	v_mul_u32_u24_e32 v12, 0x10001, v12
	v_mul_u32_u24_e32 v13, 0x10001, v13
	v_pk_fma_f16 v24, v2, v11, v24
	s_delay_alu instid0(VALU_DEP_4) | instskip(NEXT) | instid1(VALU_DEP_4)
	v_pk_fma_f16 v26, v2, v25, v0
	v_pk_fma_f16 v15, v2, v12, v15
	s_delay_alu instid0(VALU_DEP_4)
	v_pk_fma_f16 v14, v2, v13, v14
	v_pk_fma_f16 v4, v3, v12, v4
	v_pk_fma_f16 v5, v3, v11, v5
	v_pk_fma_f16 v27, v3, v13, v10
	v_pk_fma_f16 v25, v3, v25, v1
	ds_load_2addr_b64 v[0:3], v9 offset0:64 offset1:96
	ds_load_b128 v[10:13], v82 offset:272
	s_wait_dscnt 0x0
	v_dual_lshrrev_b32 v28, 16, v10 :: v_dual_lshrrev_b32 v29, 16, v11
	v_and_b32_e32 v10, 0xffff, v10
	v_and_b32_e32 v11, 0xffff, v11
	s_delay_alu instid0(VALU_DEP_3) | instskip(NEXT) | instid1(VALU_DEP_4)
	v_mul_u32_u24_e32 v28, 0x10001, v28
	v_mul_u32_u24_e32 v29, 0x10001, v29
	s_delay_alu instid0(VALU_DEP_4) | instskip(NEXT) | instid1(VALU_DEP_4)
	v_mul_u32_u24_e32 v10, 0x10001, v10
	v_mul_u32_u24_e32 v11, 0x10001, v11
	s_delay_alu instid0(VALU_DEP_4) | instskip(SKIP_1) | instid1(VALU_DEP_4)
	v_pk_fma_f16 v5, v1, v28, v5
	v_pk_fma_f16 v24, v0, v28, v24
	v_pk_fma_f16 v15, v0, v10, v15
	s_delay_alu instid0(VALU_DEP_4)
	v_pk_fma_f16 v14, v0, v11, v14
	v_pk_fma_f16 v4, v1, v10, v4
	v_pk_fma_f16 v10, v1, v11, v27
	v_pk_fma_f16 v1, v1, v29, v25
	v_dual_lshrrev_b32 v11, 16, v12 :: v_dual_lshrrev_b32 v25, 16, v13
	v_and_b32_e32 v12, 0xffff, v12
	v_and_b32_e32 v13, 0xffff, v13
	v_pk_fma_f16 v0, v0, v29, v26
	s_delay_alu instid0(VALU_DEP_4) | instskip(SKIP_3) | instid1(VALU_DEP_4)
	v_mul_u32_u24_e32 v11, 0x10001, v11
	v_mul_u32_u24_e32 v25, 0x10001, v25
	v_mul_u32_u24_e32 v12, 0x10001, v12
	v_mul_u32_u24_e32 v13, 0x10001, v13
	v_pk_fma_f16 v24, v2, v11, v24
	s_delay_alu instid0(VALU_DEP_4) | instskip(NEXT) | instid1(VALU_DEP_4)
	v_pk_fma_f16 v26, v2, v25, v0
	v_pk_fma_f16 v15, v2, v12, v15
	s_delay_alu instid0(VALU_DEP_4)
	v_pk_fma_f16 v14, v2, v13, v14
	v_pk_fma_f16 v4, v3, v12, v4
	v_pk_fma_f16 v5, v3, v11, v5
	v_pk_fma_f16 v27, v3, v13, v10
	v_pk_fma_f16 v25, v3, v25, v1
	ds_load_2addr_b64 v[0:3], v9 offset0:128 offset1:160
	;; [unrolled: 40-line block ×3, first 2 shown]
	ds_load_b128 v[10:13], v82 offset:304
	s_wait_dscnt 0x0
	v_dual_lshrrev_b32 v28, 16, v10 :: v_dual_lshrrev_b32 v29, 16, v11
	v_and_b32_e32 v10, 0xffff, v10
	v_and_b32_e32 v11, 0xffff, v11
	s_delay_alu instid0(VALU_DEP_3) | instskip(NEXT) | instid1(VALU_DEP_4)
	v_mul_u32_u24_e32 v28, 0x10001, v28
	v_mul_u32_u24_e32 v29, 0x10001, v29
	s_delay_alu instid0(VALU_DEP_4) | instskip(NEXT) | instid1(VALU_DEP_4)
	v_mul_u32_u24_e32 v10, 0x10001, v10
	v_mul_u32_u24_e32 v11, 0x10001, v11
	s_delay_alu instid0(VALU_DEP_4) | instskip(SKIP_1) | instid1(VALU_DEP_4)
	v_pk_fma_f16 v5, v1, v28, v5
	v_pk_fma_f16 v24, v0, v28, v24
	;; [unrolled: 1-line block ×3, first 2 shown]
	s_delay_alu instid0(VALU_DEP_4)
	v_pk_fma_f16 v14, v0, v11, v14
	v_pk_fma_f16 v4, v1, v10, v4
	;; [unrolled: 1-line block ×4, first 2 shown]
	v_dual_lshrrev_b32 v11, 16, v12 :: v_dual_lshrrev_b32 v25, 16, v13
	v_and_b32_e32 v13, 0xffff, v13
	v_and_b32_e32 v12, 0xffff, v12
	v_pk_fma_f16 v0, v0, v29, v26
	s_delay_alu instid0(VALU_DEP_4) | instskip(SKIP_3) | instid1(VALU_DEP_4)
	v_mul_u32_u24_e32 v11, 0x10001, v11
	v_mul_u32_u24_e32 v25, 0x10001, v25
	;; [unrolled: 1-line block ×4, first 2 shown]
	v_pk_fma_f16 v24, v2, v11, v24
	v_pk_fma_f16 v5, v3, v11, v5
	s_delay_alu instid0(VALU_DEP_4)
	v_pk_fma_f16 v11, v3, v13, v10
	v_add_nc_u32_e32 v10, 0x2800, v79
	v_pk_fma_f16 v26, v2, v12, v15
	v_pk_fma_f16 v27, v2, v13, v14
	;; [unrolled: 1-line block ×5, first 2 shown]
	ds_load_2addr_b64 v[0:3], v10 offset1:32
	ds_load_b128 v[12:15], v82 offset:320
	s_wait_dscnt 0x0
	v_dual_lshrrev_b32 v29, 16, v12 :: v_dual_lshrrev_b32 v30, 16, v13
	v_and_b32_e32 v12, 0xffff, v12
	v_and_b32_e32 v13, 0xffff, v13
	s_delay_alu instid0(VALU_DEP_3) | instskip(NEXT) | instid1(VALU_DEP_4)
	v_mul_u32_u24_e32 v29, 0x10001, v29
	v_mul_u32_u24_e32 v30, 0x10001, v30
	s_delay_alu instid0(VALU_DEP_4) | instskip(NEXT) | instid1(VALU_DEP_4)
	v_mul_u32_u24_e32 v12, 0x10001, v12
	v_mul_u32_u24_e32 v13, 0x10001, v13
	s_delay_alu instid0(VALU_DEP_4) | instskip(SKIP_1) | instid1(VALU_DEP_4)
	v_pk_fma_f16 v24, v0, v29, v24
	v_pk_fma_f16 v5, v1, v29, v5
	v_pk_fma_f16 v26, v0, v12, v26
	s_delay_alu instid0(VALU_DEP_4)
	v_pk_fma_f16 v27, v0, v13, v27
	v_pk_fma_f16 v4, v1, v12, v4
	v_pk_fma_f16 v11, v1, v13, v11
	v_dual_lshrrev_b32 v12, 16, v14 :: v_dual_lshrrev_b32 v13, 16, v15
	v_and_b32_e32 v14, 0xffff, v14
	v_and_b32_e32 v15, 0xffff, v15
	v_pk_fma_f16 v0, v0, v30, v28
	v_pk_fma_f16 v1, v1, v30, v25
	v_mul_u32_u24_e32 v12, 0x10001, v12
	v_mul_u32_u24_e32 v14, 0x10001, v14
	v_mul_u32_u24_e32 v15, 0x10001, v15
	v_mul_u32_u24_e32 v13, 0x10001, v13
	s_delay_alu instid0(VALU_DEP_4) | instskip(NEXT) | instid1(VALU_DEP_4)
	v_pk_fma_f16 v24, v2, v12, v24
	v_pk_fma_f16 v25, v2, v14, v26
	s_delay_alu instid0(VALU_DEP_4) | instskip(NEXT) | instid1(VALU_DEP_4)
	v_pk_fma_f16 v26, v2, v15, v27
	v_pk_fma_f16 v27, v2, v13, v0
	v_pk_fma_f16 v4, v3, v14, v4
	v_pk_fma_f16 v5, v3, v12, v5
	v_pk_fma_f16 v11, v3, v15, v11
	v_pk_fma_f16 v28, v3, v13, v1
	ds_load_2addr_b64 v[0:3], v10 offset0:64 offset1:96
	ds_load_b128 v[12:15], v82 offset:336
	s_wait_dscnt 0x0
	v_dual_lshrrev_b32 v29, 16, v12 :: v_dual_lshrrev_b32 v30, 16, v13
	v_and_b32_e32 v12, 0xffff, v12
	v_and_b32_e32 v13, 0xffff, v13
	s_delay_alu instid0(VALU_DEP_3) | instskip(NEXT) | instid1(VALU_DEP_4)
	v_mul_u32_u24_e32 v29, 0x10001, v29
	v_mul_u32_u24_e32 v30, 0x10001, v30
	s_delay_alu instid0(VALU_DEP_4) | instskip(NEXT) | instid1(VALU_DEP_4)
	v_mul_u32_u24_e32 v12, 0x10001, v12
	v_mul_u32_u24_e32 v13, 0x10001, v13
	s_delay_alu instid0(VALU_DEP_4) | instskip(SKIP_1) | instid1(VALU_DEP_4)
	v_pk_fma_f16 v24, v0, v29, v24
	v_pk_fma_f16 v5, v1, v29, v5
	v_pk_fma_f16 v25, v0, v12, v25
	s_delay_alu instid0(VALU_DEP_4)
	v_pk_fma_f16 v26, v0, v13, v26
	v_pk_fma_f16 v4, v1, v12, v4
	v_pk_fma_f16 v11, v1, v13, v11
	v_dual_lshrrev_b32 v12, 16, v14 :: v_dual_lshrrev_b32 v13, 16, v15
	v_and_b32_e32 v14, 0xffff, v14
	v_and_b32_e32 v15, 0xffff, v15
	v_pk_fma_f16 v0, v0, v30, v27
	v_pk_fma_f16 v1, v1, v30, v28
	v_mul_u32_u24_e32 v12, 0x10001, v12
	v_mul_u32_u24_e32 v14, 0x10001, v14
	v_mul_u32_u24_e32 v15, 0x10001, v15
	v_mul_u32_u24_e32 v13, 0x10001, v13
	s_delay_alu instid0(VALU_DEP_4) | instskip(NEXT) | instid1(VALU_DEP_4)
	v_pk_fma_f16 v24, v2, v12, v24
	v_pk_fma_f16 v25, v2, v14, v25
	s_delay_alu instid0(VALU_DEP_4) | instskip(NEXT) | instid1(VALU_DEP_4)
	v_pk_fma_f16 v26, v2, v15, v26
	v_pk_fma_f16 v27, v2, v13, v0
	v_pk_fma_f16 v4, v3, v14, v4
	v_pk_fma_f16 v5, v3, v12, v5
	v_pk_fma_f16 v11, v3, v15, v11
	v_pk_fma_f16 v28, v3, v13, v1
	ds_load_2addr_b64 v[0:3], v10 offset0:128 offset1:160
	;; [unrolled: 39-line block ×3, first 2 shown]
	ds_load_b128 v[12:15], v82 offset:368
	s_wait_dscnt 0x0
	v_dual_lshrrev_b32 v29, 16, v12 :: v_dual_lshrrev_b32 v30, 16, v13
	v_and_b32_e32 v12, 0xffff, v12
	v_and_b32_e32 v13, 0xffff, v13
	s_delay_alu instid0(VALU_DEP_3) | instskip(NEXT) | instid1(VALU_DEP_4)
	v_mul_u32_u24_e32 v29, 0x10001, v29
	v_mul_u32_u24_e32 v30, 0x10001, v30
	s_delay_alu instid0(VALU_DEP_4) | instskip(NEXT) | instid1(VALU_DEP_4)
	v_mul_u32_u24_e32 v12, 0x10001, v12
	v_mul_u32_u24_e32 v13, 0x10001, v13
	s_delay_alu instid0(VALU_DEP_4) | instskip(SKIP_1) | instid1(VALU_DEP_4)
	v_pk_fma_f16 v5, v1, v29, v5
	v_pk_fma_f16 v24, v0, v29, v24
	v_pk_fma_f16 v25, v0, v12, v25
	v_pk_fma_f16 v4, v1, v12, v4
	v_lshrrev_b32_e32 v12, 16, v14
	v_pk_fma_f16 v26, v0, v13, v26
	v_pk_fma_f16 v11, v1, v13, v11
	v_lshrrev_b32_e32 v13, 16, v15
	v_and_b32_e32 v14, 0xffff, v14
	v_mul_u32_u24_e32 v12, 0x10001, v12
	v_and_b32_e32 v15, 0xffff, v15
	v_pk_fma_f16 v0, v0, v30, v27
	v_pk_fma_f16 v1, v1, v30, v28
	v_mul_u32_u24_e32 v14, 0x10001, v14
	v_mul_u32_u24_e32 v13, 0x10001, v13
	;; [unrolled: 1-line block ×3, first 2 shown]
	v_pk_fma_f16 v28, v3, v12, v5
	v_add_nc_u32_e32 v5, 0x3000, v79
	v_pk_fma_f16 v25, v2, v14, v25
	v_pk_fma_f16 v24, v2, v12, v24
	;; [unrolled: 1-line block ×7, first 2 shown]
	ds_load_2addr_b64 v[0:3], v5 offset1:32
	ds_load_b128 v[12:15], v82 offset:384
	s_wait_dscnt 0x0
	v_dual_lshrrev_b32 v30, 16, v12 :: v_dual_lshrrev_b32 v31, 16, v13
	v_and_b32_e32 v12, 0xffff, v12
	v_and_b32_e32 v13, 0xffff, v13
	s_delay_alu instid0(VALU_DEP_3) | instskip(NEXT) | instid1(VALU_DEP_4)
	v_mul_u32_u24_e32 v30, 0x10001, v30
	v_mul_u32_u24_e32 v31, 0x10001, v31
	s_delay_alu instid0(VALU_DEP_4) | instskip(NEXT) | instid1(VALU_DEP_4)
	v_mul_u32_u24_e32 v12, 0x10001, v12
	v_mul_u32_u24_e32 v13, 0x10001, v13
	s_delay_alu instid0(VALU_DEP_4) | instskip(NEXT) | instid1(VALU_DEP_3)
	v_pk_fma_f16 v24, v0, v30, v24
	v_pk_fma_f16 v25, v0, v12, v25
	s_delay_alu instid0(VALU_DEP_3)
	v_pk_fma_f16 v26, v0, v13, v26
	v_pk_fma_f16 v0, v0, v31, v27
	;; [unrolled: 1-line block ×3, first 2 shown]
	v_dual_lshrrev_b32 v13, 16, v14 :: v_dual_lshrrev_b32 v27, 16, v15
	v_and_b32_e32 v14, 0xffff, v14
	v_and_b32_e32 v15, 0xffff, v15
	v_pk_fma_f16 v4, v1, v12, v4
	v_pk_fma_f16 v12, v1, v30, v28
	v_pk_fma_f16 v1, v1, v31, v29
	v_mul_u32_u24_e32 v14, 0x10001, v14
	v_mul_u32_u24_e32 v13, 0x10001, v13
	;; [unrolled: 1-line block ×4, first 2 shown]
	s_delay_alu instid0(VALU_DEP_4) | instskip(NEXT) | instid1(VALU_DEP_4)
	v_pk_fma_f16 v25, v2, v14, v25
	v_pk_fma_f16 v24, v2, v13, v24
	s_delay_alu instid0(VALU_DEP_4) | instskip(NEXT) | instid1(VALU_DEP_4)
	v_pk_fma_f16 v26, v2, v15, v26
	v_pk_fma_f16 v28, v2, v27, v0
	;; [unrolled: 1-line block ×6, first 2 shown]
	ds_load_2addr_b64 v[0:3], v5 offset0:64 offset1:96
	ds_load_b128 v[12:15], v82 offset:400
	s_wait_dscnt 0x0
	v_dual_lshrrev_b32 v30, 16, v12 :: v_dual_lshrrev_b32 v31, 16, v13
	v_and_b32_e32 v12, 0xffff, v12
	v_and_b32_e32 v13, 0xffff, v13
	s_delay_alu instid0(VALU_DEP_3) | instskip(NEXT) | instid1(VALU_DEP_4)
	v_mul_u32_u24_e32 v30, 0x10001, v30
	v_mul_u32_u24_e32 v31, 0x10001, v31
	s_delay_alu instid0(VALU_DEP_4) | instskip(NEXT) | instid1(VALU_DEP_4)
	v_mul_u32_u24_e32 v12, 0x10001, v12
	v_mul_u32_u24_e32 v13, 0x10001, v13
	s_delay_alu instid0(VALU_DEP_4) | instskip(NEXT) | instid1(VALU_DEP_3)
	v_pk_fma_f16 v24, v0, v30, v24
	v_pk_fma_f16 v25, v0, v12, v25
	s_delay_alu instid0(VALU_DEP_3)
	v_pk_fma_f16 v26, v0, v13, v26
	v_pk_fma_f16 v4, v1, v12, v4
	;; [unrolled: 1-line block ×5, first 2 shown]
	v_dual_lshrrev_b32 v13, 16, v14 :: v_dual_lshrrev_b32 v27, 16, v15
	v_and_b32_e32 v14, 0xffff, v14
	v_and_b32_e32 v15, 0xffff, v15
	v_pk_fma_f16 v0, v0, v31, v28
	s_delay_alu instid0(VALU_DEP_4) | instskip(SKIP_3) | instid1(VALU_DEP_4)
	v_mul_u32_u24_e32 v13, 0x10001, v13
	v_mul_u32_u24_e32 v27, 0x10001, v27
	;; [unrolled: 1-line block ×4, first 2 shown]
	v_pk_fma_f16 v24, v2, v13, v24
	s_delay_alu instid0(VALU_DEP_4) | instskip(NEXT) | instid1(VALU_DEP_4)
	v_pk_fma_f16 v28, v2, v27, v0
	v_pk_fma_f16 v25, v2, v14, v25
	s_delay_alu instid0(VALU_DEP_4)
	v_pk_fma_f16 v26, v2, v15, v26
	v_pk_fma_f16 v4, v3, v14, v4
	;; [unrolled: 1-line block ×5, first 2 shown]
	ds_load_2addr_b64 v[0:3], v5 offset0:128 offset1:160
	ds_load_b128 v[12:15], v82 offset:416
	s_wait_dscnt 0x0
	v_dual_lshrrev_b32 v30, 16, v12 :: v_dual_lshrrev_b32 v31, 16, v13
	v_and_b32_e32 v12, 0xffff, v12
	v_and_b32_e32 v13, 0xffff, v13
	s_delay_alu instid0(VALU_DEP_3) | instskip(NEXT) | instid1(VALU_DEP_4)
	v_mul_u32_u24_e32 v30, 0x10001, v30
	v_mul_u32_u24_e32 v31, 0x10001, v31
	s_delay_alu instid0(VALU_DEP_4) | instskip(NEXT) | instid1(VALU_DEP_4)
	v_mul_u32_u24_e32 v12, 0x10001, v12
	v_mul_u32_u24_e32 v13, 0x10001, v13
	s_delay_alu instid0(VALU_DEP_4) | instskip(NEXT) | instid1(VALU_DEP_3)
	v_pk_fma_f16 v24, v0, v30, v24
	v_pk_fma_f16 v25, v0, v12, v25
	s_delay_alu instid0(VALU_DEP_3)
	v_pk_fma_f16 v26, v0, v13, v26
	v_pk_fma_f16 v4, v1, v12, v4
	;; [unrolled: 1-line block ×5, first 2 shown]
	v_dual_lshrrev_b32 v13, 16, v14 :: v_dual_lshrrev_b32 v27, 16, v15
	v_and_b32_e32 v14, 0xffff, v14
	v_and_b32_e32 v15, 0xffff, v15
	v_pk_fma_f16 v0, v0, v31, v28
	s_delay_alu instid0(VALU_DEP_4) | instskip(SKIP_3) | instid1(VALU_DEP_4)
	v_mul_u32_u24_e32 v13, 0x10001, v13
	v_mul_u32_u24_e32 v27, 0x10001, v27
	;; [unrolled: 1-line block ×4, first 2 shown]
	v_pk_fma_f16 v24, v2, v13, v24
	s_delay_alu instid0(VALU_DEP_4) | instskip(NEXT) | instid1(VALU_DEP_4)
	v_pk_fma_f16 v28, v2, v27, v0
	v_pk_fma_f16 v25, v2, v14, v25
	s_delay_alu instid0(VALU_DEP_4)
	v_pk_fma_f16 v26, v2, v15, v26
	v_pk_fma_f16 v4, v3, v14, v4
	;; [unrolled: 1-line block ×5, first 2 shown]
	ds_load_2addr_b64 v[0:3], v5 offset0:192 offset1:224
	ds_load_b128 v[12:15], v82 offset:432
	s_wait_dscnt 0x0
	v_dual_lshrrev_b32 v30, 16, v12 :: v_dual_lshrrev_b32 v31, 16, v13
	v_and_b32_e32 v13, 0xffff, v13
	v_and_b32_e32 v12, 0xffff, v12
	s_delay_alu instid0(VALU_DEP_3) | instskip(NEXT) | instid1(VALU_DEP_4)
	v_mul_u32_u24_e32 v30, 0x10001, v30
	v_mul_u32_u24_e32 v31, 0x10001, v31
	s_delay_alu instid0(VALU_DEP_4) | instskip(NEXT) | instid1(VALU_DEP_4)
	v_mul_u32_u24_e32 v13, 0x10001, v13
	v_mul_u32_u24_e32 v12, 0x10001, v12
	s_delay_alu instid0(VALU_DEP_4) | instskip(NEXT) | instid1(VALU_DEP_3)
	v_pk_fma_f16 v24, v0, v30, v24
	v_pk_fma_f16 v26, v0, v13, v26
	;; [unrolled: 1-line block ×3, first 2 shown]
	v_lshrrev_b32_e32 v13, 16, v14
	v_and_b32_e32 v14, 0xffff, v14
	v_pk_fma_f16 v25, v0, v12, v25
	v_pk_fma_f16 v4, v1, v12, v4
	;; [unrolled: 1-line block ×4, first 2 shown]
	v_lshrrev_b32_e32 v27, 16, v15
	v_mul_u32_u24_e32 v14, 0x10001, v14
	v_and_b32_e32 v15, 0xffff, v15
	v_pk_fma_f16 v0, v0, v31, v28
	v_mul_u32_u24_e32 v13, 0x10001, v13
	v_mul_u32_u24_e32 v27, 0x10001, v27
	v_pk_fma_f16 v29, v3, v14, v4
	v_mul_u32_u24_e32 v15, 0x10001, v15
	v_add_nc_u32_e32 v4, 0x3800, v79
	v_pk_fma_f16 v25, v2, v14, v25
	v_pk_fma_f16 v24, v2, v13, v24
	;; [unrolled: 1-line block ×7, first 2 shown]
	ds_load_2addr_b64 v[0:3], v4 offset1:32
	ds_load_b128 v[12:15], v82 offset:448
	s_wait_dscnt 0x0
	v_dual_lshrrev_b32 v31, 16, v12 :: v_dual_lshrrev_b32 v32, 16, v13
	v_and_b32_e32 v12, 0xffff, v12
	v_and_b32_e32 v13, 0xffff, v13
	s_delay_alu instid0(VALU_DEP_3) | instskip(NEXT) | instid1(VALU_DEP_4)
	v_mul_u32_u24_e32 v31, 0x10001, v31
	v_mul_u32_u24_e32 v32, 0x10001, v32
	s_delay_alu instid0(VALU_DEP_4) | instskip(NEXT) | instid1(VALU_DEP_4)
	v_mul_u32_u24_e32 v12, 0x10001, v12
	v_mul_u32_u24_e32 v13, 0x10001, v13
	s_delay_alu instid0(VALU_DEP_4) | instskip(NEXT) | instid1(VALU_DEP_3)
	v_pk_fma_f16 v24, v0, v31, v24
	v_pk_fma_f16 v25, v0, v12, v25
	s_delay_alu instid0(VALU_DEP_3)
	v_pk_fma_f16 v26, v0, v13, v26
	v_pk_fma_f16 v0, v0, v32, v28
	;; [unrolled: 1-line block ×6, first 2 shown]
	v_dual_lshrrev_b32 v13, 16, v14 :: v_dual_lshrrev_b32 v27, 16, v15
	v_and_b32_e32 v14, 0xffff, v14
	v_and_b32_e32 v15, 0xffff, v15
	s_delay_alu instid0(VALU_DEP_3) | instskip(NEXT) | instid1(VALU_DEP_4)
	v_mul_u32_u24_e32 v13, 0x10001, v13
	v_mul_u32_u24_e32 v27, 0x10001, v27
	s_delay_alu instid0(VALU_DEP_4) | instskip(NEXT) | instid1(VALU_DEP_4)
	v_mul_u32_u24_e32 v14, 0x10001, v14
	v_mul_u32_u24_e32 v15, 0x10001, v15
	s_delay_alu instid0(VALU_DEP_4) | instskip(NEXT) | instid1(VALU_DEP_4)
	v_pk_fma_f16 v24, v2, v13, v24
	v_pk_fma_f16 v29, v2, v27, v0
	s_delay_alu instid0(VALU_DEP_4) | instskip(NEXT) | instid1(VALU_DEP_4)
	v_pk_fma_f16 v25, v2, v14, v25
	v_pk_fma_f16 v26, v2, v15, v26
	;; [unrolled: 1-line block ×6, first 2 shown]
	ds_load_2addr_b64 v[0:3], v4 offset0:64 offset1:96
	ds_load_b128 v[12:15], v82 offset:464
	s_wait_dscnt 0x0
	v_dual_lshrrev_b32 v31, 16, v12 :: v_dual_lshrrev_b32 v32, 16, v13
	v_and_b32_e32 v12, 0xffff, v12
	v_and_b32_e32 v13, 0xffff, v13
	s_delay_alu instid0(VALU_DEP_3) | instskip(NEXT) | instid1(VALU_DEP_4)
	v_mul_u32_u24_e32 v31, 0x10001, v31
	v_mul_u32_u24_e32 v32, 0x10001, v32
	s_delay_alu instid0(VALU_DEP_4) | instskip(NEXT) | instid1(VALU_DEP_4)
	v_mul_u32_u24_e32 v12, 0x10001, v12
	v_mul_u32_u24_e32 v13, 0x10001, v13
	s_delay_alu instid0(VALU_DEP_4) | instskip(SKIP_1) | instid1(VALU_DEP_4)
	v_pk_fma_f16 v28, v1, v31, v28
	v_pk_fma_f16 v24, v0, v31, v24
	;; [unrolled: 1-line block ×3, first 2 shown]
	s_delay_alu instid0(VALU_DEP_4)
	v_pk_fma_f16 v26, v0, v13, v26
	v_pk_fma_f16 v12, v1, v12, v30
	;; [unrolled: 1-line block ×4, first 2 shown]
	v_dual_lshrrev_b32 v13, 16, v14 :: v_dual_lshrrev_b32 v27, 16, v15
	v_and_b32_e32 v14, 0xffff, v14
	v_and_b32_e32 v15, 0xffff, v15
	v_pk_fma_f16 v0, v0, v32, v29
	s_delay_alu instid0(VALU_DEP_4) | instskip(SKIP_3) | instid1(VALU_DEP_4)
	v_mul_u32_u24_e32 v13, 0x10001, v13
	v_mul_u32_u24_e32 v27, 0x10001, v27
	;; [unrolled: 1-line block ×4, first 2 shown]
	v_pk_fma_f16 v24, v2, v13, v24
	s_delay_alu instid0(VALU_DEP_4) | instskip(NEXT) | instid1(VALU_DEP_4)
	v_pk_fma_f16 v29, v2, v27, v0
	v_pk_fma_f16 v25, v2, v14, v25
	s_delay_alu instid0(VALU_DEP_4)
	v_pk_fma_f16 v26, v2, v15, v26
	v_pk_fma_f16 v30, v3, v14, v12
	;; [unrolled: 1-line block ×5, first 2 shown]
	ds_load_2addr_b64 v[0:3], v4 offset0:128 offset1:160
	ds_load_b128 v[12:15], v82 offset:480
	s_wait_dscnt 0x0
	v_dual_lshrrev_b32 v31, 16, v12 :: v_dual_lshrrev_b32 v32, 16, v13
	v_and_b32_e32 v12, 0xffff, v12
	v_and_b32_e32 v13, 0xffff, v13
	s_delay_alu instid0(VALU_DEP_3) | instskip(NEXT) | instid1(VALU_DEP_4)
	v_mul_u32_u24_e32 v31, 0x10001, v31
	v_mul_u32_u24_e32 v32, 0x10001, v32
	s_delay_alu instid0(VALU_DEP_4) | instskip(NEXT) | instid1(VALU_DEP_4)
	v_mul_u32_u24_e32 v12, 0x10001, v12
	v_mul_u32_u24_e32 v13, 0x10001, v13
	s_delay_alu instid0(VALU_DEP_4) | instskip(SKIP_1) | instid1(VALU_DEP_4)
	v_pk_fma_f16 v28, v1, v31, v28
	v_pk_fma_f16 v24, v0, v31, v24
	;; [unrolled: 1-line block ×3, first 2 shown]
	s_delay_alu instid0(VALU_DEP_4)
	v_pk_fma_f16 v26, v0, v13, v26
	v_pk_fma_f16 v12, v1, v12, v30
	;; [unrolled: 1-line block ×4, first 2 shown]
	v_dual_lshrrev_b32 v13, 16, v14 :: v_dual_lshrrev_b32 v27, 16, v15
	v_and_b32_e32 v14, 0xffff, v14
	v_and_b32_e32 v15, 0xffff, v15
	v_pk_fma_f16 v0, v0, v32, v29
	s_delay_alu instid0(VALU_DEP_4) | instskip(SKIP_3) | instid1(VALU_DEP_4)
	v_mul_u32_u24_e32 v13, 0x10001, v13
	v_mul_u32_u24_e32 v27, 0x10001, v27
	;; [unrolled: 1-line block ×4, first 2 shown]
	v_pk_fma_f16 v24, v2, v13, v24
	s_delay_alu instid0(VALU_DEP_4) | instskip(NEXT) | instid1(VALU_DEP_4)
	v_pk_fma_f16 v29, v2, v27, v0
	v_pk_fma_f16 v25, v2, v14, v25
	s_delay_alu instid0(VALU_DEP_4)
	v_pk_fma_f16 v26, v2, v15, v26
	v_pk_fma_f16 v30, v3, v14, v12
	;; [unrolled: 1-line block ×5, first 2 shown]
	ds_load_2addr_b64 v[0:3], v4 offset0:192 offset1:224
	ds_load_b128 v[12:15], v82 offset:496
	s_wait_dscnt 0x0
	s_barrier_signal -1
	s_barrier_wait -1
	v_dual_lshrrev_b32 v31, 16, v12 :: v_dual_lshrrev_b32 v32, 16, v13
	v_and_b32_e32 v12, 0xffff, v12
	v_and_b32_e32 v13, 0xffff, v13
	s_delay_alu instid0(VALU_DEP_3) | instskip(NEXT) | instid1(VALU_DEP_4)
	v_mul_u32_u24_e32 v31, 0x10001, v31
	v_mul_u32_u24_e32 v32, 0x10001, v32
	s_delay_alu instid0(VALU_DEP_4) | instskip(NEXT) | instid1(VALU_DEP_4)
	v_mul_u32_u24_e32 v12, 0x10001, v12
	v_mul_u32_u24_e32 v13, 0x10001, v13
	s_delay_alu instid0(VALU_DEP_4) | instskip(SKIP_1) | instid1(VALU_DEP_4)
	v_pk_fma_f16 v24, v0, v31, v24
	v_pk_fma_f16 v28, v1, v31, v28
	v_pk_fma_f16 v25, v0, v12, v25
	s_delay_alu instid0(VALU_DEP_4)
	v_pk_fma_f16 v26, v0, v13, v26
	v_pk_fma_f16 v0, v0, v32, v29
	v_pk_fma_f16 v29, v1, v12, v30
	v_pk_fma_f16 v30, v1, v13, v11
	v_dual_lshrrev_b32 v11, 16, v14 :: v_dual_lshrrev_b32 v12, 16, v15
	v_pk_fma_f16 v1, v1, v32, v27
	v_and_b32_e32 v13, 0xffff, v14
	s_delay_alu instid0(VALU_DEP_3) | instskip(SKIP_2) | instid1(VALU_DEP_4)
	v_mul_u32_u24_e32 v31, 0x10001, v11
	v_and_b32_e32 v11, 0xffff, v15
	v_mul_u32_u24_e32 v33, 0x10001, v12
	v_mul_u32_u24_e32 v27, 0x10001, v13
	s_delay_alu instid0(VALU_DEP_4) | instskip(NEXT) | instid1(VALU_DEP_4)
	v_pk_fma_f16 v12, v2, v31, v24
	v_mul_u32_u24_e32 v32, 0x10001, v11
	s_delay_alu instid0(VALU_DEP_4) | instskip(NEXT) | instid1(VALU_DEP_4)
	v_pk_fma_f16 v14, v2, v33, v0
	v_pk_fma_f16 v11, v2, v27, v25
	;; [unrolled: 1-line block ×6, first 2 shown]
	v_add_nc_u64_e32 v[0:1], s[38:39], v[60:61]
	v_pk_fma_f16 v25, v3, v32, v30
	s_delay_alu instid0(VALU_DEP_2) | instskip(SKIP_4) | instid1(VALU_DEP_1)
	v_add_nc_u64_e32 v[0:1], v[0:1], v[50:51]
	global_load_b128 v[0:3], v[0:1], off
	s_wait_loadcnt 0x0
	ds_store_b128 v88, v[0:3]
	v_add_nc_u64_e32 v[0:1], s[38:39], v[64:65]
	v_add_nc_u64_e32 v[0:1], v[0:1], v[50:51]
	global_load_b128 v[0:3], v[0:1], off
	s_wait_loadcnt 0x0
	ds_store_b128 v92, v[0:3]
	v_add_nc_u64_e32 v[0:1], s[38:39], v[66:67]
	s_delay_alu instid0(VALU_DEP_1) | instskip(SKIP_4) | instid1(VALU_DEP_1)
	v_add_nc_u64_e32 v[0:1], v[0:1], v[50:51]
	global_load_b128 v[0:3], v[0:1], off
	s_wait_loadcnt 0x0
	ds_store_b128 v93, v[0:3]
	v_add_nc_u64_e32 v[0:1], s[38:39], v[68:69]
	v_add_nc_u64_e32 v[0:1], v[0:1], v[50:51]
	global_load_b128 v[0:3], v[0:1], off
	s_wait_loadcnt 0x0
	ds_store_b128 v94, v[0:3]
	s_wait_dscnt 0x0
	s_barrier_signal -1
	s_barrier_wait -1
	ds_load_2addr_b64 v[28:31], v79 offset1:32
	ds_load_b128 v[32:35], v82 offset:512
	ds_load_b128 v[98:101], v82 offset:528
	;; [unrolled: 1-line block ×4, first 2 shown]
	s_wait_dscnt 0x3
	v_dual_lshrrev_b32 v27, 16, v32 :: v_dual_lshrrev_b32 v84, 16, v33
	v_and_b32_e32 v32, 0xffff, v32
	v_and_b32_e32 v33, 0xffff, v33
	s_delay_alu instid0(VALU_DEP_3) | instskip(NEXT) | instid1(VALU_DEP_4)
	v_mul_u32_u24_e32 v27, 0x10001, v27
	v_mul_u32_u24_e32 v84, 0x10001, v84
	s_delay_alu instid0(VALU_DEP_4) | instskip(NEXT) | instid1(VALU_DEP_4)
	v_mul_u32_u24_e32 v32, 0x10001, v32
	v_mul_u32_u24_e32 v33, 0x10001, v33
	s_delay_alu instid0(VALU_DEP_4) | instskip(NEXT) | instid1(VALU_DEP_4)
	v_pk_fma_f16 v12, v28, v27, v12
	v_pk_fma_f16 v14, v28, v84, v14
	s_delay_alu instid0(VALU_DEP_4) | instskip(NEXT) | instid1(VALU_DEP_4)
	v_pk_fma_f16 v11, v28, v32, v11
	v_pk_fma_f16 v13, v28, v33, v13
	v_pk_fma_f16 v15, v29, v32, v15
	v_pk_fma_f16 v24, v29, v27, v24
	v_pk_fma_f16 v25, v29, v33, v25
	v_pk_fma_f16 v26, v29, v84, v26
	v_dual_lshrrev_b32 v27, 16, v34 :: v_dual_lshrrev_b32 v28, 16, v35
	v_and_b32_e32 v29, 0xffff, v34
	v_and_b32_e32 v32, 0xffff, v35
	s_delay_alu instid0(VALU_DEP_3) | instskip(NEXT) | instid1(VALU_DEP_4)
	v_mul_u32_u24_e32 v27, 0x10001, v27
	v_mul_u32_u24_e32 v28, 0x10001, v28
	s_delay_alu instid0(VALU_DEP_4) | instskip(NEXT) | instid1(VALU_DEP_4)
	v_mul_u32_u24_e32 v29, 0x10001, v29
	v_mul_u32_u24_e32 v32, 0x10001, v32
	s_delay_alu instid0(VALU_DEP_4) | instskip(SKIP_1) | instid1(VALU_DEP_4)
	v_pk_fma_f16 v33, v30, v27, v12
	v_pk_fma_f16 v24, v31, v27, v24
	;; [unrolled: 1-line block ×3, first 2 shown]
	s_delay_alu instid0(VALU_DEP_4)
	v_pk_fma_f16 v34, v30, v32, v13
	v_pk_fma_f16 v30, v30, v28, v14
	;; [unrolled: 1-line block ×3, first 2 shown]
	ds_load_2addr_b64 v[12:15], v79 offset0:64 offset1:96
	v_pk_fma_f16 v25, v31, v32, v25
	v_pk_fma_f16 v26, v31, v28, v26
	s_wait_dscnt 0x3
	v_dual_lshrrev_b32 v27, 16, v98 :: v_dual_lshrrev_b32 v28, 16, v99
	v_and_b32_e32 v31, 0xffff, v98
	v_and_b32_e32 v32, 0xffff, v99
	s_delay_alu instid0(VALU_DEP_3) | instskip(NEXT) | instid1(VALU_DEP_4)
	v_mul_u32_u24_e32 v27, 0x10001, v27
	v_mul_u32_u24_e32 v28, 0x10001, v28
	s_delay_alu instid0(VALU_DEP_4) | instskip(NEXT) | instid1(VALU_DEP_4)
	v_mul_u32_u24_e32 v31, 0x10001, v31
	v_mul_u32_u24_e32 v32, 0x10001, v32
	s_wait_dscnt 0x0
	s_delay_alu instid0(VALU_DEP_2) | instskip(SKIP_1) | instid1(VALU_DEP_3)
	v_pk_fma_f16 v11, v12, v31, v11
	v_pk_fma_f16 v33, v12, v27, v33
	;; [unrolled: 1-line block ×8, first 2 shown]
	v_dual_lshrrev_b32 v26, 16, v100 :: v_dual_lshrrev_b32 v27, 16, v101
	v_and_b32_e32 v28, 0xffff, v100
	v_and_b32_e32 v30, 0xffff, v101
	s_delay_alu instid0(VALU_DEP_3) | instskip(NEXT) | instid1(VALU_DEP_4)
	v_mul_u32_u24_e32 v26, 0x10001, v26
	v_mul_u32_u24_e32 v27, 0x10001, v27
	s_delay_alu instid0(VALU_DEP_4) | instskip(NEXT) | instid1(VALU_DEP_4)
	v_mul_u32_u24_e32 v28, 0x10001, v28
	v_mul_u32_u24_e32 v30, 0x10001, v30
	s_delay_alu instid0(VALU_DEP_4) | instskip(NEXT) | instid1(VALU_DEP_4)
	v_pk_fma_f16 v31, v14, v26, v33
	v_pk_fma_f16 v33, v14, v27, v12
	s_delay_alu instid0(VALU_DEP_4) | instskip(NEXT) | instid1(VALU_DEP_4)
	v_pk_fma_f16 v11, v14, v28, v11
	v_pk_fma_f16 v32, v14, v30, v34
	;; [unrolled: 1-line block ×6, first 2 shown]
	ds_load_2addr_b64 v[12:15], v79 offset0:128 offset1:160
	v_dual_lshrrev_b32 v27, 16, v102 :: v_dual_lshrrev_b32 v29, 16, v103
	v_and_b32_e32 v30, 0xffff, v102
	v_and_b32_e32 v34, 0xffff, v103
	s_delay_alu instid0(VALU_DEP_3) | instskip(NEXT) | instid1(VALU_DEP_4)
	v_mul_u32_u24_e32 v27, 0x10001, v27
	v_mul_u32_u24_e32 v29, 0x10001, v29
	s_delay_alu instid0(VALU_DEP_4) | instskip(NEXT) | instid1(VALU_DEP_4)
	v_mul_u32_u24_e32 v30, 0x10001, v30
	v_mul_u32_u24_e32 v34, 0x10001, v34
	s_wait_dscnt 0x0
	s_delay_alu instid0(VALU_DEP_2) | instskip(SKIP_1) | instid1(VALU_DEP_3)
	v_pk_fma_f16 v11, v12, v30, v11
	v_pk_fma_f16 v31, v12, v27, v31
	;; [unrolled: 1-line block ×8, first 2 shown]
	v_dual_lshrrev_b32 v26, 16, v104 :: v_dual_lshrrev_b32 v27, 16, v105
	v_and_b32_e32 v29, 0xffff, v104
	v_and_b32_e32 v30, 0xffff, v105
	s_delay_alu instid0(VALU_DEP_3) | instskip(NEXT) | instid1(VALU_DEP_4)
	v_mul_u32_u24_e32 v26, 0x10001, v26
	v_mul_u32_u24_e32 v27, 0x10001, v27
	s_delay_alu instid0(VALU_DEP_4) | instskip(NEXT) | instid1(VALU_DEP_4)
	v_mul_u32_u24_e32 v29, 0x10001, v29
	v_mul_u32_u24_e32 v30, 0x10001, v30
	s_delay_alu instid0(VALU_DEP_4) | instskip(NEXT) | instid1(VALU_DEP_4)
	v_pk_fma_f16 v31, v14, v26, v31
	v_pk_fma_f16 v33, v14, v27, v12
	s_delay_alu instid0(VALU_DEP_4) | instskip(NEXT) | instid1(VALU_DEP_4)
	v_pk_fma_f16 v11, v14, v29, v11
	v_pk_fma_f16 v32, v14, v30, v32
	;; [unrolled: 1-line block ×6, first 2 shown]
	ds_load_2addr_b64 v[12:15], v79 offset0:192 offset1:224
	v_dual_lshrrev_b32 v27, 16, v0 :: v_dual_lshrrev_b32 v29, 16, v1
	v_and_b32_e32 v0, 0xffff, v0
	v_and_b32_e32 v1, 0xffff, v1
	s_delay_alu instid0(VALU_DEP_3) | instskip(NEXT) | instid1(VALU_DEP_4)
	v_mul_u32_u24_e32 v27, 0x10001, v27
	v_mul_u32_u24_e32 v29, 0x10001, v29
	s_delay_alu instid0(VALU_DEP_4) | instskip(NEXT) | instid1(VALU_DEP_4)
	v_mul_u32_u24_e32 v0, 0x10001, v0
	v_mul_u32_u24_e32 v1, 0x10001, v1
	s_wait_dscnt 0x0
	s_delay_alu instid0(VALU_DEP_2) | instskip(SKIP_1) | instid1(VALU_DEP_3)
	v_pk_fma_f16 v11, v12, v0, v11
	v_pk_fma_f16 v30, v12, v27, v31
	v_pk_fma_f16 v31, v12, v1, v32
	v_pk_fma_f16 v0, v13, v0, v28
	v_pk_fma_f16 v24, v13, v27, v24
	v_pk_fma_f16 v1, v13, v1, v25
	v_pk_fma_f16 v13, v13, v29, v26
	v_dual_lshrrev_b32 v25, 16, v2 :: v_dual_lshrrev_b32 v26, 16, v3
	v_and_b32_e32 v2, 0xffff, v2
	v_and_b32_e32 v3, 0xffff, v3
	v_pk_fma_f16 v12, v12, v29, v33
	s_delay_alu instid0(VALU_DEP_4) | instskip(SKIP_3) | instid1(VALU_DEP_4)
	v_mul_u32_u24_e32 v25, 0x10001, v25
	v_mul_u32_u24_e32 v26, 0x10001, v26
	;; [unrolled: 1-line block ×4, first 2 shown]
	v_pk_fma_f16 v27, v14, v25, v30
	s_delay_alu instid0(VALU_DEP_4) | instskip(NEXT) | instid1(VALU_DEP_4)
	v_pk_fma_f16 v29, v14, v26, v12
	v_pk_fma_f16 v11, v14, v2, v11
	s_delay_alu instid0(VALU_DEP_4)
	v_pk_fma_f16 v28, v14, v3, v31
	v_pk_fma_f16 v30, v15, v2, v0
	;; [unrolled: 1-line block ×5, first 2 shown]
	ds_load_2addr_b64 v[0:3], v6 offset1:32
	ds_load_b128 v[12:15], v82 offset:576
	s_wait_dscnt 0x0
	v_dual_lshrrev_b32 v31, 16, v12 :: v_dual_lshrrev_b32 v32, 16, v13
	v_and_b32_e32 v12, 0xffff, v12
	v_and_b32_e32 v13, 0xffff, v13
	s_delay_alu instid0(VALU_DEP_3) | instskip(NEXT) | instid1(VALU_DEP_4)
	v_mul_u32_u24_e32 v31, 0x10001, v31
	v_mul_u32_u24_e32 v32, 0x10001, v32
	s_delay_alu instid0(VALU_DEP_4) | instskip(NEXT) | instid1(VALU_DEP_4)
	v_mul_u32_u24_e32 v12, 0x10001, v12
	v_mul_u32_u24_e32 v13, 0x10001, v13
	s_delay_alu instid0(VALU_DEP_4) | instskip(SKIP_1) | instid1(VALU_DEP_4)
	v_pk_fma_f16 v24, v1, v31, v24
	v_pk_fma_f16 v27, v0, v31, v27
	v_pk_fma_f16 v11, v0, v12, v11
	s_delay_alu instid0(VALU_DEP_4)
	v_pk_fma_f16 v28, v0, v13, v28
	v_pk_fma_f16 v12, v1, v12, v30
	v_pk_fma_f16 v13, v1, v13, v25
	v_pk_fma_f16 v1, v1, v32, v26
	v_dual_lshrrev_b32 v25, 16, v14 :: v_dual_lshrrev_b32 v26, 16, v15
	v_and_b32_e32 v14, 0xffff, v14
	v_and_b32_e32 v15, 0xffff, v15
	v_pk_fma_f16 v0, v0, v32, v29
	s_delay_alu instid0(VALU_DEP_4) | instskip(SKIP_3) | instid1(VALU_DEP_4)
	v_mul_u32_u24_e32 v25, 0x10001, v25
	v_mul_u32_u24_e32 v26, 0x10001, v26
	v_mul_u32_u24_e32 v14, 0x10001, v14
	v_mul_u32_u24_e32 v15, 0x10001, v15
	v_pk_fma_f16 v27, v2, v25, v27
	s_delay_alu instid0(VALU_DEP_4) | instskip(NEXT) | instid1(VALU_DEP_4)
	v_pk_fma_f16 v29, v2, v26, v0
	v_pk_fma_f16 v11, v2, v14, v11
	s_delay_alu instid0(VALU_DEP_4)
	v_pk_fma_f16 v28, v2, v15, v28
	v_pk_fma_f16 v30, v3, v14, v12
	v_pk_fma_f16 v24, v3, v25, v24
	v_pk_fma_f16 v25, v3, v15, v13
	v_pk_fma_f16 v26, v3, v26, v1
	ds_load_2addr_b64 v[0:3], v6 offset0:64 offset1:96
	ds_load_b128 v[12:15], v82 offset:592
	s_wait_dscnt 0x0
	v_dual_lshrrev_b32 v31, 16, v12 :: v_dual_lshrrev_b32 v32, 16, v13
	v_and_b32_e32 v12, 0xffff, v12
	v_and_b32_e32 v13, 0xffff, v13
	s_delay_alu instid0(VALU_DEP_3) | instskip(NEXT) | instid1(VALU_DEP_4)
	v_mul_u32_u24_e32 v31, 0x10001, v31
	v_mul_u32_u24_e32 v32, 0x10001, v32
	s_delay_alu instid0(VALU_DEP_4) | instskip(NEXT) | instid1(VALU_DEP_4)
	v_mul_u32_u24_e32 v12, 0x10001, v12
	v_mul_u32_u24_e32 v13, 0x10001, v13
	s_delay_alu instid0(VALU_DEP_4) | instskip(SKIP_1) | instid1(VALU_DEP_4)
	v_pk_fma_f16 v24, v1, v31, v24
	v_pk_fma_f16 v27, v0, v31, v27
	v_pk_fma_f16 v11, v0, v12, v11
	s_delay_alu instid0(VALU_DEP_4)
	v_pk_fma_f16 v28, v0, v13, v28
	v_pk_fma_f16 v12, v1, v12, v30
	v_pk_fma_f16 v13, v1, v13, v25
	v_pk_fma_f16 v1, v1, v32, v26
	v_dual_lshrrev_b32 v25, 16, v14 :: v_dual_lshrrev_b32 v26, 16, v15
	v_and_b32_e32 v14, 0xffff, v14
	v_and_b32_e32 v15, 0xffff, v15
	v_pk_fma_f16 v0, v0, v32, v29
	s_delay_alu instid0(VALU_DEP_4) | instskip(SKIP_3) | instid1(VALU_DEP_4)
	v_mul_u32_u24_e32 v25, 0x10001, v25
	v_mul_u32_u24_e32 v26, 0x10001, v26
	v_mul_u32_u24_e32 v14, 0x10001, v14
	v_mul_u32_u24_e32 v15, 0x10001, v15
	v_pk_fma_f16 v27, v2, v25, v27
	s_delay_alu instid0(VALU_DEP_4) | instskip(NEXT) | instid1(VALU_DEP_4)
	v_pk_fma_f16 v29, v2, v26, v0
	v_pk_fma_f16 v11, v2, v14, v11
	s_delay_alu instid0(VALU_DEP_4)
	v_pk_fma_f16 v28, v2, v15, v28
	v_pk_fma_f16 v30, v3, v14, v12
	v_pk_fma_f16 v24, v3, v25, v24
	v_pk_fma_f16 v25, v3, v15, v13
	v_pk_fma_f16 v26, v3, v26, v1
	ds_load_2addr_b64 v[0:3], v6 offset0:128 offset1:160
	;; [unrolled: 40-line block ×3, first 2 shown]
	ds_load_b128 v[12:15], v82 offset:624
	s_wait_dscnt 0x0
	v_dual_lshrrev_b32 v6, 16, v12 :: v_dual_lshrrev_b32 v31, 16, v13
	v_and_b32_e32 v13, 0xffff, v13
	v_and_b32_e32 v12, 0xffff, v12
	s_delay_alu instid0(VALU_DEP_3) | instskip(NEXT) | instid1(VALU_DEP_4)
	v_mul_u32_u24_e32 v6, 0x10001, v6
	v_mul_u32_u24_e32 v31, 0x10001, v31
	s_delay_alu instid0(VALU_DEP_4) | instskip(NEXT) | instid1(VALU_DEP_4)
	v_mul_u32_u24_e32 v13, 0x10001, v13
	v_mul_u32_u24_e32 v12, 0x10001, v12
	s_delay_alu instid0(VALU_DEP_4) | instskip(SKIP_1) | instid1(VALU_DEP_4)
	v_pk_fma_f16 v27, v0, v6, v27
	v_pk_fma_f16 v6, v1, v6, v24
	;; [unrolled: 1-line block ×4, first 2 shown]
	v_dual_lshrrev_b32 v24, 16, v14 :: v_dual_lshrrev_b32 v25, 16, v15
	v_and_b32_e32 v14, 0xffff, v14
	v_and_b32_e32 v15, 0xffff, v15
	v_pk_fma_f16 v11, v0, v12, v11
	v_pk_fma_f16 v0, v0, v31, v29
	;; [unrolled: 1-line block ×4, first 2 shown]
	v_mul_u32_u24_e32 v14, 0x10001, v14
	v_mul_u32_u24_e32 v24, 0x10001, v24
	;; [unrolled: 1-line block ×4, first 2 shown]
	s_delay_alu instid0(VALU_DEP_4) | instskip(NEXT) | instid1(VALU_DEP_4)
	v_pk_fma_f16 v11, v2, v14, v11
	v_pk_fma_f16 v26, v2, v24, v27
	s_delay_alu instid0(VALU_DEP_4) | instskip(NEXT) | instid1(VALU_DEP_4)
	v_pk_fma_f16 v27, v2, v15, v28
	v_pk_fma_f16 v28, v2, v25, v0
	;; [unrolled: 1-line block ×6, first 2 shown]
	ds_load_2addr_b64 v[0:3], v7 offset1:32
	ds_load_b128 v[12:15], v82 offset:640
	s_wait_dscnt 0x0
	v_dual_lshrrev_b32 v30, 16, v12 :: v_dual_lshrrev_b32 v31, 16, v13
	v_and_b32_e32 v12, 0xffff, v12
	v_and_b32_e32 v13, 0xffff, v13
	s_delay_alu instid0(VALU_DEP_3) | instskip(NEXT) | instid1(VALU_DEP_4)
	v_mul_u32_u24_e32 v30, 0x10001, v30
	v_mul_u32_u24_e32 v31, 0x10001, v31
	s_delay_alu instid0(VALU_DEP_4) | instskip(NEXT) | instid1(VALU_DEP_4)
	v_mul_u32_u24_e32 v12, 0x10001, v12
	v_mul_u32_u24_e32 v13, 0x10001, v13
	s_delay_alu instid0(VALU_DEP_4) | instskip(SKIP_1) | instid1(VALU_DEP_4)
	v_pk_fma_f16 v6, v1, v30, v6
	v_pk_fma_f16 v26, v0, v30, v26
	v_pk_fma_f16 v11, v0, v12, v11
	s_delay_alu instid0(VALU_DEP_4)
	v_pk_fma_f16 v27, v0, v13, v27
	v_pk_fma_f16 v12, v1, v12, v29
	v_pk_fma_f16 v13, v1, v13, v24
	v_pk_fma_f16 v1, v1, v31, v25
	v_dual_lshrrev_b32 v24, 16, v14 :: v_dual_lshrrev_b32 v25, 16, v15
	v_and_b32_e32 v14, 0xffff, v14
	v_and_b32_e32 v15, 0xffff, v15
	v_pk_fma_f16 v0, v0, v31, v28
	s_delay_alu instid0(VALU_DEP_4) | instskip(SKIP_3) | instid1(VALU_DEP_4)
	v_mul_u32_u24_e32 v24, 0x10001, v24
	v_mul_u32_u24_e32 v25, 0x10001, v25
	v_mul_u32_u24_e32 v14, 0x10001, v14
	v_mul_u32_u24_e32 v15, 0x10001, v15
	v_pk_fma_f16 v26, v2, v24, v26
	s_delay_alu instid0(VALU_DEP_4) | instskip(NEXT) | instid1(VALU_DEP_4)
	v_pk_fma_f16 v28, v2, v25, v0
	v_pk_fma_f16 v11, v2, v14, v11
	s_delay_alu instid0(VALU_DEP_4)
	v_pk_fma_f16 v27, v2, v15, v27
	v_pk_fma_f16 v29, v3, v14, v12
	v_pk_fma_f16 v6, v3, v24, v6
	v_pk_fma_f16 v24, v3, v15, v13
	v_pk_fma_f16 v25, v3, v25, v1
	ds_load_2addr_b64 v[0:3], v7 offset0:64 offset1:96
	ds_load_b128 v[12:15], v82 offset:656
	s_wait_dscnt 0x0
	v_dual_lshrrev_b32 v30, 16, v12 :: v_dual_lshrrev_b32 v31, 16, v13
	v_and_b32_e32 v12, 0xffff, v12
	v_and_b32_e32 v13, 0xffff, v13
	s_delay_alu instid0(VALU_DEP_3) | instskip(NEXT) | instid1(VALU_DEP_4)
	v_mul_u32_u24_e32 v30, 0x10001, v30
	v_mul_u32_u24_e32 v31, 0x10001, v31
	s_delay_alu instid0(VALU_DEP_4) | instskip(NEXT) | instid1(VALU_DEP_4)
	v_mul_u32_u24_e32 v12, 0x10001, v12
	v_mul_u32_u24_e32 v13, 0x10001, v13
	s_delay_alu instid0(VALU_DEP_4) | instskip(SKIP_1) | instid1(VALU_DEP_4)
	v_pk_fma_f16 v6, v1, v30, v6
	v_pk_fma_f16 v26, v0, v30, v26
	v_pk_fma_f16 v11, v0, v12, v11
	s_delay_alu instid0(VALU_DEP_4)
	v_pk_fma_f16 v27, v0, v13, v27
	v_pk_fma_f16 v12, v1, v12, v29
	v_pk_fma_f16 v13, v1, v13, v24
	v_pk_fma_f16 v1, v1, v31, v25
	v_dual_lshrrev_b32 v24, 16, v14 :: v_dual_lshrrev_b32 v25, 16, v15
	v_and_b32_e32 v14, 0xffff, v14
	v_and_b32_e32 v15, 0xffff, v15
	v_pk_fma_f16 v0, v0, v31, v28
	s_delay_alu instid0(VALU_DEP_4) | instskip(SKIP_3) | instid1(VALU_DEP_4)
	v_mul_u32_u24_e32 v24, 0x10001, v24
	v_mul_u32_u24_e32 v25, 0x10001, v25
	v_mul_u32_u24_e32 v14, 0x10001, v14
	v_mul_u32_u24_e32 v15, 0x10001, v15
	v_pk_fma_f16 v26, v2, v24, v26
	s_delay_alu instid0(VALU_DEP_4) | instskip(NEXT) | instid1(VALU_DEP_4)
	v_pk_fma_f16 v28, v2, v25, v0
	v_pk_fma_f16 v11, v2, v14, v11
	s_delay_alu instid0(VALU_DEP_4)
	v_pk_fma_f16 v27, v2, v15, v27
	v_pk_fma_f16 v29, v3, v14, v12
	v_pk_fma_f16 v6, v3, v24, v6
	v_pk_fma_f16 v24, v3, v15, v13
	v_pk_fma_f16 v25, v3, v25, v1
	ds_load_2addr_b64 v[0:3], v7 offset0:128 offset1:160
	;; [unrolled: 40-line block ×3, first 2 shown]
	ds_load_b128 v[12:15], v82 offset:688
	s_wait_dscnt 0x0
	v_dual_lshrrev_b32 v7, 16, v12 :: v_dual_lshrrev_b32 v30, 16, v13
	v_and_b32_e32 v13, 0xffff, v13
	v_and_b32_e32 v12, 0xffff, v12
	s_delay_alu instid0(VALU_DEP_3) | instskip(NEXT) | instid1(VALU_DEP_4)
	v_mul_u32_u24_e32 v7, 0x10001, v7
	v_mul_u32_u24_e32 v30, 0x10001, v30
	s_delay_alu instid0(VALU_DEP_4) | instskip(NEXT) | instid1(VALU_DEP_4)
	v_mul_u32_u24_e32 v13, 0x10001, v13
	v_mul_u32_u24_e32 v12, 0x10001, v12
	s_delay_alu instid0(VALU_DEP_4) | instskip(SKIP_1) | instid1(VALU_DEP_4)
	v_pk_fma_f16 v26, v0, v7, v26
	v_pk_fma_f16 v6, v1, v7, v6
	;; [unrolled: 1-line block ×4, first 2 shown]
	v_dual_lshrrev_b32 v13, 16, v14 :: v_dual_lshrrev_b32 v24, 16, v15
	v_and_b32_e32 v14, 0xffff, v14
	v_and_b32_e32 v15, 0xffff, v15
	v_pk_fma_f16 v11, v0, v12, v11
	v_pk_fma_f16 v0, v0, v30, v28
	;; [unrolled: 1-line block ×4, first 2 shown]
	v_mul_u32_u24_e32 v14, 0x10001, v14
	v_mul_u32_u24_e32 v13, 0x10001, v13
	v_mul_u32_u24_e32 v15, 0x10001, v15
	v_mul_u32_u24_e32 v24, 0x10001, v24
	s_delay_alu instid0(VALU_DEP_4) | instskip(NEXT) | instid1(VALU_DEP_4)
	v_pk_fma_f16 v11, v2, v14, v11
	v_pk_fma_f16 v25, v2, v13, v26
	s_delay_alu instid0(VALU_DEP_4) | instskip(NEXT) | instid1(VALU_DEP_4)
	v_pk_fma_f16 v26, v2, v15, v27
	v_pk_fma_f16 v27, v2, v24, v0
	;; [unrolled: 1-line block ×6, first 2 shown]
	ds_load_2addr_b64 v[0:3], v8 offset1:32
	ds_load_b128 v[12:15], v82 offset:704
	s_wait_dscnt 0x0
	v_dual_lshrrev_b32 v29, 16, v12 :: v_dual_lshrrev_b32 v30, 16, v13
	v_and_b32_e32 v12, 0xffff, v12
	v_and_b32_e32 v13, 0xffff, v13
	s_delay_alu instid0(VALU_DEP_3) | instskip(NEXT) | instid1(VALU_DEP_4)
	v_mul_u32_u24_e32 v29, 0x10001, v29
	v_mul_u32_u24_e32 v30, 0x10001, v30
	s_delay_alu instid0(VALU_DEP_4) | instskip(NEXT) | instid1(VALU_DEP_4)
	v_mul_u32_u24_e32 v12, 0x10001, v12
	v_mul_u32_u24_e32 v13, 0x10001, v13
	s_delay_alu instid0(VALU_DEP_4) | instskip(SKIP_1) | instid1(VALU_DEP_4)
	v_pk_fma_f16 v6, v1, v29, v6
	v_pk_fma_f16 v25, v0, v29, v25
	v_pk_fma_f16 v11, v0, v12, v11
	s_delay_alu instid0(VALU_DEP_4)
	v_pk_fma_f16 v26, v0, v13, v26
	v_pk_fma_f16 v12, v1, v12, v28
	v_pk_fma_f16 v7, v1, v13, v7
	v_pk_fma_f16 v1, v1, v30, v24
	v_dual_lshrrev_b32 v13, 16, v14 :: v_dual_lshrrev_b32 v24, 16, v15
	v_and_b32_e32 v14, 0xffff, v14
	v_and_b32_e32 v15, 0xffff, v15
	v_pk_fma_f16 v0, v0, v30, v27
	s_delay_alu instid0(VALU_DEP_4) | instskip(SKIP_3) | instid1(VALU_DEP_4)
	v_mul_u32_u24_e32 v13, 0x10001, v13
	v_mul_u32_u24_e32 v24, 0x10001, v24
	v_mul_u32_u24_e32 v14, 0x10001, v14
	v_mul_u32_u24_e32 v15, 0x10001, v15
	v_pk_fma_f16 v25, v2, v13, v25
	s_delay_alu instid0(VALU_DEP_4) | instskip(NEXT) | instid1(VALU_DEP_4)
	v_pk_fma_f16 v27, v2, v24, v0
	v_pk_fma_f16 v11, v2, v14, v11
	s_delay_alu instid0(VALU_DEP_4)
	v_pk_fma_f16 v26, v2, v15, v26
	v_pk_fma_f16 v28, v3, v14, v12
	v_pk_fma_f16 v6, v3, v13, v6
	v_pk_fma_f16 v7, v3, v15, v7
	v_pk_fma_f16 v24, v3, v24, v1
	ds_load_2addr_b64 v[0:3], v8 offset0:64 offset1:96
	ds_load_b128 v[12:15], v82 offset:720
	s_wait_dscnt 0x0
	v_dual_lshrrev_b32 v29, 16, v12 :: v_dual_lshrrev_b32 v30, 16, v13
	v_and_b32_e32 v12, 0xffff, v12
	v_and_b32_e32 v13, 0xffff, v13
	s_delay_alu instid0(VALU_DEP_3) | instskip(NEXT) | instid1(VALU_DEP_4)
	v_mul_u32_u24_e32 v29, 0x10001, v29
	v_mul_u32_u24_e32 v30, 0x10001, v30
	s_delay_alu instid0(VALU_DEP_4) | instskip(NEXT) | instid1(VALU_DEP_4)
	v_mul_u32_u24_e32 v12, 0x10001, v12
	v_mul_u32_u24_e32 v13, 0x10001, v13
	s_delay_alu instid0(VALU_DEP_4) | instskip(SKIP_1) | instid1(VALU_DEP_4)
	v_pk_fma_f16 v6, v1, v29, v6
	v_pk_fma_f16 v25, v0, v29, v25
	v_pk_fma_f16 v11, v0, v12, v11
	s_delay_alu instid0(VALU_DEP_4)
	v_pk_fma_f16 v26, v0, v13, v26
	v_pk_fma_f16 v12, v1, v12, v28
	v_pk_fma_f16 v7, v1, v13, v7
	v_pk_fma_f16 v1, v1, v30, v24
	v_dual_lshrrev_b32 v13, 16, v14 :: v_dual_lshrrev_b32 v24, 16, v15
	v_and_b32_e32 v14, 0xffff, v14
	v_and_b32_e32 v15, 0xffff, v15
	v_pk_fma_f16 v0, v0, v30, v27
	s_delay_alu instid0(VALU_DEP_4) | instskip(SKIP_3) | instid1(VALU_DEP_4)
	v_mul_u32_u24_e32 v13, 0x10001, v13
	v_mul_u32_u24_e32 v24, 0x10001, v24
	v_mul_u32_u24_e32 v14, 0x10001, v14
	v_mul_u32_u24_e32 v15, 0x10001, v15
	v_pk_fma_f16 v25, v2, v13, v25
	s_delay_alu instid0(VALU_DEP_4) | instskip(NEXT) | instid1(VALU_DEP_4)
	v_pk_fma_f16 v27, v2, v24, v0
	v_pk_fma_f16 v11, v2, v14, v11
	s_delay_alu instid0(VALU_DEP_4)
	v_pk_fma_f16 v26, v2, v15, v26
	v_pk_fma_f16 v28, v3, v14, v12
	v_pk_fma_f16 v6, v3, v13, v6
	v_pk_fma_f16 v7, v3, v15, v7
	v_pk_fma_f16 v24, v3, v24, v1
	ds_load_2addr_b64 v[0:3], v8 offset0:128 offset1:160
	;; [unrolled: 40-line block ×3, first 2 shown]
	ds_load_b128 v[12:15], v82 offset:752
	s_wait_dscnt 0x0
	v_dual_lshrrev_b32 v8, 16, v12 :: v_dual_lshrrev_b32 v29, 16, v13
	v_and_b32_e32 v13, 0xffff, v13
	v_and_b32_e32 v12, 0xffff, v12
	s_delay_alu instid0(VALU_DEP_3) | instskip(NEXT) | instid1(VALU_DEP_4)
	v_mul_u32_u24_e32 v8, 0x10001, v8
	v_mul_u32_u24_e32 v29, 0x10001, v29
	s_delay_alu instid0(VALU_DEP_4) | instskip(NEXT) | instid1(VALU_DEP_4)
	v_mul_u32_u24_e32 v13, 0x10001, v13
	v_mul_u32_u24_e32 v12, 0x10001, v12
	s_delay_alu instid0(VALU_DEP_4) | instskip(SKIP_1) | instid1(VALU_DEP_4)
	v_pk_fma_f16 v25, v0, v8, v25
	v_pk_fma_f16 v6, v1, v8, v6
	;; [unrolled: 1-line block ×4, first 2 shown]
	v_dual_lshrrev_b32 v8, 16, v14 :: v_dual_lshrrev_b32 v13, 16, v15
	v_and_b32_e32 v14, 0xffff, v14
	v_and_b32_e32 v15, 0xffff, v15
	v_pk_fma_f16 v11, v0, v12, v11
	v_pk_fma_f16 v0, v0, v29, v27
	;; [unrolled: 1-line block ×4, first 2 shown]
	v_mul_u32_u24_e32 v14, 0x10001, v14
	v_mul_u32_u24_e32 v8, 0x10001, v8
	;; [unrolled: 1-line block ×4, first 2 shown]
	s_delay_alu instid0(VALU_DEP_4) | instskip(NEXT) | instid1(VALU_DEP_4)
	v_pk_fma_f16 v11, v2, v14, v11
	v_pk_fma_f16 v24, v2, v8, v25
	s_delay_alu instid0(VALU_DEP_4) | instskip(NEXT) | instid1(VALU_DEP_4)
	v_pk_fma_f16 v25, v2, v15, v26
	v_pk_fma_f16 v26, v2, v13, v0
	;; [unrolled: 1-line block ×6, first 2 shown]
	ds_load_2addr_b64 v[0:3], v9 offset1:32
	ds_load_b128 v[12:15], v82 offset:768
	s_wait_dscnt 0x0
	v_dual_lshrrev_b32 v28, 16, v12 :: v_dual_lshrrev_b32 v29, 16, v13
	v_and_b32_e32 v12, 0xffff, v12
	v_and_b32_e32 v13, 0xffff, v13
	s_delay_alu instid0(VALU_DEP_3) | instskip(NEXT) | instid1(VALU_DEP_4)
	v_mul_u32_u24_e32 v28, 0x10001, v28
	v_mul_u32_u24_e32 v29, 0x10001, v29
	s_delay_alu instid0(VALU_DEP_4) | instskip(NEXT) | instid1(VALU_DEP_4)
	v_mul_u32_u24_e32 v12, 0x10001, v12
	v_mul_u32_u24_e32 v13, 0x10001, v13
	s_delay_alu instid0(VALU_DEP_4) | instskip(SKIP_1) | instid1(VALU_DEP_4)
	v_pk_fma_f16 v6, v1, v28, v6
	v_pk_fma_f16 v24, v0, v28, v24
	v_pk_fma_f16 v11, v0, v12, v11
	s_delay_alu instid0(VALU_DEP_4)
	v_pk_fma_f16 v25, v0, v13, v25
	v_pk_fma_f16 v12, v1, v12, v27
	v_pk_fma_f16 v7, v1, v13, v7
	v_pk_fma_f16 v1, v1, v29, v8
	v_dual_lshrrev_b32 v8, 16, v14 :: v_dual_lshrrev_b32 v13, 16, v15
	v_and_b32_e32 v14, 0xffff, v14
	v_and_b32_e32 v15, 0xffff, v15
	v_pk_fma_f16 v0, v0, v29, v26
	s_delay_alu instid0(VALU_DEP_4) | instskip(SKIP_3) | instid1(VALU_DEP_4)
	v_mul_u32_u24_e32 v8, 0x10001, v8
	v_mul_u32_u24_e32 v13, 0x10001, v13
	v_mul_u32_u24_e32 v14, 0x10001, v14
	v_mul_u32_u24_e32 v15, 0x10001, v15
	v_pk_fma_f16 v24, v2, v8, v24
	s_delay_alu instid0(VALU_DEP_4) | instskip(NEXT) | instid1(VALU_DEP_4)
	v_pk_fma_f16 v26, v2, v13, v0
	v_pk_fma_f16 v11, v2, v14, v11
	s_delay_alu instid0(VALU_DEP_4)
	v_pk_fma_f16 v25, v2, v15, v25
	v_pk_fma_f16 v27, v3, v14, v12
	v_pk_fma_f16 v6, v3, v8, v6
	v_pk_fma_f16 v7, v3, v15, v7
	v_pk_fma_f16 v8, v3, v13, v1
	ds_load_2addr_b64 v[0:3], v9 offset0:64 offset1:96
	ds_load_b128 v[12:15], v82 offset:784
	s_wait_dscnt 0x0
	v_dual_lshrrev_b32 v28, 16, v12 :: v_dual_lshrrev_b32 v29, 16, v13
	v_and_b32_e32 v12, 0xffff, v12
	v_and_b32_e32 v13, 0xffff, v13
	s_delay_alu instid0(VALU_DEP_3) | instskip(NEXT) | instid1(VALU_DEP_4)
	v_mul_u32_u24_e32 v28, 0x10001, v28
	v_mul_u32_u24_e32 v29, 0x10001, v29
	s_delay_alu instid0(VALU_DEP_4) | instskip(NEXT) | instid1(VALU_DEP_4)
	v_mul_u32_u24_e32 v12, 0x10001, v12
	v_mul_u32_u24_e32 v13, 0x10001, v13
	s_delay_alu instid0(VALU_DEP_4) | instskip(SKIP_1) | instid1(VALU_DEP_4)
	v_pk_fma_f16 v6, v1, v28, v6
	v_pk_fma_f16 v24, v0, v28, v24
	v_pk_fma_f16 v11, v0, v12, v11
	s_delay_alu instid0(VALU_DEP_4)
	v_pk_fma_f16 v25, v0, v13, v25
	v_pk_fma_f16 v12, v1, v12, v27
	v_pk_fma_f16 v7, v1, v13, v7
	v_pk_fma_f16 v1, v1, v29, v8
	v_dual_lshrrev_b32 v8, 16, v14 :: v_dual_lshrrev_b32 v13, 16, v15
	v_and_b32_e32 v14, 0xffff, v14
	v_and_b32_e32 v15, 0xffff, v15
	v_pk_fma_f16 v0, v0, v29, v26
	s_delay_alu instid0(VALU_DEP_4) | instskip(SKIP_3) | instid1(VALU_DEP_4)
	v_mul_u32_u24_e32 v8, 0x10001, v8
	v_mul_u32_u24_e32 v13, 0x10001, v13
	v_mul_u32_u24_e32 v14, 0x10001, v14
	v_mul_u32_u24_e32 v15, 0x10001, v15
	v_pk_fma_f16 v24, v2, v8, v24
	s_delay_alu instid0(VALU_DEP_4) | instskip(NEXT) | instid1(VALU_DEP_4)
	v_pk_fma_f16 v26, v2, v13, v0
	v_pk_fma_f16 v11, v2, v14, v11
	s_delay_alu instid0(VALU_DEP_4)
	v_pk_fma_f16 v25, v2, v15, v25
	v_pk_fma_f16 v27, v3, v14, v12
	v_pk_fma_f16 v6, v3, v8, v6
	v_pk_fma_f16 v7, v3, v15, v7
	v_pk_fma_f16 v8, v3, v13, v1
	ds_load_2addr_b64 v[0:3], v9 offset0:128 offset1:160
	;; [unrolled: 40-line block ×3, first 2 shown]
	ds_load_b128 v[6:9], v82 offset:816
	s_wait_dscnt 0x0
	v_dual_lshrrev_b32 v27, 16, v6 :: v_dual_lshrrev_b32 v28, 16, v7
	v_and_b32_e32 v6, 0xffff, v6
	v_and_b32_e32 v7, 0xffff, v7
	s_delay_alu instid0(VALU_DEP_3) | instskip(NEXT) | instid1(VALU_DEP_4)
	v_mul_u32_u24_e32 v27, 0x10001, v27
	v_mul_u32_u24_e32 v28, 0x10001, v28
	s_delay_alu instid0(VALU_DEP_4) | instskip(NEXT) | instid1(VALU_DEP_4)
	v_mul_u32_u24_e32 v6, 0x10001, v6
	v_mul_u32_u24_e32 v7, 0x10001, v7
	s_delay_alu instid0(VALU_DEP_4) | instskip(NEXT) | instid1(VALU_DEP_3)
	v_pk_fma_f16 v24, v0, v27, v24
	v_pk_fma_f16 v11, v0, v6, v11
	s_delay_alu instid0(VALU_DEP_3)
	v_pk_fma_f16 v25, v0, v7, v25
	v_pk_fma_f16 v6, v1, v6, v12
	;; [unrolled: 1-line block ×5, first 2 shown]
	v_dual_lshrrev_b32 v13, 16, v8 :: v_dual_lshrrev_b32 v14, 16, v9
	v_and_b32_e32 v8, 0xffff, v8
	v_and_b32_e32 v9, 0xffff, v9
	v_pk_fma_f16 v0, v0, v28, v26
	s_delay_alu instid0(VALU_DEP_4) | instskip(SKIP_3) | instid1(VALU_DEP_4)
	v_mul_u32_u24_e32 v13, 0x10001, v13
	v_mul_u32_u24_e32 v14, 0x10001, v14
	;; [unrolled: 1-line block ×4, first 2 shown]
	v_pk_fma_f16 v15, v2, v13, v24
	v_pk_fma_f16 v12, v3, v13, v12
	s_delay_alu instid0(VALU_DEP_4) | instskip(NEXT) | instid1(VALU_DEP_4)
	v_pk_fma_f16 v11, v2, v8, v11
	v_pk_fma_f16 v24, v2, v9, v25
	;; [unrolled: 1-line block ×6, first 2 shown]
	ds_load_2addr_b64 v[0:3], v10 offset1:32
	ds_load_b128 v[6:9], v82 offset:832
	s_wait_dscnt 0x0
	v_dual_lshrrev_b32 v27, 16, v6 :: v_dual_lshrrev_b32 v28, 16, v7
	v_and_b32_e32 v6, 0xffff, v6
	v_and_b32_e32 v7, 0xffff, v7
	s_delay_alu instid0(VALU_DEP_3) | instskip(NEXT) | instid1(VALU_DEP_4)
	v_mul_u32_u24_e32 v27, 0x10001, v27
	v_mul_u32_u24_e32 v28, 0x10001, v28
	s_delay_alu instid0(VALU_DEP_4) | instskip(NEXT) | instid1(VALU_DEP_4)
	v_mul_u32_u24_e32 v6, 0x10001, v6
	v_mul_u32_u24_e32 v7, 0x10001, v7
	s_delay_alu instid0(VALU_DEP_4) | instskip(SKIP_1) | instid1(VALU_DEP_4)
	v_pk_fma_f16 v12, v1, v27, v12
	v_pk_fma_f16 v15, v0, v27, v15
	v_pk_fma_f16 v11, v0, v6, v11
	s_delay_alu instid0(VALU_DEP_4)
	v_pk_fma_f16 v24, v0, v7, v24
	v_pk_fma_f16 v6, v1, v6, v26
	v_pk_fma_f16 v7, v1, v7, v13
	v_pk_fma_f16 v1, v1, v28, v14
	v_dual_lshrrev_b32 v13, 16, v8 :: v_dual_lshrrev_b32 v14, 16, v9
	v_and_b32_e32 v8, 0xffff, v8
	v_and_b32_e32 v9, 0xffff, v9
	v_pk_fma_f16 v0, v0, v28, v25
	s_delay_alu instid0(VALU_DEP_4) | instskip(SKIP_3) | instid1(VALU_DEP_4)
	v_mul_u32_u24_e32 v13, 0x10001, v13
	v_mul_u32_u24_e32 v14, 0x10001, v14
	v_mul_u32_u24_e32 v8, 0x10001, v8
	v_mul_u32_u24_e32 v9, 0x10001, v9
	v_pk_fma_f16 v15, v2, v13, v15
	s_delay_alu instid0(VALU_DEP_4) | instskip(NEXT) | instid1(VALU_DEP_4)
	v_pk_fma_f16 v25, v2, v14, v0
	v_pk_fma_f16 v11, v2, v8, v11
	s_delay_alu instid0(VALU_DEP_4)
	v_pk_fma_f16 v24, v2, v9, v24
	v_pk_fma_f16 v26, v3, v8, v6
	v_pk_fma_f16 v12, v3, v13, v12
	v_pk_fma_f16 v13, v3, v9, v7
	v_pk_fma_f16 v14, v3, v14, v1
	ds_load_2addr_b64 v[0:3], v10 offset0:64 offset1:96
	ds_load_b128 v[6:9], v82 offset:848
	s_wait_dscnt 0x0
	v_dual_lshrrev_b32 v27, 16, v6 :: v_dual_lshrrev_b32 v28, 16, v7
	v_and_b32_e32 v6, 0xffff, v6
	v_and_b32_e32 v7, 0xffff, v7
	s_delay_alu instid0(VALU_DEP_3) | instskip(NEXT) | instid1(VALU_DEP_4)
	v_mul_u32_u24_e32 v27, 0x10001, v27
	v_mul_u32_u24_e32 v28, 0x10001, v28
	s_delay_alu instid0(VALU_DEP_4) | instskip(NEXT) | instid1(VALU_DEP_4)
	v_mul_u32_u24_e32 v6, 0x10001, v6
	v_mul_u32_u24_e32 v7, 0x10001, v7
	s_delay_alu instid0(VALU_DEP_4) | instskip(SKIP_1) | instid1(VALU_DEP_4)
	v_pk_fma_f16 v12, v1, v27, v12
	v_pk_fma_f16 v15, v0, v27, v15
	v_pk_fma_f16 v11, v0, v6, v11
	s_delay_alu instid0(VALU_DEP_4)
	v_pk_fma_f16 v24, v0, v7, v24
	v_pk_fma_f16 v6, v1, v6, v26
	v_pk_fma_f16 v7, v1, v7, v13
	v_pk_fma_f16 v1, v1, v28, v14
	v_dual_lshrrev_b32 v13, 16, v8 :: v_dual_lshrrev_b32 v14, 16, v9
	v_and_b32_e32 v8, 0xffff, v8
	v_and_b32_e32 v9, 0xffff, v9
	v_pk_fma_f16 v0, v0, v28, v25
	s_delay_alu instid0(VALU_DEP_4) | instskip(SKIP_3) | instid1(VALU_DEP_4)
	v_mul_u32_u24_e32 v13, 0x10001, v13
	v_mul_u32_u24_e32 v14, 0x10001, v14
	v_mul_u32_u24_e32 v8, 0x10001, v8
	v_mul_u32_u24_e32 v9, 0x10001, v9
	v_pk_fma_f16 v15, v2, v13, v15
	s_delay_alu instid0(VALU_DEP_4) | instskip(NEXT) | instid1(VALU_DEP_4)
	v_pk_fma_f16 v25, v2, v14, v0
	v_pk_fma_f16 v11, v2, v8, v11
	s_delay_alu instid0(VALU_DEP_4)
	v_pk_fma_f16 v24, v2, v9, v24
	v_pk_fma_f16 v26, v3, v8, v6
	v_pk_fma_f16 v12, v3, v13, v12
	v_pk_fma_f16 v13, v3, v9, v7
	v_pk_fma_f16 v14, v3, v14, v1
	ds_load_2addr_b64 v[0:3], v10 offset0:128 offset1:160
	;; [unrolled: 40-line block ×3, first 2 shown]
	ds_load_b128 v[6:9], v82 offset:880
	s_wait_dscnt 0x0
	v_dual_lshrrev_b32 v10, 16, v6 :: v_dual_lshrrev_b32 v27, 16, v7
	v_and_b32_e32 v7, 0xffff, v7
	v_and_b32_e32 v6, 0xffff, v6
	s_delay_alu instid0(VALU_DEP_3) | instskip(NEXT) | instid1(VALU_DEP_4)
	v_mul_u32_u24_e32 v10, 0x10001, v10
	v_mul_u32_u24_e32 v27, 0x10001, v27
	s_delay_alu instid0(VALU_DEP_4) | instskip(NEXT) | instid1(VALU_DEP_4)
	v_mul_u32_u24_e32 v7, 0x10001, v7
	v_mul_u32_u24_e32 v6, 0x10001, v6
	s_delay_alu instid0(VALU_DEP_4) | instskip(SKIP_1) | instid1(VALU_DEP_4)
	v_pk_fma_f16 v15, v0, v10, v15
	v_pk_fma_f16 v10, v1, v10, v12
	;; [unrolled: 1-line block ×4, first 2 shown]
	v_dual_lshrrev_b32 v12, 16, v8 :: v_dual_lshrrev_b32 v13, 16, v9
	v_and_b32_e32 v8, 0xffff, v8
	v_and_b32_e32 v9, 0xffff, v9
	v_pk_fma_f16 v11, v0, v6, v11
	v_pk_fma_f16 v0, v0, v27, v25
	;; [unrolled: 1-line block ×4, first 2 shown]
	v_mul_u32_u24_e32 v8, 0x10001, v8
	v_mul_u32_u24_e32 v12, 0x10001, v12
	;; [unrolled: 1-line block ×4, first 2 shown]
	s_delay_alu instid0(VALU_DEP_4) | instskip(NEXT) | instid1(VALU_DEP_4)
	v_pk_fma_f16 v11, v2, v8, v11
	v_pk_fma_f16 v14, v2, v12, v15
	s_delay_alu instid0(VALU_DEP_4) | instskip(NEXT) | instid1(VALU_DEP_4)
	v_pk_fma_f16 v15, v2, v9, v24
	v_pk_fma_f16 v24, v2, v13, v0
	;; [unrolled: 1-line block ×6, first 2 shown]
	ds_load_2addr_b64 v[0:3], v5 offset1:32
	ds_load_b128 v[6:9], v82 offset:896
	s_wait_dscnt 0x0
	v_dual_lshrrev_b32 v26, 16, v6 :: v_dual_lshrrev_b32 v27, 16, v7
	v_and_b32_e32 v6, 0xffff, v6
	v_and_b32_e32 v7, 0xffff, v7
	s_delay_alu instid0(VALU_DEP_3) | instskip(NEXT) | instid1(VALU_DEP_4)
	v_mul_u32_u24_e32 v26, 0x10001, v26
	v_mul_u32_u24_e32 v27, 0x10001, v27
	s_delay_alu instid0(VALU_DEP_4) | instskip(NEXT) | instid1(VALU_DEP_4)
	v_mul_u32_u24_e32 v6, 0x10001, v6
	v_mul_u32_u24_e32 v7, 0x10001, v7
	s_delay_alu instid0(VALU_DEP_4) | instskip(SKIP_1) | instid1(VALU_DEP_4)
	v_pk_fma_f16 v10, v1, v26, v10
	v_pk_fma_f16 v14, v0, v26, v14
	v_pk_fma_f16 v11, v0, v6, v11
	s_delay_alu instid0(VALU_DEP_4)
	v_pk_fma_f16 v15, v0, v7, v15
	v_pk_fma_f16 v6, v1, v6, v25
	v_pk_fma_f16 v7, v1, v7, v12
	v_pk_fma_f16 v1, v1, v27, v13
	v_dual_lshrrev_b32 v12, 16, v8 :: v_dual_lshrrev_b32 v13, 16, v9
	v_and_b32_e32 v8, 0xffff, v8
	v_and_b32_e32 v9, 0xffff, v9
	v_pk_fma_f16 v0, v0, v27, v24
	s_delay_alu instid0(VALU_DEP_4) | instskip(SKIP_3) | instid1(VALU_DEP_4)
	v_mul_u32_u24_e32 v12, 0x10001, v12
	v_mul_u32_u24_e32 v13, 0x10001, v13
	v_mul_u32_u24_e32 v8, 0x10001, v8
	v_mul_u32_u24_e32 v9, 0x10001, v9
	v_pk_fma_f16 v14, v2, v12, v14
	s_delay_alu instid0(VALU_DEP_4) | instskip(NEXT) | instid1(VALU_DEP_4)
	v_pk_fma_f16 v24, v2, v13, v0
	v_pk_fma_f16 v11, v2, v8, v11
	s_delay_alu instid0(VALU_DEP_4)
	v_pk_fma_f16 v15, v2, v9, v15
	v_pk_fma_f16 v25, v3, v8, v6
	v_pk_fma_f16 v10, v3, v12, v10
	v_pk_fma_f16 v12, v3, v9, v7
	v_pk_fma_f16 v13, v3, v13, v1
	ds_load_2addr_b64 v[0:3], v5 offset0:64 offset1:96
	ds_load_b128 v[6:9], v82 offset:912
	s_wait_dscnt 0x0
	v_dual_lshrrev_b32 v26, 16, v6 :: v_dual_lshrrev_b32 v27, 16, v7
	v_and_b32_e32 v6, 0xffff, v6
	v_and_b32_e32 v7, 0xffff, v7
	s_delay_alu instid0(VALU_DEP_3) | instskip(NEXT) | instid1(VALU_DEP_4)
	v_mul_u32_u24_e32 v26, 0x10001, v26
	v_mul_u32_u24_e32 v27, 0x10001, v27
	s_delay_alu instid0(VALU_DEP_4) | instskip(NEXT) | instid1(VALU_DEP_4)
	v_mul_u32_u24_e32 v6, 0x10001, v6
	v_mul_u32_u24_e32 v7, 0x10001, v7
	s_delay_alu instid0(VALU_DEP_4) | instskip(SKIP_1) | instid1(VALU_DEP_4)
	v_pk_fma_f16 v10, v1, v26, v10
	v_pk_fma_f16 v14, v0, v26, v14
	v_pk_fma_f16 v11, v0, v6, v11
	s_delay_alu instid0(VALU_DEP_4)
	v_pk_fma_f16 v15, v0, v7, v15
	v_pk_fma_f16 v6, v1, v6, v25
	v_pk_fma_f16 v7, v1, v7, v12
	v_pk_fma_f16 v1, v1, v27, v13
	v_dual_lshrrev_b32 v12, 16, v8 :: v_dual_lshrrev_b32 v13, 16, v9
	v_and_b32_e32 v8, 0xffff, v8
	v_and_b32_e32 v9, 0xffff, v9
	v_pk_fma_f16 v0, v0, v27, v24
	s_delay_alu instid0(VALU_DEP_4) | instskip(SKIP_3) | instid1(VALU_DEP_4)
	v_mul_u32_u24_e32 v12, 0x10001, v12
	v_mul_u32_u24_e32 v13, 0x10001, v13
	v_mul_u32_u24_e32 v8, 0x10001, v8
	v_mul_u32_u24_e32 v9, 0x10001, v9
	v_pk_fma_f16 v14, v2, v12, v14
	s_delay_alu instid0(VALU_DEP_4) | instskip(NEXT) | instid1(VALU_DEP_4)
	v_pk_fma_f16 v24, v2, v13, v0
	v_pk_fma_f16 v11, v2, v8, v11
	s_delay_alu instid0(VALU_DEP_4)
	v_pk_fma_f16 v15, v2, v9, v15
	v_pk_fma_f16 v25, v3, v8, v6
	v_pk_fma_f16 v10, v3, v12, v10
	v_pk_fma_f16 v12, v3, v9, v7
	v_pk_fma_f16 v13, v3, v13, v1
	ds_load_2addr_b64 v[0:3], v5 offset0:128 offset1:160
	;; [unrolled: 40-line block ×3, first 2 shown]
	ds_load_b128 v[6:9], v82 offset:944
	s_wait_dscnt 0x0
	v_dual_lshrrev_b32 v5, 16, v6 :: v_dual_lshrrev_b32 v26, 16, v7
	v_and_b32_e32 v7, 0xffff, v7
	v_and_b32_e32 v6, 0xffff, v6
	s_delay_alu instid0(VALU_DEP_3) | instskip(NEXT) | instid1(VALU_DEP_4)
	v_mul_u32_u24_e32 v5, 0x10001, v5
	v_mul_u32_u24_e32 v26, 0x10001, v26
	s_delay_alu instid0(VALU_DEP_4) | instskip(NEXT) | instid1(VALU_DEP_4)
	v_mul_u32_u24_e32 v7, 0x10001, v7
	v_mul_u32_u24_e32 v6, 0x10001, v6
	s_delay_alu instid0(VALU_DEP_4) | instskip(SKIP_1) | instid1(VALU_DEP_4)
	v_pk_fma_f16 v14, v0, v5, v14
	v_pk_fma_f16 v5, v1, v5, v10
	;; [unrolled: 1-line block ×4, first 2 shown]
	v_dual_lshrrev_b32 v10, 16, v8 :: v_dual_lshrrev_b32 v12, 16, v9
	v_and_b32_e32 v8, 0xffff, v8
	v_and_b32_e32 v9, 0xffff, v9
	v_pk_fma_f16 v11, v0, v6, v11
	v_pk_fma_f16 v0, v0, v26, v24
	;; [unrolled: 1-line block ×4, first 2 shown]
	v_mul_u32_u24_e32 v8, 0x10001, v8
	v_mul_u32_u24_e32 v10, 0x10001, v10
	;; [unrolled: 1-line block ×4, first 2 shown]
	s_delay_alu instid0(VALU_DEP_4) | instskip(NEXT) | instid1(VALU_DEP_4)
	v_pk_fma_f16 v11, v2, v8, v11
	v_pk_fma_f16 v13, v2, v10, v14
	s_delay_alu instid0(VALU_DEP_4) | instskip(NEXT) | instid1(VALU_DEP_4)
	v_pk_fma_f16 v14, v2, v9, v15
	v_pk_fma_f16 v15, v2, v12, v0
	;; [unrolled: 1-line block ×6, first 2 shown]
	ds_load_2addr_b64 v[0:3], v4 offset1:32
	ds_load_b128 v[6:9], v82 offset:960
	s_wait_dscnt 0x0
	v_dual_lshrrev_b32 v25, 16, v6 :: v_dual_lshrrev_b32 v26, 16, v7
	v_and_b32_e32 v6, 0xffff, v6
	v_and_b32_e32 v7, 0xffff, v7
	s_delay_alu instid0(VALU_DEP_3) | instskip(NEXT) | instid1(VALU_DEP_4)
	v_mul_u32_u24_e32 v25, 0x10001, v25
	v_mul_u32_u24_e32 v26, 0x10001, v26
	s_delay_alu instid0(VALU_DEP_4) | instskip(NEXT) | instid1(VALU_DEP_4)
	v_mul_u32_u24_e32 v6, 0x10001, v6
	v_mul_u32_u24_e32 v7, 0x10001, v7
	s_delay_alu instid0(VALU_DEP_4) | instskip(SKIP_1) | instid1(VALU_DEP_4)
	v_pk_fma_f16 v5, v1, v25, v5
	v_pk_fma_f16 v13, v0, v25, v13
	v_pk_fma_f16 v11, v0, v6, v11
	s_delay_alu instid0(VALU_DEP_4)
	v_pk_fma_f16 v14, v0, v7, v14
	v_pk_fma_f16 v6, v1, v6, v24
	v_pk_fma_f16 v7, v1, v7, v10
	v_pk_fma_f16 v1, v1, v26, v12
	v_dual_lshrrev_b32 v10, 16, v8 :: v_dual_lshrrev_b32 v12, 16, v9
	v_and_b32_e32 v8, 0xffff, v8
	v_and_b32_e32 v9, 0xffff, v9
	v_pk_fma_f16 v0, v0, v26, v15
	s_delay_alu instid0(VALU_DEP_4) | instskip(SKIP_3) | instid1(VALU_DEP_4)
	v_mul_u32_u24_e32 v10, 0x10001, v10
	v_mul_u32_u24_e32 v12, 0x10001, v12
	v_mul_u32_u24_e32 v8, 0x10001, v8
	v_mul_u32_u24_e32 v9, 0x10001, v9
	v_pk_fma_f16 v13, v2, v10, v13
	s_delay_alu instid0(VALU_DEP_4) | instskip(NEXT) | instid1(VALU_DEP_4)
	v_pk_fma_f16 v15, v2, v12, v0
	v_pk_fma_f16 v11, v2, v8, v11
	s_delay_alu instid0(VALU_DEP_4)
	v_pk_fma_f16 v14, v2, v9, v14
	v_pk_fma_f16 v24, v3, v8, v6
	v_pk_fma_f16 v5, v3, v10, v5
	v_pk_fma_f16 v10, v3, v9, v7
	v_pk_fma_f16 v12, v3, v12, v1
	ds_load_2addr_b64 v[0:3], v4 offset0:64 offset1:96
	ds_load_b128 v[6:9], v82 offset:976
	s_wait_dscnt 0x0
	v_dual_lshrrev_b32 v25, 16, v6 :: v_dual_lshrrev_b32 v26, 16, v7
	v_and_b32_e32 v6, 0xffff, v6
	v_and_b32_e32 v7, 0xffff, v7
	s_delay_alu instid0(VALU_DEP_3) | instskip(NEXT) | instid1(VALU_DEP_4)
	v_mul_u32_u24_e32 v25, 0x10001, v25
	v_mul_u32_u24_e32 v26, 0x10001, v26
	s_delay_alu instid0(VALU_DEP_4) | instskip(NEXT) | instid1(VALU_DEP_4)
	v_mul_u32_u24_e32 v6, 0x10001, v6
	v_mul_u32_u24_e32 v7, 0x10001, v7
	s_delay_alu instid0(VALU_DEP_4) | instskip(SKIP_1) | instid1(VALU_DEP_4)
	v_pk_fma_f16 v5, v1, v25, v5
	v_pk_fma_f16 v13, v0, v25, v13
	v_pk_fma_f16 v11, v0, v6, v11
	s_delay_alu instid0(VALU_DEP_4)
	v_pk_fma_f16 v14, v0, v7, v14
	v_pk_fma_f16 v6, v1, v6, v24
	v_pk_fma_f16 v7, v1, v7, v10
	v_pk_fma_f16 v1, v1, v26, v12
	v_dual_lshrrev_b32 v10, 16, v8 :: v_dual_lshrrev_b32 v12, 16, v9
	v_and_b32_e32 v8, 0xffff, v8
	v_and_b32_e32 v9, 0xffff, v9
	v_pk_fma_f16 v0, v0, v26, v15
	s_delay_alu instid0(VALU_DEP_4) | instskip(SKIP_3) | instid1(VALU_DEP_4)
	v_mul_u32_u24_e32 v10, 0x10001, v10
	v_mul_u32_u24_e32 v12, 0x10001, v12
	v_mul_u32_u24_e32 v8, 0x10001, v8
	v_mul_u32_u24_e32 v9, 0x10001, v9
	v_pk_fma_f16 v13, v2, v10, v13
	s_delay_alu instid0(VALU_DEP_4) | instskip(NEXT) | instid1(VALU_DEP_4)
	v_pk_fma_f16 v15, v2, v12, v0
	v_pk_fma_f16 v11, v2, v8, v11
	s_delay_alu instid0(VALU_DEP_4)
	v_pk_fma_f16 v14, v2, v9, v14
	v_pk_fma_f16 v24, v3, v8, v6
	v_pk_fma_f16 v5, v3, v10, v5
	v_pk_fma_f16 v10, v3, v9, v7
	v_pk_fma_f16 v12, v3, v12, v1
	ds_load_2addr_b64 v[0:3], v4 offset0:128 offset1:160
	ds_load_b128 v[6:9], v82 offset:992
	s_wait_dscnt 0x0
	v_dual_lshrrev_b32 v25, 16, v6 :: v_dual_lshrrev_b32 v26, 16, v7
	v_and_b32_e32 v6, 0xffff, v6
	v_and_b32_e32 v7, 0xffff, v7
	s_delay_alu instid0(VALU_DEP_3) | instskip(NEXT) | instid1(VALU_DEP_4)
	v_mul_u32_u24_e32 v25, 0x10001, v25
	v_mul_u32_u24_e32 v26, 0x10001, v26
	s_delay_alu instid0(VALU_DEP_4) | instskip(NEXT) | instid1(VALU_DEP_4)
	v_mul_u32_u24_e32 v6, 0x10001, v6
	v_mul_u32_u24_e32 v7, 0x10001, v7
	s_delay_alu instid0(VALU_DEP_4) | instskip(SKIP_1) | instid1(VALU_DEP_4)
	v_pk_fma_f16 v5, v1, v25, v5
	v_pk_fma_f16 v13, v0, v25, v13
	v_pk_fma_f16 v11, v0, v6, v11
	s_delay_alu instid0(VALU_DEP_4)
	v_pk_fma_f16 v14, v0, v7, v14
	v_pk_fma_f16 v6, v1, v6, v24
	v_pk_fma_f16 v7, v1, v7, v10
	v_pk_fma_f16 v1, v1, v26, v12
	v_dual_lshrrev_b32 v10, 16, v8 :: v_dual_lshrrev_b32 v12, 16, v9
	v_and_b32_e32 v8, 0xffff, v8
	v_and_b32_e32 v9, 0xffff, v9
	v_pk_fma_f16 v0, v0, v26, v15
	s_delay_alu instid0(VALU_DEP_4) | instskip(SKIP_3) | instid1(VALU_DEP_4)
	v_mul_u32_u24_e32 v10, 0x10001, v10
	v_mul_u32_u24_e32 v12, 0x10001, v12
	v_mul_u32_u24_e32 v8, 0x10001, v8
	v_mul_u32_u24_e32 v9, 0x10001, v9
	v_pk_fma_f16 v13, v2, v10, v13
	s_delay_alu instid0(VALU_DEP_4) | instskip(NEXT) | instid1(VALU_DEP_4)
	v_pk_fma_f16 v15, v2, v12, v0
	v_pk_fma_f16 v11, v2, v8, v11
	s_delay_alu instid0(VALU_DEP_4)
	v_pk_fma_f16 v14, v2, v9, v14
	v_pk_fma_f16 v8, v3, v8, v6
	v_pk_fma_f16 v10, v3, v10, v5
	v_pk_fma_f16 v9, v3, v9, v7
	v_pk_fma_f16 v12, v3, v12, v1
	ds_load_2addr_b64 v[0:3], v4 offset0:192 offset1:224
	ds_load_b128 v[4:7], v82 offset:1008
	s_wait_dscnt 0x0
	s_barrier_signal -1
	s_barrier_wait -1
	s_load_b32 s25, s[8:9], 0x4
	v_dual_lshrrev_b32 v24, 16, v4 :: v_dual_lshrrev_b32 v25, 16, v5
	v_and_b32_e32 v4, 0xffff, v4
	v_and_b32_e32 v5, 0xffff, v5
	s_delay_alu instid0(VALU_DEP_3) | instskip(NEXT) | instid1(VALU_DEP_4)
	v_mul_u32_u24_e32 v24, 0x10001, v24
	v_mul_u32_u24_e32 v25, 0x10001, v25
	s_delay_alu instid0(VALU_DEP_4) | instskip(NEXT) | instid1(VALU_DEP_4)
	v_mul_u32_u24_e32 v4, 0x10001, v4
	v_mul_u32_u24_e32 v5, 0x10001, v5
	s_wait_kmcnt 0x0
	s_lshl_b32 s25, s25, 7
	v_pk_fma_f16 v13, v0, v24, v13
	s_add_co_i32 s24, s25, s24
	v_pk_fma_f16 v11, v0, v4, v11
	v_pk_fma_f16 v14, v0, v5, v14
	;; [unrolled: 1-line block ×5, first 2 shown]
	v_dual_lshrrev_b32 v9, 16, v6 :: v_dual_lshrrev_b32 v10, 16, v7
	v_and_b32_e32 v6, 0xffff, v6
	v_and_b32_e32 v7, 0xffff, v7
	v_pk_fma_f16 v0, v0, v25, v15
	v_pk_fma_f16 v1, v1, v25, v12
	v_mul_u32_u24_e32 v9, 0x10001, v9
	v_mul_u32_u24_e32 v6, 0x10001, v6
	;; [unrolled: 1-line block ×4, first 2 shown]
	s_cmp_lt_i32 s24, s3
	v_pk_fma_f16 v85, v2, v9, v13
	v_pk_fma_f16 v86, v2, v6, v11
	;; [unrolled: 1-line block ×8, first 2 shown]
	s_cbranch_scc0 .LBB87_111
; %bb.108:                              ;   in Loop: Header=BB87_8 Depth=1
	v_dual_mov_b32 v105, v20 :: v_dual_mov_b32 v106, v21
	v_dual_mov_b32 v104, v22 :: v_dual_mov_b32 v103, v23
	s_branch .LBB87_8
.LBB87_109:                             ;   in Loop: Header=BB87_8 Depth=1
	v_mov_b32_e32 v0, 0
	v_cmp_ngt_f32_e64 s35, 0x3f200000, |v120|
                                        ; implicit-def: $vgpr5
	s_and_saveexec_b32 s38, s35
	s_delay_alu instid0(SALU_CYCLE_1)
	s_xor_b32 s35, exec_lo, s38
	s_cbranch_execz .LBB87_15
	s_branch .LBB87_14
.LBB87_110:
	v_dual_mov_b32 v20, 0xfeffffff :: v_dual_mov_b32 v17, 0
	v_dual_mov_b32 v86, 0 :: v_dual_mov_b32 v18, 0
	;; [unrolled: 1-line block ×3, first 2 shown]
	s_delay_alu instid0(VALU_DEP_3)
	v_dual_mov_b32 v21, v20 :: v_dual_mov_b32 v22, v20
	v_dual_mov_b32 v23, v20 :: v_dual_mov_b32 v16, 0
	;; [unrolled: 1-line block ×4, first 2 shown]
	v_mov_b32_e32 v99, 0
.LBB87_111:
	s_cmp_gt_i32 s2, s24
	s_cbranch_scc1 .LBB87_114
; %bb.112:
	v_mbcnt_lo_u32_b32 v0, -1, 0
	v_mov_b32_e32 v30, 32
	s_delay_alu instid0(VALU_DEP_2)
	v_xor_b32_e32 v35, 16, v0
	v_xor_b32_e32 v34, 8, v0
	;; [unrolled: 1-line block ×5, first 2 shown]
	s_cbranch_execz .LBB87_115
; %bb.113:
	v_mov_b32_e32 v77, v0
	s_branch .LBB87_257
.LBB87_114:
                                        ; implicit-def: $vgpr0
                                        ; implicit-def: $vgpr30
                                        ; implicit-def: $vgpr35
                                        ; implicit-def: $vgpr34
                                        ; implicit-def: $vgpr33
                                        ; implicit-def: $vgpr32
                                        ; implicit-def: $vgpr31
.LBB87_115:
	v_dual_add_nc_u32 v10, v49, v75 :: v_dual_lshlrev_b32 v3, 20, v77
	s_ashr_i32 s25, s24, 31
	s_ashr_i32 s5, s4, 31
	v_dual_mov_b32 v29, 0 :: v_dual_lshlrev_b32 v28, 2, v48
	s_delay_alu instid0(VALU_DEP_2)
	v_mul_lo_u32 v0, s4, v10
	s_mul_u64 s[8:9], s[24:25], s[4:5]
	v_mov_b32_e32 v2, 0
	s_lshl_b64 s[8:9], s[8:9], 2
	s_mov_b32 s44, 0
	s_add_nc_u64 s[8:9], s[26:27], s[8:9]
	s_sub_co_i32 s26, s2, s24
	s_mov_b32 s45, s44
	v_cmp_gt_i32_e32 vcc_lo, s26, v10
	s_mov_b32 s46, s44
	s_lshl_b32 s4, s4, 5
	v_ashrrev_i32_e32 v1, 31, v0
	v_add_nc_u64_e32 v[30:31], src_flat_scratch_base_lo, v[2:3]
	v_dual_mov_b32 v24, s44 :: v_dual_mov_b32 v25, s45
	v_add_nc_u32_e32 v6, s4, v0
	s_delay_alu instid0(VALU_DEP_4) | instskip(NEXT) | instid1(VALU_DEP_2)
	v_lshl_add_u64 v[4:5], v[0:1], 2, s[8:9]
	v_dual_mov_b32 v41, v29 :: v_dual_ashrrev_i32 v7, 31, v6
	s_delay_alu instid0(VALU_DEP_2) | instskip(SKIP_1) | instid1(VALU_DEP_3)
	v_add_nc_u64_e32 v[32:33], v[4:5], v[28:29]
	v_mov_b32_e32 v26, s46
	v_lshl_add_u64 v[0:1], v[6:7], 2, s[8:9]
	s_delay_alu instid0(VALU_DEP_3) | instskip(NEXT) | instid1(VALU_DEP_4)
	v_dual_add_nc_u32 v7, 32, v10 :: v_dual_cndmask_b32 v3, v31, v33, vcc_lo
	v_cndmask_b32_e32 v2, v30, v32, vcc_lo
	s_clause 0x1
	scratch_store_b32 off, v29, off
	scratch_store_b96 off, v[24:26], off offset:4
	v_add_nc_u64_e32 v[32:33], 0x80, v[32:33]
	v_add_nc_u64_e32 v[34:35], v[0:1], v[28:29]
	v_cmp_gt_i32_e64 s2, s26, v7
	flat_load_b128 v[2:5], v[2:3]
	v_mad_u32_u24 v0, 0x90, v10, v28
	s_clause 0x1
	scratch_store_b32 off, v29, off
	scratch_store_b96 off, v[24:26], off offset:4
	v_dual_add_nc_u32 v1, 64, v10 :: v_dual_cndmask_b32 v33, v31, v33, vcc_lo
	v_dual_cndmask_b32 v32, v30, v32, vcc_lo :: v_dual_cndmask_b32 v9, v31, v35, s2
	v_cndmask_b32_e64 v8, v30, v34, s2
	s_delay_alu instid0(VALU_DEP_3) | instskip(SKIP_3) | instid1(VALU_DEP_1)
	v_cmp_gt_i32_e64 s3, s26, v1
	v_add_nc_u32_e32 v6, s4, v6
	v_add_nc_u32_e32 v1, 0x60, v10
	v_add_nc_u64_e32 v[34:35], 0x80, v[34:35]
	v_dual_ashrrev_i32 v7, 31, v6 :: v_dual_cndmask_b32 v35, v31, v35, s2
	s_delay_alu instid0(VALU_DEP_2)
	v_cndmask_b32_e64 v34, v30, v34, s2
	s_wait_loadcnt_dscnt 0x0
	ds_store_b128 v0, v[2:5]
	flat_load_b128 v[2:5], v[8:9]
	s_wait_xcnt 0x0
	v_lshl_add_u64 v[8:9], v[6:7], 2, s[8:9]
	s_clause 0x1
	scratch_store_b32 off, v29, off
	scratch_store_b96 off, v[24:26], off offset:4
	v_add_nc_u64_e32 v[48:49], v[8:9], v[28:29]
	s_delay_alu instid0(VALU_DEP_1) | instskip(SKIP_4) | instid1(VALU_DEP_4)
	v_dual_cndmask_b32 v9, v31, v49, s3 :: v_dual_cndmask_b32 v8, v30, v48, s3
	v_add_nc_u32_e32 v6, s4, v6
	v_cmp_gt_i32_e64 s4, s26, v1
	v_mov_b32_e32 v1, v29
	v_add_nc_u64_e32 v[48:49], 0x80, v[48:49]
	v_ashrrev_i32_e32 v7, 31, v6
	s_delay_alu instid0(VALU_DEP_1) | instskip(NEXT) | instid1(VALU_DEP_3)
	v_lshl_add_u64 v[6:7], v[6:7], 2, s[8:9]
	v_dual_cndmask_b32 v49, v31, v49, s3 :: v_dual_cndmask_b32 v48, v30, v48, s3
	s_delay_alu instid0(VALU_DEP_2) | instskip(NEXT) | instid1(VALU_DEP_1)
	v_add_nc_u64_e32 v[50:51], v[6:7], v[28:29]
	v_dual_cndmask_b32 v7, v31, v51, s4 :: v_dual_cndmask_b32 v6, v30, v50, s4
	v_add_nc_u64_e32 v[50:51], 0x80, v[50:51]
	s_delay_alu instid0(VALU_DEP_1)
	v_dual_cndmask_b32 v51, v31, v51, s4 :: v_dual_cndmask_b32 v50, v30, v50, s4
	s_wait_loadcnt_dscnt 0x0
	ds_store_b128 v0, v[2:5] offset:4608
	flat_load_b128 v[2:5], v[8:9]
	s_clause 0x1
	scratch_store_b32 off, v29, off
	scratch_store_b96 off, v[24:26], off offset:4
	s_wait_loadcnt_dscnt 0x0
	ds_store_b128 v0, v[2:5] offset:9216
	flat_load_b128 v[2:5], v[6:7]
	s_wait_xcnt 0x0
	v_dual_mov_b32 v6, v29 :: v_dual_mov_b32 v7, v29
	s_wait_loadcnt_dscnt 0x0
	ds_store_b128 v0, v[2:5] offset:13824
	s_wait_storecnt_dscnt 0x0
	s_barrier_signal -1
	s_barrier_wait -1
	ds_load_b128 v[8:11], v37
	ds_load_b128 v[52:55], v78 offset:26624
	ds_load_b128 v[56:59], v78 offset:26880
	;; [unrolled: 1-line block ×3, first 2 shown]
	v_mov_b32_e32 v4, v29
	ds_load_b128 v[64:67], v78 offset:27392
	ds_load_b128 v[12:15], v37 offset:4608
	;; [unrolled: 1-line block ×4, first 2 shown]
	v_dual_mov_b32 v2, v29 :: v_dual_mov_b32 v3, v29
	v_mov_b32_e32 v5, v29
	s_wait_dscnt 0x6
	;;#ASMSTART
	v_dot2_f32_f16 v4, v8, v52, v4
	;;#ASMEND
	;;#ASMSTART
	v_dot2_f32_f16 v4, v9, v53, v4
	;;#ASMEND
	;;#ASMSTART
	v_dot2_f32_f16 v4, v10, v54, v4
	;;#ASMEND
	;;#ASMSTART
	v_dot2_f32_f16 v4, v11, v55, v4
	;;#ASMEND
	s_wait_dscnt 0x5
	;;#ASMSTART
	v_dot2_f32_f16 v1, v8, v56, v1
	;;#ASMEND
	;;#ASMSTART
	v_dot2_f32_f16 v1, v9, v57, v1
	;;#ASMEND
	;;#ASMSTART
	v_dot2_f32_f16 v1, v10, v58, v1
	;;#ASMEND
	;;#ASMSTART
	v_dot2_f32_f16 v1, v11, v59, v1
	;;#ASMEND
	;; [unrolled: 13-line block ×5, first 2 shown]
	;;#ASMSTART
	v_dot2_f32_f16 v5, v12, v56, v5
	;;#ASMEND
	;;#ASMSTART
	v_dot2_f32_f16 v5, v13, v57, v5
	;;#ASMEND
	;; [unrolled: 3-line block ×11, first 2 shown]
	v_dual_mov_b32 v8, v29 :: v_dual_mov_b32 v9, v29
	;;#ASMSTART
	v_dot2_f32_f16 v7, v15, v67, v7
	;;#ASMEND
	s_wait_dscnt 0x1
	;;#ASMSTART
	v_dot2_f32_f16 v8, v88, v52, v8
	;;#ASMEND
	;;#ASMSTART
	v_dot2_f32_f16 v8, v89, v53, v8
	;;#ASMEND
	;; [unrolled: 3-line block ×7, first 2 shown]
	v_dual_mov_b32 v10, v29 :: v_dual_mov_b32 v11, v29
	;;#ASMSTART
	v_dot2_f32_f16 v9, v91, v59, v9
	;;#ASMEND
	;;#ASMSTART
	v_dot2_f32_f16 v10, v88, v60, v10
	;;#ASMEND
	;; [unrolled: 3-line block ×8, first 2 shown]
	v_dual_mov_b32 v12, v29 :: v_dual_mov_b32 v13, v29
	;;#ASMSTART
	v_dot2_f32_f16 v11, v91, v67, v11
	;;#ASMEND
	s_wait_dscnt 0x0
	;;#ASMSTART
	v_dot2_f32_f16 v12, v92, v52, v12
	;;#ASMEND
	;;#ASMSTART
	v_dot2_f32_f16 v12, v93, v53, v12
	;;#ASMEND
	;; [unrolled: 3-line block ×7, first 2 shown]
	v_dual_mov_b32 v14, v29 :: v_dual_mov_b32 v15, v29
	;;#ASMSTART
	v_dot2_f32_f16 v13, v95, v59, v13
	;;#ASMEND
	;;#ASMSTART
	v_dot2_f32_f16 v14, v92, v60, v14
	;;#ASMEND
	;; [unrolled: 3-line block ×9, first 2 shown]
	ds_load_b128 v[52:55], v37 offset:16
	ds_load_b128 v[56:59], v78 offset:26640
	;; [unrolled: 1-line block ×8, first 2 shown]
	s_wait_dscnt 0x6
	;;#ASMSTART
	v_dot2_f32_f16 v4, v52, v56, v4
	;;#ASMEND
	;;#ASMSTART
	v_dot2_f32_f16 v4, v53, v57, v4
	;;#ASMEND
	;;#ASMSTART
	v_dot2_f32_f16 v4, v54, v58, v4
	;;#ASMEND
	;;#ASMSTART
	v_dot2_f32_f16 v4, v55, v59, v4
	;;#ASMEND
	s_wait_dscnt 0x5
	;;#ASMSTART
	v_dot2_f32_f16 v1, v52, v60, v1
	;;#ASMEND
	;;#ASMSTART
	v_dot2_f32_f16 v1, v53, v61, v1
	;;#ASMEND
	;;#ASMSTART
	v_dot2_f32_f16 v1, v54, v62, v1
	;;#ASMEND
	;;#ASMSTART
	v_dot2_f32_f16 v1, v55, v63, v1
	;;#ASMEND
	;; [unrolled: 13-line block ×5, first 2 shown]
	;;#ASMSTART
	v_dot2_f32_f16 v5, v92, v60, v5
	;;#ASMEND
	;;#ASMSTART
	v_dot2_f32_f16 v5, v93, v61, v5
	;;#ASMEND
	;; [unrolled: 3-line block ×12, first 2 shown]
	s_wait_dscnt 0x1
	;;#ASMSTART
	v_dot2_f32_f16 v8, v104, v56, v8
	;;#ASMEND
	;;#ASMSTART
	v_dot2_f32_f16 v8, v105, v57, v8
	;;#ASMEND
	;; [unrolled: 3-line block ×16, first 2 shown]
	s_wait_dscnt 0x0
	;;#ASMSTART
	v_dot2_f32_f16 v12, v108, v56, v12
	;;#ASMEND
	;;#ASMSTART
	v_dot2_f32_f16 v12, v109, v57, v12
	;;#ASMEND
	;; [unrolled: 3-line block ×16, first 2 shown]
	ds_load_b128 v[52:55], v37 offset:32
	ds_load_b128 v[56:59], v78 offset:26656
	;; [unrolled: 1-line block ×8, first 2 shown]
	s_wait_dscnt 0x6
	;;#ASMSTART
	v_dot2_f32_f16 v4, v52, v56, v4
	;;#ASMEND
	;;#ASMSTART
	v_dot2_f32_f16 v4, v53, v57, v4
	;;#ASMEND
	;;#ASMSTART
	v_dot2_f32_f16 v4, v54, v58, v4
	;;#ASMEND
	;;#ASMSTART
	v_dot2_f32_f16 v4, v55, v59, v4
	;;#ASMEND
	s_wait_dscnt 0x5
	;;#ASMSTART
	v_dot2_f32_f16 v1, v52, v60, v1
	;;#ASMEND
	;;#ASMSTART
	v_dot2_f32_f16 v1, v53, v61, v1
	;;#ASMEND
	;;#ASMSTART
	v_dot2_f32_f16 v1, v54, v62, v1
	;;#ASMEND
	;;#ASMSTART
	v_dot2_f32_f16 v1, v55, v63, v1
	;;#ASMEND
	;; [unrolled: 13-line block ×5, first 2 shown]
	;;#ASMSTART
	v_dot2_f32_f16 v5, v92, v60, v5
	;;#ASMEND
	;;#ASMSTART
	v_dot2_f32_f16 v5, v93, v61, v5
	;;#ASMEND
	;; [unrolled: 3-line block ×12, first 2 shown]
	s_wait_dscnt 0x1
	;;#ASMSTART
	v_dot2_f32_f16 v8, v104, v56, v8
	;;#ASMEND
	;;#ASMSTART
	v_dot2_f32_f16 v8, v105, v57, v8
	;;#ASMEND
	;; [unrolled: 3-line block ×16, first 2 shown]
	s_wait_dscnt 0x0
	;;#ASMSTART
	v_dot2_f32_f16 v12, v108, v56, v12
	;;#ASMEND
	;;#ASMSTART
	v_dot2_f32_f16 v12, v109, v57, v12
	;;#ASMEND
	;; [unrolled: 3-line block ×16, first 2 shown]
	ds_load_b128 v[52:55], v37 offset:48
	ds_load_b128 v[56:59], v78 offset:26672
	;; [unrolled: 1-line block ×8, first 2 shown]
	s_wait_dscnt 0x6
	;;#ASMSTART
	v_dot2_f32_f16 v4, v52, v56, v4
	;;#ASMEND
	;;#ASMSTART
	v_dot2_f32_f16 v4, v53, v57, v4
	;;#ASMEND
	;;#ASMSTART
	v_dot2_f32_f16 v4, v54, v58, v4
	;;#ASMEND
	;;#ASMSTART
	v_dot2_f32_f16 v4, v55, v59, v4
	;;#ASMEND
	s_wait_dscnt 0x5
	;;#ASMSTART
	v_dot2_f32_f16 v1, v52, v60, v1
	;;#ASMEND
	;;#ASMSTART
	v_dot2_f32_f16 v1, v53, v61, v1
	;;#ASMEND
	;;#ASMSTART
	v_dot2_f32_f16 v1, v54, v62, v1
	;;#ASMEND
	;;#ASMSTART
	v_dot2_f32_f16 v1, v55, v63, v1
	;;#ASMEND
	;; [unrolled: 13-line block ×5, first 2 shown]
	;;#ASMSTART
	v_dot2_f32_f16 v5, v92, v60, v5
	;;#ASMEND
	;;#ASMSTART
	v_dot2_f32_f16 v5, v93, v61, v5
	;;#ASMEND
	;; [unrolled: 3-line block ×12, first 2 shown]
	s_wait_dscnt 0x1
	;;#ASMSTART
	v_dot2_f32_f16 v8, v104, v56, v8
	;;#ASMEND
	;;#ASMSTART
	v_dot2_f32_f16 v8, v105, v57, v8
	;;#ASMEND
	;; [unrolled: 3-line block ×16, first 2 shown]
	s_wait_dscnt 0x0
	;;#ASMSTART
	v_dot2_f32_f16 v12, v108, v56, v12
	;;#ASMEND
	;;#ASMSTART
	v_dot2_f32_f16 v12, v109, v57, v12
	;;#ASMEND
	;; [unrolled: 3-line block ×16, first 2 shown]
	ds_load_b128 v[52:55], v37 offset:64
	ds_load_b128 v[56:59], v78 offset:26688
	;; [unrolled: 1-line block ×8, first 2 shown]
	s_wait_dscnt 0x6
	;;#ASMSTART
	v_dot2_f32_f16 v4, v52, v56, v4
	;;#ASMEND
	;;#ASMSTART
	v_dot2_f32_f16 v4, v53, v57, v4
	;;#ASMEND
	;;#ASMSTART
	v_dot2_f32_f16 v4, v54, v58, v4
	;;#ASMEND
	;;#ASMSTART
	v_dot2_f32_f16 v4, v55, v59, v4
	;;#ASMEND
	s_wait_dscnt 0x5
	;;#ASMSTART
	v_dot2_f32_f16 v1, v52, v60, v1
	;;#ASMEND
	;;#ASMSTART
	v_dot2_f32_f16 v1, v53, v61, v1
	;;#ASMEND
	;;#ASMSTART
	v_dot2_f32_f16 v1, v54, v62, v1
	;;#ASMEND
	;;#ASMSTART
	v_dot2_f32_f16 v1, v55, v63, v1
	;;#ASMEND
	s_wait_dscnt 0x4
	;;#ASMSTART
	v_dot2_f32_f16 v2, v52, v64, v2
	;;#ASMEND
	;;#ASMSTART
	v_dot2_f32_f16 v2, v53, v65, v2
	;;#ASMEND
	;;#ASMSTART
	v_dot2_f32_f16 v2, v54, v66, v2
	;;#ASMEND
	;;#ASMSTART
	v_dot2_f32_f16 v2, v55, v67, v2
	;;#ASMEND
	s_wait_dscnt 0x3
	;;#ASMSTART
	v_dot2_f32_f16 v3, v52, v88, v3
	;;#ASMEND
	;;#ASMSTART
	v_dot2_f32_f16 v3, v53, v89, v3
	;;#ASMEND
	;;#ASMSTART
	v_dot2_f32_f16 v3, v54, v90, v3
	;;#ASMEND
	;;#ASMSTART
	v_dot2_f32_f16 v3, v55, v91, v3
	;;#ASMEND
	s_wait_dscnt 0x2
	;;#ASMSTART
	v_dot2_f32_f16 v41, v92, v56, v41
	;;#ASMEND
	;;#ASMSTART
	v_dot2_f32_f16 v41, v93, v57, v41
	;;#ASMEND
	;;#ASMSTART
	v_dot2_f32_f16 v41, v94, v58, v41
	;;#ASMEND
	;;#ASMSTART
	v_dot2_f32_f16 v41, v95, v59, v41
	;;#ASMEND
	;;#ASMSTART
	v_dot2_f32_f16 v5, v92, v60, v5
	;;#ASMEND
	;;#ASMSTART
	v_dot2_f32_f16 v5, v93, v61, v5
	;;#ASMEND
	;; [unrolled: 3-line block ×12, first 2 shown]
	s_wait_dscnt 0x1
	;;#ASMSTART
	v_dot2_f32_f16 v8, v104, v56, v8
	;;#ASMEND
	;;#ASMSTART
	v_dot2_f32_f16 v8, v105, v57, v8
	;;#ASMEND
	;; [unrolled: 3-line block ×16, first 2 shown]
	s_wait_dscnt 0x0
	;;#ASMSTART
	v_dot2_f32_f16 v12, v108, v56, v12
	;;#ASMEND
	;;#ASMSTART
	v_dot2_f32_f16 v12, v109, v57, v12
	;;#ASMEND
	;; [unrolled: 3-line block ×16, first 2 shown]
	ds_load_b128 v[52:55], v37 offset:80
	ds_load_b128 v[56:59], v78 offset:26704
	;; [unrolled: 1-line block ×8, first 2 shown]
	s_wait_dscnt 0x6
	;;#ASMSTART
	v_dot2_f32_f16 v4, v52, v56, v4
	;;#ASMEND
	;;#ASMSTART
	v_dot2_f32_f16 v4, v53, v57, v4
	;;#ASMEND
	;;#ASMSTART
	v_dot2_f32_f16 v4, v54, v58, v4
	;;#ASMEND
	;;#ASMSTART
	v_dot2_f32_f16 v4, v55, v59, v4
	;;#ASMEND
	s_wait_dscnt 0x5
	;;#ASMSTART
	v_dot2_f32_f16 v1, v52, v60, v1
	;;#ASMEND
	;;#ASMSTART
	v_dot2_f32_f16 v1, v53, v61, v1
	;;#ASMEND
	;;#ASMSTART
	v_dot2_f32_f16 v1, v54, v62, v1
	;;#ASMEND
	;;#ASMSTART
	v_dot2_f32_f16 v1, v55, v63, v1
	;;#ASMEND
	s_wait_dscnt 0x4
	;;#ASMSTART
	v_dot2_f32_f16 v2, v52, v64, v2
	;;#ASMEND
	;;#ASMSTART
	v_dot2_f32_f16 v2, v53, v65, v2
	;;#ASMEND
	;;#ASMSTART
	v_dot2_f32_f16 v2, v54, v66, v2
	;;#ASMEND
	;;#ASMSTART
	v_dot2_f32_f16 v2, v55, v67, v2
	;;#ASMEND
	s_wait_dscnt 0x3
	;;#ASMSTART
	v_dot2_f32_f16 v3, v52, v88, v3
	;;#ASMEND
	;;#ASMSTART
	v_dot2_f32_f16 v3, v53, v89, v3
	;;#ASMEND
	;;#ASMSTART
	v_dot2_f32_f16 v3, v54, v90, v3
	;;#ASMEND
	;;#ASMSTART
	v_dot2_f32_f16 v3, v55, v91, v3
	;;#ASMEND
	s_wait_dscnt 0x2
	;;#ASMSTART
	v_dot2_f32_f16 v41, v92, v56, v41
	;;#ASMEND
	;;#ASMSTART
	v_dot2_f32_f16 v41, v93, v57, v41
	;;#ASMEND
	;;#ASMSTART
	v_dot2_f32_f16 v41, v94, v58, v41
	;;#ASMEND
	;;#ASMSTART
	v_dot2_f32_f16 v41, v95, v59, v41
	;;#ASMEND
	;;#ASMSTART
	v_dot2_f32_f16 v5, v92, v60, v5
	;;#ASMEND
	;;#ASMSTART
	v_dot2_f32_f16 v5, v93, v61, v5
	;;#ASMEND
	;; [unrolled: 3-line block ×12, first 2 shown]
	s_wait_dscnt 0x1
	;;#ASMSTART
	v_dot2_f32_f16 v8, v104, v56, v8
	;;#ASMEND
	;;#ASMSTART
	v_dot2_f32_f16 v8, v105, v57, v8
	;;#ASMEND
	;; [unrolled: 3-line block ×16, first 2 shown]
	s_wait_dscnt 0x0
	;;#ASMSTART
	v_dot2_f32_f16 v12, v108, v56, v12
	;;#ASMEND
	;;#ASMSTART
	v_dot2_f32_f16 v12, v109, v57, v12
	;;#ASMEND
	;; [unrolled: 3-line block ×16, first 2 shown]
	ds_load_b128 v[52:55], v37 offset:96
	ds_load_b128 v[56:59], v78 offset:26720
	;; [unrolled: 1-line block ×8, first 2 shown]
	s_wait_dscnt 0x6
	;;#ASMSTART
	v_dot2_f32_f16 v4, v52, v56, v4
	;;#ASMEND
	;;#ASMSTART
	v_dot2_f32_f16 v4, v53, v57, v4
	;;#ASMEND
	;;#ASMSTART
	v_dot2_f32_f16 v4, v54, v58, v4
	;;#ASMEND
	;;#ASMSTART
	v_dot2_f32_f16 v4, v55, v59, v4
	;;#ASMEND
	s_wait_dscnt 0x5
	;;#ASMSTART
	v_dot2_f32_f16 v1, v52, v60, v1
	;;#ASMEND
	;;#ASMSTART
	v_dot2_f32_f16 v1, v53, v61, v1
	;;#ASMEND
	;;#ASMSTART
	v_dot2_f32_f16 v1, v54, v62, v1
	;;#ASMEND
	;;#ASMSTART
	v_dot2_f32_f16 v1, v55, v63, v1
	;;#ASMEND
	;; [unrolled: 13-line block ×5, first 2 shown]
	;;#ASMSTART
	v_dot2_f32_f16 v5, v92, v60, v5
	;;#ASMEND
	;;#ASMSTART
	v_dot2_f32_f16 v5, v93, v61, v5
	;;#ASMEND
	;; [unrolled: 3-line block ×12, first 2 shown]
	s_wait_dscnt 0x1
	;;#ASMSTART
	v_dot2_f32_f16 v8, v104, v56, v8
	;;#ASMEND
	;;#ASMSTART
	v_dot2_f32_f16 v8, v105, v57, v8
	;;#ASMEND
	;; [unrolled: 3-line block ×16, first 2 shown]
	s_wait_dscnt 0x0
	;;#ASMSTART
	v_dot2_f32_f16 v12, v108, v56, v12
	;;#ASMEND
	;;#ASMSTART
	v_dot2_f32_f16 v12, v109, v57, v12
	;;#ASMEND
	;; [unrolled: 3-line block ×16, first 2 shown]
	ds_load_b128 v[52:55], v37 offset:112
	ds_load_b128 v[56:59], v78 offset:26736
	;; [unrolled: 1-line block ×8, first 2 shown]
	s_wait_dscnt 0x6
	;;#ASMSTART
	v_dot2_f32_f16 v4, v52, v56, v4
	;;#ASMEND
	;;#ASMSTART
	v_dot2_f32_f16 v4, v53, v57, v4
	;;#ASMEND
	;;#ASMSTART
	v_dot2_f32_f16 v4, v54, v58, v4
	;;#ASMEND
	;;#ASMSTART
	v_dot2_f32_f16 v4, v55, v59, v4
	;;#ASMEND
	s_wait_dscnt 0x5
	;;#ASMSTART
	v_dot2_f32_f16 v1, v52, v60, v1
	;;#ASMEND
	;;#ASMSTART
	v_dot2_f32_f16 v1, v53, v61, v1
	;;#ASMEND
	;;#ASMSTART
	v_dot2_f32_f16 v1, v54, v62, v1
	;;#ASMEND
	;;#ASMSTART
	v_dot2_f32_f16 v1, v55, v63, v1
	;;#ASMEND
	;; [unrolled: 13-line block ×5, first 2 shown]
	;;#ASMSTART
	v_dot2_f32_f16 v5, v92, v60, v5
	;;#ASMEND
	;;#ASMSTART
	v_dot2_f32_f16 v5, v93, v61, v5
	;;#ASMEND
	;; [unrolled: 3-line block ×12, first 2 shown]
	s_wait_dscnt 0x1
	;;#ASMSTART
	v_dot2_f32_f16 v8, v104, v56, v8
	;;#ASMEND
	;;#ASMSTART
	v_dot2_f32_f16 v8, v105, v57, v8
	;;#ASMEND
	;; [unrolled: 3-line block ×16, first 2 shown]
	s_wait_dscnt 0x0
	;;#ASMSTART
	v_dot2_f32_f16 v12, v108, v56, v12
	;;#ASMEND
	;;#ASMSTART
	v_dot2_f32_f16 v12, v109, v57, v12
	;;#ASMEND
	;; [unrolled: 3-line block ×16, first 2 shown]
	s_barrier_signal -1
	s_barrier_wait -1
	s_clause 0x1
	scratch_store_b32 off, v29, off
	scratch_store_b96 off, v[24:26], off offset:4
	flat_load_b128 v[30:33], v[32:33]
	s_wait_loadcnt_dscnt 0x0
	ds_store_b128 v0, v[30:33]
	s_clause 0x1
	scratch_store_b32 off, v29, off
	scratch_store_b96 off, v[24:26], off offset:4
	flat_load_b128 v[30:33], v[34:35]
	s_wait_loadcnt_dscnt 0x0
	ds_store_b128 v0, v[30:33] offset:4608
	s_clause 0x1
	scratch_store_b32 off, v29, off
	scratch_store_b96 off, v[24:26], off offset:4
	flat_load_b128 v[30:33], v[48:49]
	s_wait_loadcnt_dscnt 0x0
	ds_store_b128 v0, v[30:33] offset:9216
	s_clause 0x1
	scratch_store_b96 off, v[24:26], off offset:4
	scratch_store_b32 off, v29, off
	flat_load_b128 v[24:27], v[50:51]
	s_wait_loadcnt_dscnt 0x0
	ds_store_b128 v0, v[24:27] offset:13824
	s_wait_storecnt_dscnt 0x0
	s_barrier_signal -1
	s_barrier_wait -1
	ds_load_b128 v[24:27], v37
	s_wait_xcnt 0x1
	ds_load_b128 v[28:31], v78 offset:26752
	ds_load_b128 v[32:35], v78 offset:27008
	s_wait_xcnt 0x0
	ds_load_b128 v[48:51], v78 offset:27264
	ds_load_b128 v[52:55], v78 offset:27520
	;; [unrolled: 1-line block ×5, first 2 shown]
	s_wait_dscnt 0x6
	;;#ASMSTART
	v_dot2_f32_f16 v4, v24, v28, v4
	;;#ASMEND
	;;#ASMSTART
	v_dot2_f32_f16 v4, v25, v29, v4
	;;#ASMEND
	;;#ASMSTART
	v_dot2_f32_f16 v4, v26, v30, v4
	;;#ASMEND
	;;#ASMSTART
	v_dot2_f32_f16 v4, v27, v31, v4
	;;#ASMEND
	s_wait_dscnt 0x5
	;;#ASMSTART
	v_dot2_f32_f16 v1, v24, v32, v1
	;;#ASMEND
	;;#ASMSTART
	v_dot2_f32_f16 v1, v25, v33, v1
	;;#ASMEND
	;;#ASMSTART
	v_dot2_f32_f16 v1, v26, v34, v1
	;;#ASMEND
	;;#ASMSTART
	v_dot2_f32_f16 v1, v27, v35, v1
	;;#ASMEND
	;; [unrolled: 13-line block ×5, first 2 shown]
	;;#ASMSTART
	v_dot2_f32_f16 v5, v56, v32, v5
	;;#ASMEND
	;;#ASMSTART
	v_dot2_f32_f16 v5, v57, v33, v5
	;;#ASMEND
	;; [unrolled: 3-line block ×12, first 2 shown]
	s_wait_dscnt 0x1
	;;#ASMSTART
	v_dot2_f32_f16 v8, v60, v28, v8
	;;#ASMEND
	;;#ASMSTART
	v_dot2_f32_f16 v8, v61, v29, v8
	;;#ASMEND
	;; [unrolled: 3-line block ×16, first 2 shown]
	s_wait_dscnt 0x0
	;;#ASMSTART
	v_dot2_f32_f16 v12, v64, v28, v12
	;;#ASMEND
	;;#ASMSTART
	v_dot2_f32_f16 v12, v65, v29, v12
	;;#ASMEND
	;; [unrolled: 3-line block ×16, first 2 shown]
	ds_load_b128 v[24:27], v37 offset:16
	ds_load_b128 v[28:31], v78 offset:26768
	;; [unrolled: 1-line block ×8, first 2 shown]
	s_wait_dscnt 0x6
	;;#ASMSTART
	v_dot2_f32_f16 v4, v24, v28, v4
	;;#ASMEND
	;;#ASMSTART
	v_dot2_f32_f16 v4, v25, v29, v4
	;;#ASMEND
	;;#ASMSTART
	v_dot2_f32_f16 v4, v26, v30, v4
	;;#ASMEND
	;;#ASMSTART
	v_dot2_f32_f16 v4, v27, v31, v4
	;;#ASMEND
	s_wait_dscnt 0x5
	;;#ASMSTART
	v_dot2_f32_f16 v1, v24, v32, v1
	;;#ASMEND
	;;#ASMSTART
	v_dot2_f32_f16 v1, v25, v33, v1
	;;#ASMEND
	;;#ASMSTART
	v_dot2_f32_f16 v1, v26, v34, v1
	;;#ASMEND
	;;#ASMSTART
	v_dot2_f32_f16 v1, v27, v35, v1
	;;#ASMEND
	;; [unrolled: 13-line block ×5, first 2 shown]
	;;#ASMSTART
	v_dot2_f32_f16 v5, v56, v32, v5
	;;#ASMEND
	;;#ASMSTART
	v_dot2_f32_f16 v5, v57, v33, v5
	;;#ASMEND
	;; [unrolled: 3-line block ×12, first 2 shown]
	s_wait_dscnt 0x1
	;;#ASMSTART
	v_dot2_f32_f16 v8, v60, v28, v8
	;;#ASMEND
	;;#ASMSTART
	v_dot2_f32_f16 v8, v61, v29, v8
	;;#ASMEND
	;; [unrolled: 3-line block ×16, first 2 shown]
	s_wait_dscnt 0x0
	;;#ASMSTART
	v_dot2_f32_f16 v12, v64, v28, v12
	;;#ASMEND
	;;#ASMSTART
	v_dot2_f32_f16 v12, v65, v29, v12
	;;#ASMEND
	;; [unrolled: 3-line block ×16, first 2 shown]
	ds_load_b128 v[24:27], v37 offset:32
	ds_load_b128 v[28:31], v78 offset:26784
	;; [unrolled: 1-line block ×8, first 2 shown]
	s_wait_dscnt 0x6
	;;#ASMSTART
	v_dot2_f32_f16 v4, v24, v28, v4
	;;#ASMEND
	;;#ASMSTART
	v_dot2_f32_f16 v4, v25, v29, v4
	;;#ASMEND
	;;#ASMSTART
	v_dot2_f32_f16 v4, v26, v30, v4
	;;#ASMEND
	;;#ASMSTART
	v_dot2_f32_f16 v4, v27, v31, v4
	;;#ASMEND
	s_wait_dscnt 0x5
	;;#ASMSTART
	v_dot2_f32_f16 v1, v24, v32, v1
	;;#ASMEND
	;;#ASMSTART
	v_dot2_f32_f16 v1, v25, v33, v1
	;;#ASMEND
	;;#ASMSTART
	v_dot2_f32_f16 v1, v26, v34, v1
	;;#ASMEND
	;;#ASMSTART
	v_dot2_f32_f16 v1, v27, v35, v1
	;;#ASMEND
	;; [unrolled: 13-line block ×5, first 2 shown]
	;;#ASMSTART
	v_dot2_f32_f16 v5, v56, v32, v5
	;;#ASMEND
	;;#ASMSTART
	v_dot2_f32_f16 v5, v57, v33, v5
	;;#ASMEND
	;; [unrolled: 3-line block ×12, first 2 shown]
	s_wait_dscnt 0x1
	;;#ASMSTART
	v_dot2_f32_f16 v8, v60, v28, v8
	;;#ASMEND
	;;#ASMSTART
	v_dot2_f32_f16 v8, v61, v29, v8
	;;#ASMEND
	;; [unrolled: 3-line block ×16, first 2 shown]
	s_wait_dscnt 0x0
	;;#ASMSTART
	v_dot2_f32_f16 v12, v64, v28, v12
	;;#ASMEND
	;;#ASMSTART
	v_dot2_f32_f16 v12, v65, v29, v12
	;;#ASMEND
	;; [unrolled: 3-line block ×16, first 2 shown]
	ds_load_b128 v[24:27], v37 offset:48
	ds_load_b128 v[28:31], v78 offset:26800
	;; [unrolled: 1-line block ×8, first 2 shown]
	s_wait_dscnt 0x6
	;;#ASMSTART
	v_dot2_f32_f16 v4, v24, v28, v4
	;;#ASMEND
	;;#ASMSTART
	v_dot2_f32_f16 v4, v25, v29, v4
	;;#ASMEND
	;;#ASMSTART
	v_dot2_f32_f16 v4, v26, v30, v4
	;;#ASMEND
	;;#ASMSTART
	v_dot2_f32_f16 v4, v27, v31, v4
	;;#ASMEND
	s_wait_dscnt 0x5
	;;#ASMSTART
	v_dot2_f32_f16 v1, v24, v32, v1
	;;#ASMEND
	;;#ASMSTART
	v_dot2_f32_f16 v1, v25, v33, v1
	;;#ASMEND
	;;#ASMSTART
	v_dot2_f32_f16 v1, v26, v34, v1
	;;#ASMEND
	;;#ASMSTART
	v_dot2_f32_f16 v1, v27, v35, v1
	;;#ASMEND
	s_wait_dscnt 0x4
	;;#ASMSTART
	v_dot2_f32_f16 v2, v24, v48, v2
	;;#ASMEND
	;;#ASMSTART
	v_dot2_f32_f16 v2, v25, v49, v2
	;;#ASMEND
	;;#ASMSTART
	v_dot2_f32_f16 v2, v26, v50, v2
	;;#ASMEND
	;;#ASMSTART
	v_dot2_f32_f16 v2, v27, v51, v2
	;;#ASMEND
	s_wait_dscnt 0x3
	;;#ASMSTART
	v_dot2_f32_f16 v3, v24, v52, v3
	;;#ASMEND
	;;#ASMSTART
	v_dot2_f32_f16 v3, v25, v53, v3
	;;#ASMEND
	;;#ASMSTART
	v_dot2_f32_f16 v3, v26, v54, v3
	;;#ASMEND
	;;#ASMSTART
	v_dot2_f32_f16 v3, v27, v55, v3
	;;#ASMEND
	s_wait_dscnt 0x2
	;;#ASMSTART
	v_dot2_f32_f16 v41, v56, v28, v41
	;;#ASMEND
	;;#ASMSTART
	v_dot2_f32_f16 v41, v57, v29, v41
	;;#ASMEND
	;;#ASMSTART
	v_dot2_f32_f16 v41, v58, v30, v41
	;;#ASMEND
	;;#ASMSTART
	v_dot2_f32_f16 v41, v59, v31, v41
	;;#ASMEND
	;;#ASMSTART
	v_dot2_f32_f16 v5, v56, v32, v5
	;;#ASMEND
	;;#ASMSTART
	v_dot2_f32_f16 v5, v57, v33, v5
	;;#ASMEND
	;; [unrolled: 3-line block ×12, first 2 shown]
	s_wait_dscnt 0x1
	;;#ASMSTART
	v_dot2_f32_f16 v8, v60, v28, v8
	;;#ASMEND
	;;#ASMSTART
	v_dot2_f32_f16 v8, v61, v29, v8
	;;#ASMEND
	;; [unrolled: 3-line block ×16, first 2 shown]
	s_wait_dscnt 0x0
	;;#ASMSTART
	v_dot2_f32_f16 v12, v64, v28, v12
	;;#ASMEND
	;;#ASMSTART
	v_dot2_f32_f16 v12, v65, v29, v12
	;;#ASMEND
	;; [unrolled: 3-line block ×16, first 2 shown]
	ds_load_b128 v[24:27], v37 offset:64
	ds_load_b128 v[28:31], v78 offset:26816
	;; [unrolled: 1-line block ×8, first 2 shown]
	s_wait_dscnt 0x6
	;;#ASMSTART
	v_dot2_f32_f16 v4, v24, v28, v4
	;;#ASMEND
	;;#ASMSTART
	v_dot2_f32_f16 v4, v25, v29, v4
	;;#ASMEND
	;;#ASMSTART
	v_dot2_f32_f16 v4, v26, v30, v4
	;;#ASMEND
	;;#ASMSTART
	v_dot2_f32_f16 v4, v27, v31, v4
	;;#ASMEND
	s_wait_dscnt 0x5
	;;#ASMSTART
	v_dot2_f32_f16 v1, v24, v32, v1
	;;#ASMEND
	;;#ASMSTART
	v_dot2_f32_f16 v1, v25, v33, v1
	;;#ASMEND
	;;#ASMSTART
	v_dot2_f32_f16 v1, v26, v34, v1
	;;#ASMEND
	;;#ASMSTART
	v_dot2_f32_f16 v1, v27, v35, v1
	;;#ASMEND
	;; [unrolled: 13-line block ×5, first 2 shown]
	;;#ASMSTART
	v_dot2_f32_f16 v5, v56, v32, v5
	;;#ASMEND
	;;#ASMSTART
	v_dot2_f32_f16 v5, v57, v33, v5
	;;#ASMEND
	;; [unrolled: 3-line block ×12, first 2 shown]
	s_wait_dscnt 0x1
	;;#ASMSTART
	v_dot2_f32_f16 v8, v60, v28, v8
	;;#ASMEND
	;;#ASMSTART
	v_dot2_f32_f16 v8, v61, v29, v8
	;;#ASMEND
	;; [unrolled: 3-line block ×16, first 2 shown]
	s_wait_dscnt 0x0
	;;#ASMSTART
	v_dot2_f32_f16 v12, v64, v28, v12
	;;#ASMEND
	;;#ASMSTART
	v_dot2_f32_f16 v12, v65, v29, v12
	;;#ASMEND
	;; [unrolled: 3-line block ×16, first 2 shown]
	ds_load_b128 v[24:27], v37 offset:80
	ds_load_b128 v[28:31], v78 offset:26832
	;; [unrolled: 1-line block ×8, first 2 shown]
	s_wait_dscnt 0x6
	;;#ASMSTART
	v_dot2_f32_f16 v4, v24, v28, v4
	;;#ASMEND
	;;#ASMSTART
	v_dot2_f32_f16 v4, v25, v29, v4
	;;#ASMEND
	;;#ASMSTART
	v_dot2_f32_f16 v4, v26, v30, v4
	;;#ASMEND
	;;#ASMSTART
	v_dot2_f32_f16 v4, v27, v31, v4
	;;#ASMEND
	s_wait_dscnt 0x5
	;;#ASMSTART
	v_dot2_f32_f16 v1, v24, v32, v1
	;;#ASMEND
	;;#ASMSTART
	v_dot2_f32_f16 v1, v25, v33, v1
	;;#ASMEND
	;;#ASMSTART
	v_dot2_f32_f16 v1, v26, v34, v1
	;;#ASMEND
	;;#ASMSTART
	v_dot2_f32_f16 v1, v27, v35, v1
	;;#ASMEND
	s_wait_dscnt 0x4
	;;#ASMSTART
	v_dot2_f32_f16 v2, v24, v48, v2
	;;#ASMEND
	;;#ASMSTART
	v_dot2_f32_f16 v2, v25, v49, v2
	;;#ASMEND
	;;#ASMSTART
	v_dot2_f32_f16 v2, v26, v50, v2
	;;#ASMEND
	;;#ASMSTART
	v_dot2_f32_f16 v2, v27, v51, v2
	;;#ASMEND
	s_wait_dscnt 0x3
	;;#ASMSTART
	v_dot2_f32_f16 v3, v24, v52, v3
	;;#ASMEND
	;;#ASMSTART
	v_dot2_f32_f16 v3, v25, v53, v3
	;;#ASMEND
	;;#ASMSTART
	v_dot2_f32_f16 v3, v26, v54, v3
	;;#ASMEND
	;;#ASMSTART
	v_dot2_f32_f16 v3, v27, v55, v3
	;;#ASMEND
	s_wait_dscnt 0x2
	;;#ASMSTART
	v_dot2_f32_f16 v41, v56, v28, v41
	;;#ASMEND
	;;#ASMSTART
	v_dot2_f32_f16 v41, v57, v29, v41
	;;#ASMEND
	;;#ASMSTART
	v_dot2_f32_f16 v41, v58, v30, v41
	;;#ASMEND
	;;#ASMSTART
	v_dot2_f32_f16 v41, v59, v31, v41
	;;#ASMEND
	;;#ASMSTART
	v_dot2_f32_f16 v5, v56, v32, v5
	;;#ASMEND
	;;#ASMSTART
	v_dot2_f32_f16 v5, v57, v33, v5
	;;#ASMEND
	;; [unrolled: 3-line block ×12, first 2 shown]
	s_wait_dscnt 0x1
	;;#ASMSTART
	v_dot2_f32_f16 v8, v60, v28, v8
	;;#ASMEND
	;;#ASMSTART
	v_dot2_f32_f16 v8, v61, v29, v8
	;;#ASMEND
	;; [unrolled: 3-line block ×16, first 2 shown]
	s_wait_dscnt 0x0
	;;#ASMSTART
	v_dot2_f32_f16 v12, v64, v28, v12
	;;#ASMEND
	;;#ASMSTART
	v_dot2_f32_f16 v12, v65, v29, v12
	;;#ASMEND
	;;#ASMSTART
	v_dot2_f32_f16 v12, v66, v30, v12
	;;#ASMEND
	;;#ASMSTART
	v_dot2_f32_f16 v12, v67, v31, v12
	;;#ASMEND
	;;#ASMSTART
	v_dot2_f32_f16 v13, v64, v32, v13
	;;#ASMEND
	;;#ASMSTART
	v_dot2_f32_f16 v13, v65, v33, v13
	;;#ASMEND
	;;#ASMSTART
	v_dot2_f32_f16 v13, v66, v34, v13
	;;#ASMEND
	;;#ASMSTART
	v_dot2_f32_f16 v13, v67, v35, v13
	;;#ASMEND
	;;#ASMSTART
	v_dot2_f32_f16 v14, v64, v48, v14
	;;#ASMEND
	;;#ASMSTART
	v_dot2_f32_f16 v14, v65, v49, v14
	;;#ASMEND
	;;#ASMSTART
	v_dot2_f32_f16 v14, v66, v50, v14
	;;#ASMEND
	;;#ASMSTART
	v_dot2_f32_f16 v14, v67, v51, v14
	;;#ASMEND
	;;#ASMSTART
	v_dot2_f32_f16 v15, v64, v52, v15
	;;#ASMEND
	;;#ASMSTART
	v_dot2_f32_f16 v15, v65, v53, v15
	;;#ASMEND
	;;#ASMSTART
	v_dot2_f32_f16 v15, v66, v54, v15
	;;#ASMEND
	;;#ASMSTART
	v_dot2_f32_f16 v15, v67, v55, v15
	;;#ASMEND
	ds_load_b128 v[24:27], v37 offset:96
	ds_load_b128 v[28:31], v78 offset:26848
	;; [unrolled: 1-line block ×8, first 2 shown]
	s_wait_dscnt 0x6
	;;#ASMSTART
	v_dot2_f32_f16 v4, v24, v28, v4
	;;#ASMEND
	;;#ASMSTART
	v_dot2_f32_f16 v4, v25, v29, v4
	;;#ASMEND
	;;#ASMSTART
	v_dot2_f32_f16 v4, v26, v30, v4
	;;#ASMEND
	;;#ASMSTART
	v_dot2_f32_f16 v4, v27, v31, v4
	;;#ASMEND
	s_wait_dscnt 0x5
	;;#ASMSTART
	v_dot2_f32_f16 v1, v24, v32, v1
	;;#ASMEND
	;;#ASMSTART
	v_dot2_f32_f16 v1, v25, v33, v1
	;;#ASMEND
	;;#ASMSTART
	v_dot2_f32_f16 v1, v26, v34, v1
	;;#ASMEND
	;;#ASMSTART
	v_dot2_f32_f16 v1, v27, v35, v1
	;;#ASMEND
	;; [unrolled: 13-line block ×5, first 2 shown]
	;;#ASMSTART
	v_dot2_f32_f16 v5, v56, v32, v5
	;;#ASMEND
	;;#ASMSTART
	v_dot2_f32_f16 v5, v57, v33, v5
	;;#ASMEND
	;; [unrolled: 3-line block ×12, first 2 shown]
	s_wait_dscnt 0x1
	;;#ASMSTART
	v_dot2_f32_f16 v8, v60, v28, v8
	;;#ASMEND
	;;#ASMSTART
	v_dot2_f32_f16 v8, v61, v29, v8
	;;#ASMEND
	;; [unrolled: 3-line block ×16, first 2 shown]
	s_wait_dscnt 0x0
	;;#ASMSTART
	v_dot2_f32_f16 v12, v64, v28, v12
	;;#ASMEND
	;;#ASMSTART
	v_dot2_f32_f16 v12, v65, v29, v12
	;;#ASMEND
	;; [unrolled: 3-line block ×16, first 2 shown]
	ds_load_b128 v[24:27], v37 offset:112
	ds_load_b128 v[28:31], v37 offset:4720
	;; [unrolled: 1-line block ×8, first 2 shown]
	s_wait_dscnt 0x3
	;;#ASMSTART
	v_dot2_f32_f16 v4, v24, v52, v4
	;;#ASMEND
	;;#ASMSTART
	v_dot2_f32_f16 v4, v25, v53, v4
	;;#ASMEND
	;;#ASMSTART
	v_dot2_f32_f16 v4, v26, v54, v4
	;;#ASMEND
	;;#ASMSTART
	v_dot2_f32_f16 v4, v27, v55, v4
	;;#ASMEND
	s_wait_dscnt 0x2
	;;#ASMSTART
	v_dot2_f32_f16 v1, v24, v56, v1
	;;#ASMEND
	;;#ASMSTART
	v_dot2_f32_f16 v1, v25, v57, v1
	;;#ASMEND
	;;#ASMSTART
	v_dot2_f32_f16 v1, v26, v58, v1
	;;#ASMEND
	;;#ASMSTART
	v_dot2_f32_f16 v1, v27, v59, v1
	;;#ASMEND
	s_wait_dscnt 0x1
	;;#ASMSTART
	v_dot2_f32_f16 v2, v24, v60, v2
	;;#ASMEND
	;;#ASMSTART
	v_dot2_f32_f16 v2, v25, v61, v2
	;;#ASMEND
	;;#ASMSTART
	v_dot2_f32_f16 v2, v26, v62, v2
	;;#ASMEND
	;;#ASMSTART
	v_dot2_f32_f16 v2, v27, v63, v2
	;;#ASMEND
	s_wait_dscnt 0x0
	;;#ASMSTART
	v_dot2_f32_f16 v3, v24, v64, v3
	;;#ASMEND
	;;#ASMSTART
	v_dot2_f32_f16 v3, v25, v65, v3
	;;#ASMEND
	;;#ASMSTART
	v_dot2_f32_f16 v3, v26, v66, v3
	;;#ASMEND
	;;#ASMSTART
	v_dot2_f32_f16 v3, v27, v67, v3
	;;#ASMEND
	;;#ASMSTART
	v_dot2_f32_f16 v41, v28, v52, v41
	;;#ASMEND
	;;#ASMSTART
	v_dot2_f32_f16 v41, v29, v53, v41
	;;#ASMEND
	;; [unrolled: 3-line block ×42, first 2 shown]
	v_cmp_ngt_f32_e64 s2, 0x3f200000, |v4|
	;;#ASMSTART
	v_dot2_f32_f16 v14, v50, v62, v14
	;;#ASMEND
	;;#ASMSTART
	v_dot2_f32_f16 v14, v51, v63, v14
	;;#ASMEND
	;; [unrolled: 3-line block ×6, first 2 shown]
                                        ; implicit-def: $vgpr0
	s_and_saveexec_b32 s3, s2
	s_delay_alu instid0(SALU_CYCLE_1)
	s_xor_b32 s2, exec_lo, s3
	s_cbranch_execz .LBB87_117
; %bb.116:
	v_add_f32_e64 v0, |v4|, |v4|
	s_delay_alu instid0(VALU_DEP_1) | instskip(SKIP_1) | instid1(VALU_DEP_2)
	v_mul_f32_e32 v24, 0x3fb8aa3b, v0
	v_cmp_ngt_f32_e32 vcc_lo, 0xc2ce8ed0, v0
	v_rndne_f32_e32 v25, v24
	v_fma_f32 v26, 0x3fb8aa3b, v0, -v24
	s_delay_alu instid0(VALU_DEP_2) | instskip(NEXT) | instid1(VALU_DEP_2)
	v_sub_f32_e32 v24, v24, v25
	v_fmamk_f32 v26, v0, 0x32a5705f, v26
	v_cvt_i32_f32_e32 v25, v25
	s_delay_alu instid0(VALU_DEP_2) | instskip(NEXT) | instid1(VALU_DEP_1)
	v_add_f32_e32 v24, v24, v26
	v_exp_f32_e32 v24, v24
	v_nop
	s_delay_alu instid0(TRANS32_DEP_1) | instskip(NEXT) | instid1(VALU_DEP_1)
	v_ldexp_f32 v24, v24, v25
	v_cndmask_b32_e32 v24, 0, v24, vcc_lo
	v_cmp_nlt_f32_e32 vcc_lo, 0x42b17218, v0
	s_delay_alu instid0(VALU_DEP_2) | instskip(NEXT) | instid1(VALU_DEP_1)
	v_cndmask_b32_e32 v0, 0x7f800000, v24, vcc_lo
	v_add_f32_e32 v0, 1.0, v0
	s_delay_alu instid0(VALU_DEP_1) | instskip(SKIP_1) | instid1(TRANS32_DEP_1)
	v_rcp_f32_e32 v0, v0
	v_nop
	v_fma_f32 v0, v0, -2.0, 1.0
.LBB87_117:
	s_and_not1_saveexec_b32 s2, s2
	s_cbranch_execz .LBB87_119
; %bb.118:
	v_mul_f32_e32 v0, v4, v4
	s_mov_b32 s3, 0xbbbac73d
	s_delay_alu instid0(VALU_DEP_1) | instid1(SALU_CYCLE_1)
	v_fmaak_f32 v24, s3, v0, 0x3ca908c9
	s_delay_alu instid0(VALU_DEP_1) | instskip(NEXT) | instid1(VALU_DEP_1)
	v_fmaak_f32 v24, v0, v24, 0xbd5c1c4e
	v_fmaak_f32 v24, v0, v24, 0x3e088382
	s_delay_alu instid0(VALU_DEP_1) | instskip(NEXT) | instid1(VALU_DEP_1)
	v_fmaak_f32 v24, v0, v24, 0xbeaaaa99
	v_mul_f32_e64 v24, |v4|, v24
	s_delay_alu instid0(VALU_DEP_1)
	v_fma_f32 v0, v0, v24, |v4|
.LBB87_119:
	s_or_b32 exec_lo, exec_lo, s2
	v_mad_u32 v28, v46, s10, s24
	s_delay_alu instid0(VALU_DEP_2)
	v_bfi_b32 v0, 0x7fffffff, v0, v4
	s_cmp_lg_u64 s[36:37], 0
	v_mov_b64_e32 v[26:27], v[22:23]
	s_cselect_b32 s4, -1, 0
	v_mov_b64_e32 v[24:25], v[20:21]
	v_cmp_gt_i32_e64 s2, s26, v36
	v_mul_f32_e32 v0, s11, v0
	v_cndmask_b32_e64 v50, 0, 1, s4
	s_and_saveexec_b32 s3, s2
	s_cbranch_execz .LBB87_124
; %bb.120:
	s_and_not1_b32 vcc_lo, exec_lo, s4
	s_cbranch_vccnz .LBB87_122
; %bb.121:
	v_add_nc_u32_e32 v4, v28, v36
	global_load_u16 v4, v4, s[36:37] scale_offset
	s_wait_loadcnt 0x0
	v_cvt_f32_f16_e32 v4, v4
	s_delay_alu instid0(VALU_DEP_1)
	v_mul_f32_e32 v4, v83, v4
	s_branch .LBB87_123
.LBB87_122:
	v_mov_b32_e32 v4, 0
.LBB87_123:
	s_delay_alu instid0(VALU_DEP_1) | instskip(SKIP_1) | instid1(VALU_DEP_2)
	v_add_f32_e32 v0, v0, v4
	v_max_num_f32_e32 v24, v20, v20
	v_add_f32_e32 v4, 0x40051340, v0
	s_delay_alu instid0(VALU_DEP_1) | instskip(SKIP_2) | instid1(VALU_DEP_3)
	v_max_num_f32_e32 v4, v24, v4
	v_mov_b64_e32 v[26:27], v[22:23]
	v_mov_b64_e32 v[24:25], v[20:21]
	v_mov_b32_e32 v24, v4
.LBB87_124:
	s_or_b32 exec_lo, exec_lo, s3
	v_cmp_ngt_f32_e64 s3, 0x3f200000, |v41|
                                        ; implicit-def: $vgpr4
	s_and_saveexec_b32 s4, s3
	s_delay_alu instid0(SALU_CYCLE_1)
	s_xor_b32 s3, exec_lo, s4
	s_cbranch_execz .LBB87_126
; %bb.125:
	v_add_f32_e64 v4, |v41|, |v41|
	s_delay_alu instid0(VALU_DEP_1) | instskip(SKIP_1) | instid1(VALU_DEP_2)
	v_mul_f32_e32 v29, 0x3fb8aa3b, v4
	v_cmp_ngt_f32_e32 vcc_lo, 0xc2ce8ed0, v4
	v_rndne_f32_e32 v30, v29
	v_fma_f32 v31, 0x3fb8aa3b, v4, -v29
	s_delay_alu instid0(VALU_DEP_2) | instskip(NEXT) | instid1(VALU_DEP_2)
	v_sub_f32_e32 v29, v29, v30
	v_fmamk_f32 v31, v4, 0x32a5705f, v31
	v_cvt_i32_f32_e32 v30, v30
	s_delay_alu instid0(VALU_DEP_2) | instskip(NEXT) | instid1(VALU_DEP_1)
	v_add_f32_e32 v29, v29, v31
	v_exp_f32_e32 v29, v29
	v_nop
	s_delay_alu instid0(TRANS32_DEP_1) | instskip(NEXT) | instid1(VALU_DEP_1)
	v_ldexp_f32 v29, v29, v30
	v_cndmask_b32_e32 v29, 0, v29, vcc_lo
	v_cmp_nlt_f32_e32 vcc_lo, 0x42b17218, v4
	s_delay_alu instid0(VALU_DEP_2) | instskip(NEXT) | instid1(VALU_DEP_1)
	v_cndmask_b32_e32 v4, 0x7f800000, v29, vcc_lo
	v_add_f32_e32 v4, 1.0, v4
	s_delay_alu instid0(VALU_DEP_1) | instskip(SKIP_1) | instid1(TRANS32_DEP_1)
	v_rcp_f32_e32 v4, v4
	v_nop
	v_fma_f32 v4, v4, -2.0, 1.0
.LBB87_126:
	s_and_not1_saveexec_b32 s3, s3
	s_cbranch_execz .LBB87_128
; %bb.127:
	v_mul_f32_e32 v4, v41, v41
	s_mov_b32 s4, 0xbbbac73d
	s_delay_alu instid0(VALU_DEP_1) | instid1(SALU_CYCLE_1)
	v_fmaak_f32 v29, s4, v4, 0x3ca908c9
	s_delay_alu instid0(VALU_DEP_1) | instskip(NEXT) | instid1(VALU_DEP_1)
	v_fmaak_f32 v29, v4, v29, 0xbd5c1c4e
	v_fmaak_f32 v29, v4, v29, 0x3e088382
	s_delay_alu instid0(VALU_DEP_1) | instskip(NEXT) | instid1(VALU_DEP_1)
	v_fmaak_f32 v29, v4, v29, 0xbeaaaa99
	v_mul_f32_e64 v29, |v41|, v29
	s_delay_alu instid0(VALU_DEP_1)
	v_fma_f32 v4, v4, v29, |v41|
.LBB87_128:
	s_or_b32 exec_lo, exec_lo, s3
	s_delay_alu instid0(VALU_DEP_1) | instskip(SKIP_1) | instid1(VALU_DEP_2)
	v_bfi_b32 v4, 0x7fffffff, v4, v41
	v_add_nc_u32_e32 v46, 32, v36
	v_mul_f32_e32 v4, s11, v4
	s_delay_alu instid0(VALU_DEP_2)
	v_cmp_gt_i32_e64 s3, s26, v46
	s_and_saveexec_b32 s4, s3
	s_cbranch_execz .LBB87_133
; %bb.129:
	v_cmp_ne_u32_e32 vcc_lo, 1, v50
	s_cbranch_vccnz .LBB87_131
; %bb.130:
	v_dual_ashrrev_i32 v29, 31, v28 :: v_dual_mov_b32 v37, 0
	s_delay_alu instid0(VALU_DEP_1) | instskip(NEXT) | instid1(VALU_DEP_1)
	v_add_nc_u64_e32 v[30:31], v[28:29], v[36:37]
	v_lshl_add_u64 v[30:31], v[30:31], 1, s[36:37]
	global_load_u16 v29, v[30:31], off offset:64
	s_wait_loadcnt 0x0
	v_cvt_f32_f16_e32 v29, v29
	s_delay_alu instid0(VALU_DEP_1)
	v_mul_f32_e32 v29, v83, v29
	s_branch .LBB87_132
.LBB87_131:
	v_mov_b32_e32 v29, 0
.LBB87_132:
	s_delay_alu instid0(VALU_DEP_1) | instskip(SKIP_1) | instid1(VALU_DEP_2)
	v_add_f32_e32 v4, v4, v29
	v_max_num_f32_e32 v24, v24, v24
	v_add_f32_e32 v29, 0x40051340, v4
	s_delay_alu instid0(VALU_DEP_1)
	v_max_num_f32_e32 v24, v24, v29
.LBB87_133:
	s_or_b32 exec_lo, exec_lo, s4
	v_cmp_ngt_f32_e64 s4, 0x3f200000, |v8|
                                        ; implicit-def: $vgpr29
	s_and_saveexec_b32 s5, s4
	s_delay_alu instid0(SALU_CYCLE_1)
	s_xor_b32 s4, exec_lo, s5
	s_cbranch_execz .LBB87_135
; %bb.134:
	v_add_f32_e64 v29, |v8|, |v8|
	s_delay_alu instid0(VALU_DEP_1) | instskip(SKIP_1) | instid1(VALU_DEP_2)
	v_mul_f32_e32 v30, 0x3fb8aa3b, v29
	v_cmp_ngt_f32_e32 vcc_lo, 0xc2ce8ed0, v29
	v_rndne_f32_e32 v31, v30
	v_fma_f32 v32, 0x3fb8aa3b, v29, -v30
	s_delay_alu instid0(VALU_DEP_2) | instskip(NEXT) | instid1(VALU_DEP_2)
	v_sub_f32_e32 v30, v30, v31
	v_fmamk_f32 v32, v29, 0x32a5705f, v32
	v_cvt_i32_f32_e32 v31, v31
	s_delay_alu instid0(VALU_DEP_2) | instskip(NEXT) | instid1(VALU_DEP_1)
	v_add_f32_e32 v30, v30, v32
	v_exp_f32_e32 v30, v30
	v_nop
	s_delay_alu instid0(TRANS32_DEP_1) | instskip(NEXT) | instid1(VALU_DEP_1)
	v_ldexp_f32 v30, v30, v31
	v_cndmask_b32_e32 v30, 0, v30, vcc_lo
	v_cmp_nlt_f32_e32 vcc_lo, 0x42b17218, v29
	s_delay_alu instid0(VALU_DEP_2) | instskip(NEXT) | instid1(VALU_DEP_1)
	v_cndmask_b32_e32 v29, 0x7f800000, v30, vcc_lo
	v_add_f32_e32 v29, 1.0, v29
	s_delay_alu instid0(VALU_DEP_1) | instskip(SKIP_1) | instid1(TRANS32_DEP_1)
	v_rcp_f32_e32 v29, v29
	v_nop
	v_fma_f32 v29, v29, -2.0, 1.0
.LBB87_135:
	s_and_not1_saveexec_b32 s4, s4
	s_cbranch_execz .LBB87_137
; %bb.136:
	v_mul_f32_e32 v29, v8, v8
	s_mov_b32 s5, 0xbbbac73d
	s_delay_alu instid0(VALU_DEP_1) | instid1(SALU_CYCLE_1)
	v_fmaak_f32 v30, s5, v29, 0x3ca908c9
	s_delay_alu instid0(VALU_DEP_1) | instskip(NEXT) | instid1(VALU_DEP_1)
	v_fmaak_f32 v30, v29, v30, 0xbd5c1c4e
	v_fmaak_f32 v30, v29, v30, 0x3e088382
	s_delay_alu instid0(VALU_DEP_1) | instskip(NEXT) | instid1(VALU_DEP_1)
	v_fmaak_f32 v30, v29, v30, 0xbeaaaa99
	v_mul_f32_e64 v30, |v8|, v30
	s_delay_alu instid0(VALU_DEP_1)
	v_fma_f32 v29, v29, v30, |v8|
.LBB87_137:
	s_or_b32 exec_lo, exec_lo, s4
	s_delay_alu instid0(VALU_DEP_1) | instskip(SKIP_1) | instid1(VALU_DEP_2)
	v_bfi_b32 v8, 0x7fffffff, v29, v8
	v_add_nc_u32_e32 v48, 64, v36
	v_mul_f32_e32 v8, s11, v8
	s_delay_alu instid0(VALU_DEP_2)
	v_cmp_gt_i32_e64 s4, s26, v48
	s_and_saveexec_b32 s5, s4
	s_cbranch_execz .LBB87_142
; %bb.138:
	v_cmp_ne_u32_e32 vcc_lo, 1, v50
	s_cbranch_vccnz .LBB87_140
; %bb.139:
	v_dual_ashrrev_i32 v29, 31, v28 :: v_dual_mov_b32 v37, 0
	s_delay_alu instid0(VALU_DEP_1) | instskip(NEXT) | instid1(VALU_DEP_1)
	v_add_nc_u64_e32 v[30:31], v[28:29], v[36:37]
	v_lshl_add_u64 v[30:31], v[30:31], 1, s[36:37]
	global_load_u16 v29, v[30:31], off offset:128
	s_wait_loadcnt 0x0
	v_cvt_f32_f16_e32 v29, v29
	s_delay_alu instid0(VALU_DEP_1)
	v_mul_f32_e32 v29, v83, v29
	s_branch .LBB87_141
.LBB87_140:
	v_mov_b32_e32 v29, 0
.LBB87_141:
	s_delay_alu instid0(VALU_DEP_1) | instskip(SKIP_1) | instid1(VALU_DEP_2)
	v_add_f32_e32 v8, v8, v29
	v_max_num_f32_e32 v24, v24, v24
	v_add_f32_e32 v29, 0x40051340, v8
	s_delay_alu instid0(VALU_DEP_1)
	v_max_num_f32_e32 v24, v24, v29
.LBB87_142:
	s_or_b32 exec_lo, exec_lo, s5
	v_cmp_ngt_f32_e64 s5, 0x3f200000, |v12|
                                        ; implicit-def: $vgpr29
	s_and_saveexec_b32 s8, s5
	s_delay_alu instid0(SALU_CYCLE_1)
	s_xor_b32 s5, exec_lo, s8
	s_cbranch_execz .LBB87_144
; %bb.143:
	v_add_f32_e64 v29, |v12|, |v12|
	s_delay_alu instid0(VALU_DEP_1) | instskip(SKIP_1) | instid1(VALU_DEP_2)
	v_mul_f32_e32 v30, 0x3fb8aa3b, v29
	v_cmp_ngt_f32_e32 vcc_lo, 0xc2ce8ed0, v29
	v_rndne_f32_e32 v31, v30
	v_fma_f32 v32, 0x3fb8aa3b, v29, -v30
	s_delay_alu instid0(VALU_DEP_2) | instskip(NEXT) | instid1(VALU_DEP_2)
	v_sub_f32_e32 v30, v30, v31
	v_fmamk_f32 v32, v29, 0x32a5705f, v32
	v_cvt_i32_f32_e32 v31, v31
	s_delay_alu instid0(VALU_DEP_2) | instskip(NEXT) | instid1(VALU_DEP_1)
	v_add_f32_e32 v30, v30, v32
	v_exp_f32_e32 v30, v30
	v_nop
	s_delay_alu instid0(TRANS32_DEP_1) | instskip(NEXT) | instid1(VALU_DEP_1)
	v_ldexp_f32 v30, v30, v31
	v_cndmask_b32_e32 v30, 0, v30, vcc_lo
	v_cmp_nlt_f32_e32 vcc_lo, 0x42b17218, v29
	s_delay_alu instid0(VALU_DEP_2) | instskip(NEXT) | instid1(VALU_DEP_1)
	v_cndmask_b32_e32 v29, 0x7f800000, v30, vcc_lo
	v_add_f32_e32 v29, 1.0, v29
	s_delay_alu instid0(VALU_DEP_1) | instskip(SKIP_1) | instid1(TRANS32_DEP_1)
	v_rcp_f32_e32 v29, v29
	v_nop
	v_fma_f32 v29, v29, -2.0, 1.0
.LBB87_144:
	s_and_not1_saveexec_b32 s5, s5
	s_cbranch_execz .LBB87_146
; %bb.145:
	v_mul_f32_e32 v29, v12, v12
	s_mov_b32 s8, 0xbbbac73d
	s_delay_alu instid0(VALU_DEP_1) | instid1(SALU_CYCLE_1)
	v_fmaak_f32 v30, s8, v29, 0x3ca908c9
	s_delay_alu instid0(VALU_DEP_1) | instskip(NEXT) | instid1(VALU_DEP_1)
	v_fmaak_f32 v30, v29, v30, 0xbd5c1c4e
	v_fmaak_f32 v30, v29, v30, 0x3e088382
	s_delay_alu instid0(VALU_DEP_1) | instskip(NEXT) | instid1(VALU_DEP_1)
	v_fmaak_f32 v30, v29, v30, 0xbeaaaa99
	v_mul_f32_e64 v30, |v12|, v30
	s_delay_alu instid0(VALU_DEP_1)
	v_fma_f32 v29, v29, v30, |v12|
.LBB87_146:
	s_or_b32 exec_lo, exec_lo, s5
	s_delay_alu instid0(VALU_DEP_1) | instskip(SKIP_1) | instid1(VALU_DEP_2)
	v_bfi_b32 v12, 0x7fffffff, v29, v12
	v_add_nc_u32_e32 v49, 0x60, v36
	v_mul_f32_e32 v12, s11, v12
	s_delay_alu instid0(VALU_DEP_2)
	v_cmp_gt_i32_e64 s5, s26, v49
	s_and_saveexec_b32 s8, s5
	s_cbranch_execz .LBB87_151
; %bb.147:
	v_cmp_ne_u32_e32 vcc_lo, 1, v50
	s_cbranch_vccnz .LBB87_149
; %bb.148:
	v_dual_ashrrev_i32 v29, 31, v28 :: v_dual_mov_b32 v37, 0
	s_delay_alu instid0(VALU_DEP_1) | instskip(NEXT) | instid1(VALU_DEP_1)
	v_add_nc_u64_e32 v[28:29], v[28:29], v[36:37]
	v_lshl_add_u64 v[28:29], v[28:29], 1, s[36:37]
	global_load_u16 v28, v[28:29], off offset:192
	s_wait_loadcnt 0x0
	v_cvt_f32_f16_e32 v28, v28
	s_delay_alu instid0(VALU_DEP_1)
	v_mul_f32_e32 v28, v83, v28
	s_branch .LBB87_150
.LBB87_149:
	v_mov_b32_e32 v28, 0
.LBB87_150:
	s_delay_alu instid0(VALU_DEP_1) | instskip(SKIP_1) | instid1(VALU_DEP_2)
	v_add_f32_e32 v12, v12, v28
	v_max_num_f32_e32 v24, v24, v24
	v_add_f32_e32 v28, 0x40051340, v12
	s_delay_alu instid0(VALU_DEP_1)
	v_max_num_f32_e32 v24, v24, v28
.LBB87_151:
	s_or_b32 exec_lo, exec_lo, s8
	v_dual_mov_b32 v30, 32 :: v_dual_bitop2_b32 v35, 16, v77 bitop3:0x14
	v_cmp_ngt_f32_e64 s8, 0x3f200000, |v1|
	v_xor_b32_e32 v34, 8, v77
	v_xor_b32_e32 v33, 4, v77
	s_delay_alu instid0(VALU_DEP_4) | instskip(SKIP_1) | instid1(VALU_DEP_4)
	v_cmp_gt_i32_e32 vcc_lo, 32, v35
	v_dual_cndmask_b32 v28, v77, v35, vcc_lo :: v_dual_bitop2_b32 v31, 1, v77 bitop3:0x14
	v_cmp_gt_i32_e32 vcc_lo, 32, v34
	s_delay_alu instid0(VALU_DEP_2)
	v_lshlrev_b32_e32 v51, 2, v28
	ds_bpermute_b32 v28, v51, v24
	v_cndmask_b32_e32 v29, v77, v34, vcc_lo
	v_cmp_gt_i32_e32 vcc_lo, 32, v33
	s_wait_dscnt 0x0
	v_max_num_f32_e32 v28, v28, v28
	s_delay_alu instid0(VALU_DEP_3) | instskip(NEXT) | instid1(VALU_DEP_1)
	v_dual_max_num_f32 v24, v24, v24 :: v_dual_lshlrev_b32 v52, 2, v29
	v_max_num_f32_e32 v24, v24, v28
	ds_bpermute_b32 v28, v52, v24
	s_wait_dscnt 0x0
	v_dual_cndmask_b32 v29, v77, v33 :: v_dual_max_num_f32 v28, v28, v28
	s_delay_alu instid0(VALU_DEP_1) | instskip(SKIP_3) | instid1(VALU_DEP_1)
	v_dual_max_num_f32 v24, v24, v28 :: v_dual_lshlrev_b32 v53, 2, v29
	ds_bpermute_b32 v28, v53, v24
	s_wait_dscnt 0x0
	v_dual_max_num_f32 v28, v28, v28 :: v_dual_bitop2_b32 v32, 2, v77 bitop3:0x14
	v_cmp_gt_i32_e32 vcc_lo, 32, v32
	s_delay_alu instid0(VALU_DEP_2) | instskip(SKIP_2) | instid1(VALU_DEP_2)
	v_max_num_f32_e32 v24, v24, v28
	v_cndmask_b32_e32 v29, v77, v32, vcc_lo
	v_cmp_gt_i32_e32 vcc_lo, 32, v31
	v_lshlrev_b32_e32 v54, 2, v29
	ds_bpermute_b32 v28, v54, v24
	s_wait_dscnt 0x0
	v_dual_cndmask_b32 v29, v77, v31 :: v_dual_max_num_f32 v28, v28, v28
	s_delay_alu instid0(VALU_DEP_1) | instskip(NEXT) | instid1(VALU_DEP_2)
	v_lshlrev_b32_e32 v55, 2, v29
                                        ; implicit-def: $vgpr29
	v_max_num_f32_e32 v24, v24, v28
	ds_bpermute_b32 v28, v55, v24
	s_and_saveexec_b32 s9, s8
	s_delay_alu instid0(SALU_CYCLE_1)
	s_xor_b32 s8, exec_lo, s9
	s_cbranch_execz .LBB87_153
; %bb.152:
	v_add_f32_e64 v29, |v1|, |v1|
	s_delay_alu instid0(VALU_DEP_1) | instskip(SKIP_1) | instid1(VALU_DEP_2)
	v_mul_f32_e32 v37, 0x3fb8aa3b, v29
	v_cmp_ngt_f32_e32 vcc_lo, 0xc2ce8ed0, v29
	v_rndne_f32_e32 v41, v37
	v_fma_f32 v43, 0x3fb8aa3b, v29, -v37
	s_delay_alu instid0(VALU_DEP_2) | instskip(NEXT) | instid1(VALU_DEP_2)
	v_sub_f32_e32 v37, v37, v41
	v_fmamk_f32 v43, v29, 0x32a5705f, v43
	v_cvt_i32_f32_e32 v41, v41
	s_delay_alu instid0(VALU_DEP_2) | instskip(NEXT) | instid1(VALU_DEP_1)
	v_add_f32_e32 v37, v37, v43
	v_exp_f32_e32 v37, v37
	v_nop
	s_delay_alu instid0(TRANS32_DEP_1) | instskip(NEXT) | instid1(VALU_DEP_1)
	v_ldexp_f32 v37, v37, v41
	v_cndmask_b32_e32 v37, 0, v37, vcc_lo
	v_cmp_nlt_f32_e32 vcc_lo, 0x42b17218, v29
	s_delay_alu instid0(VALU_DEP_2) | instskip(NEXT) | instid1(VALU_DEP_1)
	v_cndmask_b32_e32 v29, 0x7f800000, v37, vcc_lo
	v_add_f32_e32 v29, 1.0, v29
	s_delay_alu instid0(VALU_DEP_1) | instskip(SKIP_1) | instid1(TRANS32_DEP_1)
	v_rcp_f32_e32 v29, v29
	v_nop
	v_fma_f32 v29, v29, -2.0, 1.0
.LBB87_153:
	s_and_not1_saveexec_b32 s8, s8
	s_cbranch_execz .LBB87_155
; %bb.154:
	v_mul_f32_e32 v29, v1, v1
	s_mov_b32 s9, 0xbbbac73d
	s_delay_alu instid0(VALU_DEP_1) | instid1(SALU_CYCLE_1)
	v_fmaak_f32 v37, s9, v29, 0x3ca908c9
	s_delay_alu instid0(VALU_DEP_1) | instskip(NEXT) | instid1(VALU_DEP_1)
	v_fmaak_f32 v37, v29, v37, 0xbd5c1c4e
	v_fmaak_f32 v37, v29, v37, 0x3e088382
	s_delay_alu instid0(VALU_DEP_1) | instskip(NEXT) | instid1(VALU_DEP_1)
	v_fmaak_f32 v37, v29, v37, 0xbeaaaa99
	v_mul_f32_e64 v37, |v1|, v37
	s_delay_alu instid0(VALU_DEP_1)
	v_fma_f32 v29, v29, v37, |v1|
.LBB87_155:
	s_or_b32 exec_lo, exec_lo, s8
	v_mov_b32_e32 v45, 0
	s_delay_alu instid0(VALU_DEP_2)
	v_bfi_b32 v1, 0x7fffffff, v29, v1
	v_max_num_f32_e32 v24, v24, v24
	s_wait_dscnt 0x0
	v_max_num_f32_e32 v41, v28, v28
	v_mul_u64_e32 v[56:57], s[28:29], v[44:45]
	v_mul_f32_e32 v1, s11, v1
	s_delay_alu instid0(VALU_DEP_3) | instskip(NEXT) | instid1(VALU_DEP_3)
	v_max_num_f32_e32 v24, v24, v41
	v_add_nc_u32_e32 v37, v44, v57
	s_delay_alu instid0(VALU_DEP_1) | instskip(NEXT) | instid1(VALU_DEP_1)
	v_lshrrev_b32_e32 v37, s21, v37
	v_mul_lo_u32 v37, v37, s22
	s_delay_alu instid0(VALU_DEP_1) | instskip(NEXT) | instid1(VALU_DEP_1)
	v_sub_nc_u32_e32 v37, v44, v37
	v_mad_u32 v28, v37, s10, s24
	s_and_saveexec_b32 s8, s2
	s_cbranch_execz .LBB87_159
; %bb.156:
	v_cmp_ne_u32_e32 vcc_lo, 1, v50
	s_cbranch_vccnz .LBB87_158
; %bb.157:
	s_delay_alu instid0(VALU_DEP_2) | instskip(SKIP_3) | instid1(VALU_DEP_1)
	v_add_nc_u32_e32 v29, v28, v36
	global_load_u16 v29, v29, s[36:37] scale_offset
	s_wait_loadcnt 0x0
	v_cvt_f32_f16_e32 v29, v29
	v_mul_f32_e32 v45, v83, v29
.LBB87_158:
	s_delay_alu instid0(VALU_DEP_1) | instskip(SKIP_1) | instid1(VALU_DEP_2)
	v_add_f32_e32 v1, v1, v45
	v_max_num_f32_e32 v25, v25, v25
	v_add_f32_e32 v29, 0x40051340, v1
	s_delay_alu instid0(VALU_DEP_1)
	v_max_num_f32_e32 v25, v25, v29
.LBB87_159:
	s_or_b32 exec_lo, exec_lo, s8
	v_cmp_ngt_f32_e64 s8, 0x3f200000, |v5|
                                        ; implicit-def: $vgpr29
	s_and_saveexec_b32 s9, s8
	s_delay_alu instid0(SALU_CYCLE_1)
	s_xor_b32 s8, exec_lo, s9
	s_cbranch_execz .LBB87_161
; %bb.160:
	v_add_f32_e64 v29, |v5|, |v5|
	s_delay_alu instid0(VALU_DEP_1) | instskip(SKIP_1) | instid1(VALU_DEP_2)
	v_mul_f32_e32 v37, 0x3fb8aa3b, v29
	v_cmp_ngt_f32_e32 vcc_lo, 0xc2ce8ed0, v29
	v_rndne_f32_e32 v41, v37
	v_fma_f32 v43, 0x3fb8aa3b, v29, -v37
	s_delay_alu instid0(VALU_DEP_2) | instskip(NEXT) | instid1(VALU_DEP_2)
	v_sub_f32_e32 v37, v37, v41
	v_fmamk_f32 v43, v29, 0x32a5705f, v43
	v_cvt_i32_f32_e32 v41, v41
	s_delay_alu instid0(VALU_DEP_2) | instskip(NEXT) | instid1(VALU_DEP_1)
	v_add_f32_e32 v37, v37, v43
	v_exp_f32_e32 v37, v37
	v_nop
	s_delay_alu instid0(TRANS32_DEP_1) | instskip(NEXT) | instid1(VALU_DEP_1)
	v_ldexp_f32 v37, v37, v41
	v_cndmask_b32_e32 v37, 0, v37, vcc_lo
	v_cmp_nlt_f32_e32 vcc_lo, 0x42b17218, v29
	s_delay_alu instid0(VALU_DEP_2) | instskip(NEXT) | instid1(VALU_DEP_1)
	v_cndmask_b32_e32 v29, 0x7f800000, v37, vcc_lo
	v_add_f32_e32 v29, 1.0, v29
	s_delay_alu instid0(VALU_DEP_1) | instskip(SKIP_1) | instid1(TRANS32_DEP_1)
	v_rcp_f32_e32 v29, v29
	v_nop
	v_fma_f32 v29, v29, -2.0, 1.0
.LBB87_161:
	s_and_not1_saveexec_b32 s8, s8
	s_cbranch_execz .LBB87_163
; %bb.162:
	v_mul_f32_e32 v29, v5, v5
	s_mov_b32 s9, 0xbbbac73d
	s_delay_alu instid0(VALU_DEP_1) | instid1(SALU_CYCLE_1)
	v_fmaak_f32 v37, s9, v29, 0x3ca908c9
	s_delay_alu instid0(VALU_DEP_1) | instskip(NEXT) | instid1(VALU_DEP_1)
	v_fmaak_f32 v37, v29, v37, 0xbd5c1c4e
	v_fmaak_f32 v37, v29, v37, 0x3e088382
	s_delay_alu instid0(VALU_DEP_1) | instskip(NEXT) | instid1(VALU_DEP_1)
	v_fmaak_f32 v37, v29, v37, 0xbeaaaa99
	v_mul_f32_e64 v37, |v5|, v37
	s_delay_alu instid0(VALU_DEP_1)
	v_fma_f32 v29, v29, v37, |v5|
.LBB87_163:
	s_or_b32 exec_lo, exec_lo, s8
	s_delay_alu instid0(VALU_DEP_1) | instskip(NEXT) | instid1(VALU_DEP_1)
	v_bfi_b32 v5, 0x7fffffff, v29, v5
	v_mul_f32_e32 v5, s11, v5
	s_and_saveexec_b32 s8, s3
	s_cbranch_execz .LBB87_168
; %bb.164:
	v_cmp_ne_u32_e32 vcc_lo, 1, v50
	s_cbranch_vccnz .LBB87_166
; %bb.165:
	v_dual_ashrrev_i32 v29, 31, v28 :: v_dual_mov_b32 v37, 0
	s_delay_alu instid0(VALU_DEP_1) | instskip(NEXT) | instid1(VALU_DEP_1)
	v_add_nc_u64_e32 v[44:45], v[28:29], v[36:37]
	v_lshl_add_u64 v[44:45], v[44:45], 1, s[36:37]
	global_load_u16 v29, v[44:45], off offset:64
	s_wait_loadcnt 0x0
	v_cvt_f32_f16_e32 v29, v29
	s_delay_alu instid0(VALU_DEP_1)
	v_mul_f32_e32 v29, v83, v29
	s_branch .LBB87_167
.LBB87_166:
	v_mov_b32_e32 v29, 0
.LBB87_167:
	s_delay_alu instid0(VALU_DEP_1) | instskip(SKIP_1) | instid1(VALU_DEP_2)
	v_add_f32_e32 v5, v5, v29
	v_max_num_f32_e32 v25, v25, v25
	v_add_f32_e32 v29, 0x40051340, v5
	s_delay_alu instid0(VALU_DEP_1)
	v_max_num_f32_e32 v25, v25, v29
.LBB87_168:
	s_or_b32 exec_lo, exec_lo, s8
	v_cmp_ngt_f32_e64 s8, 0x3f200000, |v9|
                                        ; implicit-def: $vgpr29
	s_and_saveexec_b32 s9, s8
	s_delay_alu instid0(SALU_CYCLE_1)
	s_xor_b32 s8, exec_lo, s9
	s_cbranch_execz .LBB87_170
; %bb.169:
	v_add_f32_e64 v29, |v9|, |v9|
	s_delay_alu instid0(VALU_DEP_1) | instskip(SKIP_1) | instid1(VALU_DEP_2)
	v_mul_f32_e32 v37, 0x3fb8aa3b, v29
	v_cmp_ngt_f32_e32 vcc_lo, 0xc2ce8ed0, v29
	v_rndne_f32_e32 v41, v37
	v_fma_f32 v43, 0x3fb8aa3b, v29, -v37
	s_delay_alu instid0(VALU_DEP_2) | instskip(NEXT) | instid1(VALU_DEP_2)
	v_sub_f32_e32 v37, v37, v41
	v_fmamk_f32 v43, v29, 0x32a5705f, v43
	v_cvt_i32_f32_e32 v41, v41
	s_delay_alu instid0(VALU_DEP_2) | instskip(NEXT) | instid1(VALU_DEP_1)
	v_add_f32_e32 v37, v37, v43
	v_exp_f32_e32 v37, v37
	v_nop
	s_delay_alu instid0(TRANS32_DEP_1) | instskip(NEXT) | instid1(VALU_DEP_1)
	v_ldexp_f32 v37, v37, v41
	v_cndmask_b32_e32 v37, 0, v37, vcc_lo
	v_cmp_nlt_f32_e32 vcc_lo, 0x42b17218, v29
	s_delay_alu instid0(VALU_DEP_2) | instskip(NEXT) | instid1(VALU_DEP_1)
	v_cndmask_b32_e32 v29, 0x7f800000, v37, vcc_lo
	v_add_f32_e32 v29, 1.0, v29
	s_delay_alu instid0(VALU_DEP_1) | instskip(SKIP_1) | instid1(TRANS32_DEP_1)
	v_rcp_f32_e32 v29, v29
	v_nop
	v_fma_f32 v29, v29, -2.0, 1.0
.LBB87_170:
	s_and_not1_saveexec_b32 s8, s8
	s_cbranch_execz .LBB87_172
; %bb.171:
	v_mul_f32_e32 v29, v9, v9
	s_mov_b32 s9, 0xbbbac73d
	s_delay_alu instid0(VALU_DEP_1) | instid1(SALU_CYCLE_1)
	v_fmaak_f32 v37, s9, v29, 0x3ca908c9
	s_delay_alu instid0(VALU_DEP_1) | instskip(NEXT) | instid1(VALU_DEP_1)
	v_fmaak_f32 v37, v29, v37, 0xbd5c1c4e
	v_fmaak_f32 v37, v29, v37, 0x3e088382
	s_delay_alu instid0(VALU_DEP_1) | instskip(NEXT) | instid1(VALU_DEP_1)
	v_fmaak_f32 v37, v29, v37, 0xbeaaaa99
	v_mul_f32_e64 v37, |v9|, v37
	s_delay_alu instid0(VALU_DEP_1)
	v_fma_f32 v29, v29, v37, |v9|
.LBB87_172:
	s_or_b32 exec_lo, exec_lo, s8
	s_delay_alu instid0(VALU_DEP_1) | instskip(NEXT) | instid1(VALU_DEP_1)
	v_bfi_b32 v9, 0x7fffffff, v29, v9
	v_mul_f32_e32 v9, s11, v9
	s_and_saveexec_b32 s8, s4
	s_cbranch_execz .LBB87_177
; %bb.173:
	v_cmp_ne_u32_e32 vcc_lo, 1, v50
	s_cbranch_vccnz .LBB87_175
; %bb.174:
	v_dual_ashrrev_i32 v29, 31, v28 :: v_dual_mov_b32 v37, 0
	s_delay_alu instid0(VALU_DEP_1) | instskip(NEXT) | instid1(VALU_DEP_1)
	v_add_nc_u64_e32 v[44:45], v[28:29], v[36:37]
	v_lshl_add_u64 v[44:45], v[44:45], 1, s[36:37]
	global_load_u16 v29, v[44:45], off offset:128
	s_wait_loadcnt 0x0
	v_cvt_f32_f16_e32 v29, v29
	s_delay_alu instid0(VALU_DEP_1)
	v_mul_f32_e32 v29, v83, v29
	s_branch .LBB87_176
.LBB87_175:
	v_mov_b32_e32 v29, 0
.LBB87_176:
	s_delay_alu instid0(VALU_DEP_1) | instskip(SKIP_1) | instid1(VALU_DEP_2)
	v_add_f32_e32 v9, v9, v29
	v_max_num_f32_e32 v25, v25, v25
	v_add_f32_e32 v29, 0x40051340, v9
	s_delay_alu instid0(VALU_DEP_1)
	v_max_num_f32_e32 v25, v25, v29
.LBB87_177:
	s_or_b32 exec_lo, exec_lo, s8
	v_cmp_ngt_f32_e64 s8, 0x3f200000, |v13|
                                        ; implicit-def: $vgpr29
	s_and_saveexec_b32 s9, s8
	s_delay_alu instid0(SALU_CYCLE_1)
	s_xor_b32 s8, exec_lo, s9
	s_cbranch_execz .LBB87_179
; %bb.178:
	v_add_f32_e64 v29, |v13|, |v13|
	s_delay_alu instid0(VALU_DEP_1) | instskip(SKIP_1) | instid1(VALU_DEP_2)
	v_mul_f32_e32 v37, 0x3fb8aa3b, v29
	v_cmp_ngt_f32_e32 vcc_lo, 0xc2ce8ed0, v29
	v_rndne_f32_e32 v41, v37
	v_fma_f32 v43, 0x3fb8aa3b, v29, -v37
	s_delay_alu instid0(VALU_DEP_2) | instskip(NEXT) | instid1(VALU_DEP_2)
	v_sub_f32_e32 v37, v37, v41
	v_fmamk_f32 v43, v29, 0x32a5705f, v43
	v_cvt_i32_f32_e32 v41, v41
	s_delay_alu instid0(VALU_DEP_2) | instskip(NEXT) | instid1(VALU_DEP_1)
	v_add_f32_e32 v37, v37, v43
	v_exp_f32_e32 v37, v37
	v_nop
	s_delay_alu instid0(TRANS32_DEP_1) | instskip(NEXT) | instid1(VALU_DEP_1)
	v_ldexp_f32 v37, v37, v41
	v_cndmask_b32_e32 v37, 0, v37, vcc_lo
	v_cmp_nlt_f32_e32 vcc_lo, 0x42b17218, v29
	s_delay_alu instid0(VALU_DEP_2) | instskip(NEXT) | instid1(VALU_DEP_1)
	v_cndmask_b32_e32 v29, 0x7f800000, v37, vcc_lo
	v_add_f32_e32 v29, 1.0, v29
	s_delay_alu instid0(VALU_DEP_1) | instskip(SKIP_1) | instid1(TRANS32_DEP_1)
	v_rcp_f32_e32 v29, v29
	v_nop
	v_fma_f32 v29, v29, -2.0, 1.0
.LBB87_179:
	s_and_not1_saveexec_b32 s8, s8
	s_cbranch_execz .LBB87_181
; %bb.180:
	v_mul_f32_e32 v29, v13, v13
	s_mov_b32 s9, 0xbbbac73d
	s_delay_alu instid0(VALU_DEP_1) | instid1(SALU_CYCLE_1)
	v_fmaak_f32 v37, s9, v29, 0x3ca908c9
	s_delay_alu instid0(VALU_DEP_1) | instskip(NEXT) | instid1(VALU_DEP_1)
	v_fmaak_f32 v37, v29, v37, 0xbd5c1c4e
	v_fmaak_f32 v37, v29, v37, 0x3e088382
	s_delay_alu instid0(VALU_DEP_1) | instskip(NEXT) | instid1(VALU_DEP_1)
	v_fmaak_f32 v37, v29, v37, 0xbeaaaa99
	v_mul_f32_e64 v37, |v13|, v37
	s_delay_alu instid0(VALU_DEP_1)
	v_fma_f32 v29, v29, v37, |v13|
.LBB87_181:
	s_or_b32 exec_lo, exec_lo, s8
	s_delay_alu instid0(VALU_DEP_1) | instskip(NEXT) | instid1(VALU_DEP_1)
	v_bfi_b32 v13, 0x7fffffff, v29, v13
	v_mul_f32_e32 v13, s11, v13
	s_and_saveexec_b32 s8, s5
	s_cbranch_execz .LBB87_186
; %bb.182:
	v_cmp_ne_u32_e32 vcc_lo, 1, v50
	s_cbranch_vccnz .LBB87_184
; %bb.183:
	v_dual_ashrrev_i32 v29, 31, v28 :: v_dual_mov_b32 v37, 0
	s_delay_alu instid0(VALU_DEP_1) | instskip(NEXT) | instid1(VALU_DEP_1)
	v_add_nc_u64_e32 v[28:29], v[28:29], v[36:37]
	v_lshl_add_u64 v[28:29], v[28:29], 1, s[36:37]
	global_load_u16 v28, v[28:29], off offset:192
	s_wait_loadcnt 0x0
	v_cvt_f32_f16_e32 v28, v28
	s_delay_alu instid0(VALU_DEP_1)
	v_mul_f32_e32 v28, v83, v28
	s_branch .LBB87_185
.LBB87_184:
	v_mov_b32_e32 v28, 0
.LBB87_185:
	s_delay_alu instid0(VALU_DEP_1) | instskip(SKIP_1) | instid1(VALU_DEP_2)
	v_add_f32_e32 v13, v13, v28
	v_max_num_f32_e32 v25, v25, v25
	v_add_f32_e32 v28, 0x40051340, v13
	s_delay_alu instid0(VALU_DEP_1)
	v_max_num_f32_e32 v25, v25, v28
.LBB87_186:
	s_or_b32 exec_lo, exec_lo, s8
	ds_bpermute_b32 v28, v51, v25
	v_cmp_ngt_f32_e64 s8, 0x3f200000, |v2|
                                        ; implicit-def: $vgpr29
	s_wait_dscnt 0x0
	v_dual_max_num_f32 v25, v25, v25 :: v_dual_max_num_f32 v28, v28, v28
	s_delay_alu instid0(VALU_DEP_1) | instskip(SKIP_3) | instid1(VALU_DEP_1)
	v_max_num_f32_e32 v25, v25, v28
	ds_bpermute_b32 v28, v52, v25
	s_wait_dscnt 0x0
	v_max_num_f32_e32 v28, v28, v28
	v_max_num_f32_e32 v25, v25, v28
	ds_bpermute_b32 v28, v53, v25
	s_wait_dscnt 0x0
	v_max_num_f32_e32 v28, v28, v28
	s_delay_alu instid0(VALU_DEP_1) | instskip(SKIP_3) | instid1(VALU_DEP_1)
	v_max_num_f32_e32 v25, v25, v28
	ds_bpermute_b32 v28, v54, v25
	s_wait_dscnt 0x0
	v_max_num_f32_e32 v28, v28, v28
	v_max_num_f32_e32 v25, v25, v28
	ds_bpermute_b32 v28, v55, v25
	s_and_saveexec_b32 s9, s8
	s_delay_alu instid0(SALU_CYCLE_1)
	s_xor_b32 s8, exec_lo, s9
	s_cbranch_execz .LBB87_188
; %bb.187:
	v_add_f32_e64 v29, |v2|, |v2|
	s_delay_alu instid0(VALU_DEP_1) | instskip(SKIP_1) | instid1(VALU_DEP_2)
	v_mul_f32_e32 v37, 0x3fb8aa3b, v29
	v_cmp_ngt_f32_e32 vcc_lo, 0xc2ce8ed0, v29
	v_rndne_f32_e32 v41, v37
	v_fma_f32 v43, 0x3fb8aa3b, v29, -v37
	s_delay_alu instid0(VALU_DEP_2) | instskip(NEXT) | instid1(VALU_DEP_2)
	v_sub_f32_e32 v37, v37, v41
	v_fmamk_f32 v43, v29, 0x32a5705f, v43
	v_cvt_i32_f32_e32 v41, v41
	s_delay_alu instid0(VALU_DEP_2) | instskip(NEXT) | instid1(VALU_DEP_1)
	v_add_f32_e32 v37, v37, v43
	v_exp_f32_e32 v37, v37
	v_nop
	s_delay_alu instid0(TRANS32_DEP_1) | instskip(NEXT) | instid1(VALU_DEP_1)
	v_ldexp_f32 v37, v37, v41
	v_cndmask_b32_e32 v37, 0, v37, vcc_lo
	v_cmp_nlt_f32_e32 vcc_lo, 0x42b17218, v29
	s_delay_alu instid0(VALU_DEP_2) | instskip(NEXT) | instid1(VALU_DEP_1)
	v_cndmask_b32_e32 v29, 0x7f800000, v37, vcc_lo
	v_add_f32_e32 v29, 1.0, v29
	s_delay_alu instid0(VALU_DEP_1) | instskip(SKIP_1) | instid1(TRANS32_DEP_1)
	v_rcp_f32_e32 v29, v29
	v_nop
	v_fma_f32 v29, v29, -2.0, 1.0
.LBB87_188:
	s_and_not1_saveexec_b32 s8, s8
	s_cbranch_execz .LBB87_190
; %bb.189:
	v_mul_f32_e32 v29, v2, v2
	s_mov_b32 s9, 0xbbbac73d
	s_delay_alu instid0(VALU_DEP_1) | instid1(SALU_CYCLE_1)
	v_fmaak_f32 v37, s9, v29, 0x3ca908c9
	s_delay_alu instid0(VALU_DEP_1) | instskip(NEXT) | instid1(VALU_DEP_1)
	v_fmaak_f32 v37, v29, v37, 0xbd5c1c4e
	v_fmaak_f32 v37, v29, v37, 0x3e088382
	s_delay_alu instid0(VALU_DEP_1) | instskip(NEXT) | instid1(VALU_DEP_1)
	v_fmaak_f32 v37, v29, v37, 0xbeaaaa99
	v_mul_f32_e64 v37, |v2|, v37
	s_delay_alu instid0(VALU_DEP_1)
	v_fma_f32 v29, v29, v37, |v2|
.LBB87_190:
	s_or_b32 exec_lo, exec_lo, s8
	v_mov_b32_e32 v43, 0
	s_delay_alu instid0(VALU_DEP_2) | instskip(SKIP_2) | instid1(VALU_DEP_3)
	v_bfi_b32 v2, 0x7fffffff, v29, v2
	s_wait_dscnt 0x0
	v_dual_max_num_f32 v25, v25, v25 :: v_dual_max_num_f32 v41, v28, v28
	v_mul_u64_e32 v[44:45], s[28:29], v[42:43]
	s_delay_alu instid0(VALU_DEP_2) | instskip(NEXT) | instid1(VALU_DEP_2)
	v_dual_mul_f32 v2, s11, v2 :: v_dual_max_num_f32 v25, v25, v41
	v_add_nc_u32_e32 v37, v42, v45
	s_delay_alu instid0(VALU_DEP_1) | instskip(NEXT) | instid1(VALU_DEP_1)
	v_lshrrev_b32_e32 v37, s21, v37
	v_mul_lo_u32 v37, v37, s22
	s_delay_alu instid0(VALU_DEP_1) | instskip(NEXT) | instid1(VALU_DEP_1)
	v_sub_nc_u32_e32 v37, v42, v37
	v_mad_u32 v28, v37, s10, s24
	s_and_saveexec_b32 s8, s2
	s_cbranch_execz .LBB87_194
; %bb.191:
	v_cmp_ne_u32_e32 vcc_lo, 1, v50
	s_cbranch_vccnz .LBB87_193
; %bb.192:
	s_delay_alu instid0(VALU_DEP_2) | instskip(SKIP_3) | instid1(VALU_DEP_1)
	v_add_nc_u32_e32 v29, v28, v36
	global_load_u16 v29, v29, s[36:37] scale_offset
	s_wait_loadcnt 0x0
	v_cvt_f32_f16_e32 v29, v29
	v_mul_f32_e32 v43, v83, v29
.LBB87_193:
	s_delay_alu instid0(VALU_DEP_1) | instskip(SKIP_1) | instid1(VALU_DEP_2)
	v_add_f32_e32 v2, v2, v43
	v_max_num_f32_e32 v26, v26, v26
	v_add_f32_e32 v29, 0x40051340, v2
	s_delay_alu instid0(VALU_DEP_1)
	v_max_num_f32_e32 v26, v26, v29
.LBB87_194:
	s_or_b32 exec_lo, exec_lo, s8
	v_cmp_ngt_f32_e64 s8, 0x3f200000, |v6|
                                        ; implicit-def: $vgpr29
	s_and_saveexec_b32 s9, s8
	s_delay_alu instid0(SALU_CYCLE_1)
	s_xor_b32 s8, exec_lo, s9
	s_cbranch_execz .LBB87_196
; %bb.195:
	v_add_f32_e64 v29, |v6|, |v6|
	s_delay_alu instid0(VALU_DEP_1) | instskip(SKIP_1) | instid1(VALU_DEP_2)
	v_mul_f32_e32 v37, 0x3fb8aa3b, v29
	v_cmp_ngt_f32_e32 vcc_lo, 0xc2ce8ed0, v29
	v_rndne_f32_e32 v41, v37
	v_fma_f32 v42, 0x3fb8aa3b, v29, -v37
	s_delay_alu instid0(VALU_DEP_2) | instskip(NEXT) | instid1(VALU_DEP_2)
	v_sub_f32_e32 v37, v37, v41
	v_fmamk_f32 v42, v29, 0x32a5705f, v42
	v_cvt_i32_f32_e32 v41, v41
	s_delay_alu instid0(VALU_DEP_2) | instskip(NEXT) | instid1(VALU_DEP_1)
	v_add_f32_e32 v37, v37, v42
	v_exp_f32_e32 v37, v37
	v_nop
	s_delay_alu instid0(TRANS32_DEP_1) | instskip(NEXT) | instid1(VALU_DEP_1)
	v_ldexp_f32 v37, v37, v41
	v_cndmask_b32_e32 v37, 0, v37, vcc_lo
	v_cmp_nlt_f32_e32 vcc_lo, 0x42b17218, v29
	s_delay_alu instid0(VALU_DEP_2) | instskip(NEXT) | instid1(VALU_DEP_1)
	v_cndmask_b32_e32 v29, 0x7f800000, v37, vcc_lo
	v_add_f32_e32 v29, 1.0, v29
	s_delay_alu instid0(VALU_DEP_1) | instskip(SKIP_1) | instid1(TRANS32_DEP_1)
	v_rcp_f32_e32 v29, v29
	v_nop
	v_fma_f32 v29, v29, -2.0, 1.0
.LBB87_196:
	s_and_not1_saveexec_b32 s8, s8
	s_cbranch_execz .LBB87_198
; %bb.197:
	v_mul_f32_e32 v29, v6, v6
	s_mov_b32 s9, 0xbbbac73d
	s_delay_alu instid0(VALU_DEP_1) | instid1(SALU_CYCLE_1)
	v_fmaak_f32 v37, s9, v29, 0x3ca908c9
	s_delay_alu instid0(VALU_DEP_1) | instskip(NEXT) | instid1(VALU_DEP_1)
	v_fmaak_f32 v37, v29, v37, 0xbd5c1c4e
	v_fmaak_f32 v37, v29, v37, 0x3e088382
	s_delay_alu instid0(VALU_DEP_1) | instskip(NEXT) | instid1(VALU_DEP_1)
	v_fmaak_f32 v37, v29, v37, 0xbeaaaa99
	v_mul_f32_e64 v37, |v6|, v37
	s_delay_alu instid0(VALU_DEP_1)
	v_fma_f32 v29, v29, v37, |v6|
.LBB87_198:
	s_or_b32 exec_lo, exec_lo, s8
	s_delay_alu instid0(VALU_DEP_1) | instskip(NEXT) | instid1(VALU_DEP_1)
	v_bfi_b32 v6, 0x7fffffff, v29, v6
	v_mul_f32_e32 v6, s11, v6
	s_and_saveexec_b32 s8, s3
	s_cbranch_execz .LBB87_203
; %bb.199:
	v_cmp_ne_u32_e32 vcc_lo, 1, v50
	s_cbranch_vccnz .LBB87_201
; %bb.200:
	v_dual_ashrrev_i32 v29, 31, v28 :: v_dual_mov_b32 v37, 0
	s_delay_alu instid0(VALU_DEP_1) | instskip(NEXT) | instid1(VALU_DEP_1)
	v_add_nc_u64_e32 v[42:43], v[28:29], v[36:37]
	v_lshl_add_u64 v[42:43], v[42:43], 1, s[36:37]
	global_load_u16 v29, v[42:43], off offset:64
	s_wait_loadcnt 0x0
	v_cvt_f32_f16_e32 v29, v29
	s_delay_alu instid0(VALU_DEP_1)
	v_mul_f32_e32 v29, v83, v29
	s_branch .LBB87_202
.LBB87_201:
	v_mov_b32_e32 v29, 0
.LBB87_202:
	s_delay_alu instid0(VALU_DEP_1) | instskip(SKIP_1) | instid1(VALU_DEP_2)
	v_add_f32_e32 v6, v6, v29
	v_max_num_f32_e32 v26, v26, v26
	v_add_f32_e32 v29, 0x40051340, v6
	s_delay_alu instid0(VALU_DEP_1)
	v_max_num_f32_e32 v26, v26, v29
.LBB87_203:
	s_or_b32 exec_lo, exec_lo, s8
	v_cmp_ngt_f32_e64 s8, 0x3f200000, |v10|
                                        ; implicit-def: $vgpr29
	s_and_saveexec_b32 s9, s8
	s_delay_alu instid0(SALU_CYCLE_1)
	s_xor_b32 s8, exec_lo, s9
	s_cbranch_execz .LBB87_205
; %bb.204:
	v_add_f32_e64 v29, |v10|, |v10|
	s_delay_alu instid0(VALU_DEP_1) | instskip(SKIP_1) | instid1(VALU_DEP_2)
	v_mul_f32_e32 v37, 0x3fb8aa3b, v29
	v_cmp_ngt_f32_e32 vcc_lo, 0xc2ce8ed0, v29
	v_rndne_f32_e32 v41, v37
	v_fma_f32 v42, 0x3fb8aa3b, v29, -v37
	s_delay_alu instid0(VALU_DEP_2) | instskip(NEXT) | instid1(VALU_DEP_2)
	v_sub_f32_e32 v37, v37, v41
	v_fmamk_f32 v42, v29, 0x32a5705f, v42
	v_cvt_i32_f32_e32 v41, v41
	s_delay_alu instid0(VALU_DEP_2) | instskip(NEXT) | instid1(VALU_DEP_1)
	v_add_f32_e32 v37, v37, v42
	v_exp_f32_e32 v37, v37
	v_nop
	s_delay_alu instid0(TRANS32_DEP_1) | instskip(NEXT) | instid1(VALU_DEP_1)
	v_ldexp_f32 v37, v37, v41
	v_cndmask_b32_e32 v37, 0, v37, vcc_lo
	v_cmp_nlt_f32_e32 vcc_lo, 0x42b17218, v29
	s_delay_alu instid0(VALU_DEP_2) | instskip(NEXT) | instid1(VALU_DEP_1)
	v_cndmask_b32_e32 v29, 0x7f800000, v37, vcc_lo
	v_add_f32_e32 v29, 1.0, v29
	s_delay_alu instid0(VALU_DEP_1) | instskip(SKIP_1) | instid1(TRANS32_DEP_1)
	v_rcp_f32_e32 v29, v29
	v_nop
	v_fma_f32 v29, v29, -2.0, 1.0
.LBB87_205:
	s_and_not1_saveexec_b32 s8, s8
	s_cbranch_execz .LBB87_207
; %bb.206:
	v_mul_f32_e32 v29, v10, v10
	s_mov_b32 s9, 0xbbbac73d
	s_delay_alu instid0(VALU_DEP_1) | instid1(SALU_CYCLE_1)
	v_fmaak_f32 v37, s9, v29, 0x3ca908c9
	s_delay_alu instid0(VALU_DEP_1) | instskip(NEXT) | instid1(VALU_DEP_1)
	v_fmaak_f32 v37, v29, v37, 0xbd5c1c4e
	v_fmaak_f32 v37, v29, v37, 0x3e088382
	s_delay_alu instid0(VALU_DEP_1) | instskip(NEXT) | instid1(VALU_DEP_1)
	v_fmaak_f32 v37, v29, v37, 0xbeaaaa99
	v_mul_f32_e64 v37, |v10|, v37
	s_delay_alu instid0(VALU_DEP_1)
	v_fma_f32 v29, v29, v37, |v10|
.LBB87_207:
	s_or_b32 exec_lo, exec_lo, s8
	s_delay_alu instid0(VALU_DEP_1) | instskip(NEXT) | instid1(VALU_DEP_1)
	v_bfi_b32 v10, 0x7fffffff, v29, v10
	v_mul_f32_e32 v10, s11, v10
	s_and_saveexec_b32 s8, s4
	s_cbranch_execz .LBB87_212
; %bb.208:
	v_cmp_ne_u32_e32 vcc_lo, 1, v50
	s_cbranch_vccnz .LBB87_210
; %bb.209:
	v_dual_ashrrev_i32 v29, 31, v28 :: v_dual_mov_b32 v37, 0
	s_delay_alu instid0(VALU_DEP_1) | instskip(NEXT) | instid1(VALU_DEP_1)
	v_add_nc_u64_e32 v[42:43], v[28:29], v[36:37]
	v_lshl_add_u64 v[42:43], v[42:43], 1, s[36:37]
	global_load_u16 v29, v[42:43], off offset:128
	s_wait_loadcnt 0x0
	v_cvt_f32_f16_e32 v29, v29
	s_delay_alu instid0(VALU_DEP_1)
	v_mul_f32_e32 v29, v83, v29
	s_branch .LBB87_211
.LBB87_210:
	v_mov_b32_e32 v29, 0
.LBB87_211:
	s_delay_alu instid0(VALU_DEP_1) | instskip(SKIP_1) | instid1(VALU_DEP_2)
	v_add_f32_e32 v10, v10, v29
	v_max_num_f32_e32 v26, v26, v26
	v_add_f32_e32 v29, 0x40051340, v10
	s_delay_alu instid0(VALU_DEP_1)
	v_max_num_f32_e32 v26, v26, v29
.LBB87_212:
	s_or_b32 exec_lo, exec_lo, s8
	v_cmp_ngt_f32_e64 s8, 0x3f200000, |v14|
                                        ; implicit-def: $vgpr29
	s_and_saveexec_b32 s9, s8
	s_delay_alu instid0(SALU_CYCLE_1)
	s_xor_b32 s8, exec_lo, s9
	s_cbranch_execz .LBB87_214
; %bb.213:
	v_add_f32_e64 v29, |v14|, |v14|
	s_delay_alu instid0(VALU_DEP_1) | instskip(SKIP_1) | instid1(VALU_DEP_2)
	v_mul_f32_e32 v37, 0x3fb8aa3b, v29
	v_cmp_ngt_f32_e32 vcc_lo, 0xc2ce8ed0, v29
	v_rndne_f32_e32 v41, v37
	v_fma_f32 v42, 0x3fb8aa3b, v29, -v37
	s_delay_alu instid0(VALU_DEP_2) | instskip(NEXT) | instid1(VALU_DEP_2)
	v_sub_f32_e32 v37, v37, v41
	v_fmamk_f32 v42, v29, 0x32a5705f, v42
	v_cvt_i32_f32_e32 v41, v41
	s_delay_alu instid0(VALU_DEP_2) | instskip(NEXT) | instid1(VALU_DEP_1)
	v_add_f32_e32 v37, v37, v42
	v_exp_f32_e32 v37, v37
	v_nop
	s_delay_alu instid0(TRANS32_DEP_1) | instskip(NEXT) | instid1(VALU_DEP_1)
	v_ldexp_f32 v37, v37, v41
	v_cndmask_b32_e32 v37, 0, v37, vcc_lo
	v_cmp_nlt_f32_e32 vcc_lo, 0x42b17218, v29
	s_delay_alu instid0(VALU_DEP_2) | instskip(NEXT) | instid1(VALU_DEP_1)
	v_cndmask_b32_e32 v29, 0x7f800000, v37, vcc_lo
	v_add_f32_e32 v29, 1.0, v29
	s_delay_alu instid0(VALU_DEP_1) | instskip(SKIP_1) | instid1(TRANS32_DEP_1)
	v_rcp_f32_e32 v29, v29
	v_nop
	v_fma_f32 v29, v29, -2.0, 1.0
.LBB87_214:
	s_and_not1_saveexec_b32 s8, s8
	s_cbranch_execz .LBB87_216
; %bb.215:
	v_mul_f32_e32 v29, v14, v14
	s_mov_b32 s9, 0xbbbac73d
	s_delay_alu instid0(VALU_DEP_1) | instid1(SALU_CYCLE_1)
	v_fmaak_f32 v37, s9, v29, 0x3ca908c9
	s_delay_alu instid0(VALU_DEP_1) | instskip(NEXT) | instid1(VALU_DEP_1)
	v_fmaak_f32 v37, v29, v37, 0xbd5c1c4e
	v_fmaak_f32 v37, v29, v37, 0x3e088382
	s_delay_alu instid0(VALU_DEP_1) | instskip(NEXT) | instid1(VALU_DEP_1)
	v_fmaak_f32 v37, v29, v37, 0xbeaaaa99
	v_mul_f32_e64 v37, |v14|, v37
	s_delay_alu instid0(VALU_DEP_1)
	v_fma_f32 v29, v29, v37, |v14|
.LBB87_216:
	s_or_b32 exec_lo, exec_lo, s8
	s_delay_alu instid0(VALU_DEP_1) | instskip(NEXT) | instid1(VALU_DEP_1)
	v_bfi_b32 v14, 0x7fffffff, v29, v14
	v_mul_f32_e32 v14, s11, v14
	s_and_saveexec_b32 s8, s5
	s_cbranch_execz .LBB87_221
; %bb.217:
	v_cmp_ne_u32_e32 vcc_lo, 1, v50
	s_cbranch_vccnz .LBB87_219
; %bb.218:
	v_dual_ashrrev_i32 v29, 31, v28 :: v_dual_mov_b32 v37, 0
	s_delay_alu instid0(VALU_DEP_1) | instskip(NEXT) | instid1(VALU_DEP_1)
	v_add_nc_u64_e32 v[28:29], v[28:29], v[36:37]
	v_lshl_add_u64 v[28:29], v[28:29], 1, s[36:37]
	global_load_u16 v28, v[28:29], off offset:192
	s_wait_loadcnt 0x0
	v_cvt_f32_f16_e32 v28, v28
	s_delay_alu instid0(VALU_DEP_1)
	v_mul_f32_e32 v28, v83, v28
	s_branch .LBB87_220
.LBB87_219:
	v_mov_b32_e32 v28, 0
.LBB87_220:
	s_delay_alu instid0(VALU_DEP_1) | instskip(SKIP_1) | instid1(VALU_DEP_2)
	v_add_f32_e32 v14, v14, v28
	v_max_num_f32_e32 v26, v26, v26
	v_add_f32_e32 v28, 0x40051340, v14
	s_delay_alu instid0(VALU_DEP_1)
	v_max_num_f32_e32 v26, v26, v28
.LBB87_221:
	s_or_b32 exec_lo, exec_lo, s8
	ds_bpermute_b32 v28, v51, v26
	v_cmp_ngt_f32_e64 s8, 0x3f200000, |v3|
                                        ; implicit-def: $vgpr29
	s_wait_dscnt 0x0
	v_dual_max_num_f32 v26, v26, v26 :: v_dual_max_num_f32 v28, v28, v28
	s_delay_alu instid0(VALU_DEP_1) | instskip(SKIP_3) | instid1(VALU_DEP_1)
	v_max_num_f32_e32 v26, v26, v28
	ds_bpermute_b32 v28, v52, v26
	s_wait_dscnt 0x0
	v_max_num_f32_e32 v28, v28, v28
	v_max_num_f32_e32 v26, v26, v28
	ds_bpermute_b32 v28, v53, v26
	s_wait_dscnt 0x0
	v_max_num_f32_e32 v28, v28, v28
	s_delay_alu instid0(VALU_DEP_1) | instskip(SKIP_3) | instid1(VALU_DEP_1)
	v_max_num_f32_e32 v26, v26, v28
	ds_bpermute_b32 v28, v54, v26
	s_wait_dscnt 0x0
	v_max_num_f32_e32 v28, v28, v28
	v_max_num_f32_e32 v26, v26, v28
	ds_bpermute_b32 v28, v55, v26
	s_and_saveexec_b32 s9, s8
	s_delay_alu instid0(SALU_CYCLE_1)
	s_xor_b32 s8, exec_lo, s9
	s_cbranch_execz .LBB87_223
; %bb.222:
	v_add_f32_e64 v29, |v3|, |v3|
	s_delay_alu instid0(VALU_DEP_1) | instskip(SKIP_1) | instid1(VALU_DEP_2)
	v_mul_f32_e32 v37, 0x3fb8aa3b, v29
	v_cmp_ngt_f32_e32 vcc_lo, 0xc2ce8ed0, v29
	v_rndne_f32_e32 v41, v37
	v_fma_f32 v42, 0x3fb8aa3b, v29, -v37
	s_delay_alu instid0(VALU_DEP_2) | instskip(NEXT) | instid1(VALU_DEP_2)
	v_sub_f32_e32 v37, v37, v41
	v_fmamk_f32 v42, v29, 0x32a5705f, v42
	v_cvt_i32_f32_e32 v41, v41
	s_delay_alu instid0(VALU_DEP_2) | instskip(NEXT) | instid1(VALU_DEP_1)
	v_add_f32_e32 v37, v37, v42
	v_exp_f32_e32 v37, v37
	v_nop
	s_delay_alu instid0(TRANS32_DEP_1) | instskip(NEXT) | instid1(VALU_DEP_1)
	v_ldexp_f32 v37, v37, v41
	v_cndmask_b32_e32 v37, 0, v37, vcc_lo
	v_cmp_nlt_f32_e32 vcc_lo, 0x42b17218, v29
	s_delay_alu instid0(VALU_DEP_2) | instskip(NEXT) | instid1(VALU_DEP_1)
	v_cndmask_b32_e32 v29, 0x7f800000, v37, vcc_lo
	v_add_f32_e32 v29, 1.0, v29
	s_delay_alu instid0(VALU_DEP_1) | instskip(SKIP_1) | instid1(TRANS32_DEP_1)
	v_rcp_f32_e32 v29, v29
	v_nop
	v_fma_f32 v29, v29, -2.0, 1.0
.LBB87_223:
	s_and_not1_saveexec_b32 s8, s8
	s_cbranch_execz .LBB87_225
; %bb.224:
	v_mul_f32_e32 v29, v3, v3
	s_mov_b32 s9, 0xbbbac73d
	s_delay_alu instid0(VALU_DEP_1) | instid1(SALU_CYCLE_1)
	v_fmaak_f32 v37, s9, v29, 0x3ca908c9
	s_delay_alu instid0(VALU_DEP_1) | instskip(NEXT) | instid1(VALU_DEP_1)
	v_fmaak_f32 v37, v29, v37, 0xbd5c1c4e
	v_fmaak_f32 v37, v29, v37, 0x3e088382
	s_delay_alu instid0(VALU_DEP_1) | instskip(NEXT) | instid1(VALU_DEP_1)
	v_fmaak_f32 v37, v29, v37, 0xbeaaaa99
	v_mul_f32_e64 v37, |v3|, v37
	s_delay_alu instid0(VALU_DEP_1)
	v_fma_f32 v29, v29, v37, |v3|
.LBB87_225:
	s_or_b32 exec_lo, exec_lo, s8
	v_mov_b32_e32 v41, 0
	s_delay_alu instid0(VALU_DEP_2) | instskip(SKIP_1) | instid1(VALU_DEP_3)
	v_bfi_b32 v3, 0x7fffffff, v29, v3
	v_max_num_f32_e32 v26, v26, v26
	v_mul_u64_e32 v[42:43], s[28:29], v[40:41]
	s_delay_alu instid0(VALU_DEP_3) | instskip(NEXT) | instid1(VALU_DEP_2)
	v_mul_f32_e32 v3, s11, v3
	v_add_nc_u32_e32 v37, v40, v43
	s_delay_alu instid0(VALU_DEP_1) | instskip(NEXT) | instid1(VALU_DEP_1)
	v_lshrrev_b32_e32 v37, s21, v37
	v_mul_lo_u32 v37, v37, s22
	s_delay_alu instid0(VALU_DEP_1) | instskip(SKIP_2) | instid1(VALU_DEP_2)
	v_sub_nc_u32_e32 v37, v40, v37
	s_wait_dscnt 0x0
	v_max_num_f32_e32 v40, v28, v28
	v_mad_u32 v28, v37, s10, s24
	s_delay_alu instid0(VALU_DEP_2)
	v_max_num_f32_e32 v26, v26, v40
	s_and_saveexec_b32 s8, s2
	s_cbranch_execz .LBB87_229
; %bb.226:
	v_cmp_ne_u32_e32 vcc_lo, 1, v50
	s_cbranch_vccnz .LBB87_228
; %bb.227:
	s_delay_alu instid0(VALU_DEP_3) | instskip(SKIP_3) | instid1(VALU_DEP_1)
	v_add_nc_u32_e32 v29, v28, v36
	global_load_u16 v29, v29, s[36:37] scale_offset
	s_wait_loadcnt 0x0
	v_cvt_f32_f16_e32 v29, v29
	v_mul_f32_e32 v41, v83, v29
.LBB87_228:
	s_delay_alu instid0(VALU_DEP_1) | instskip(SKIP_1) | instid1(VALU_DEP_2)
	v_add_f32_e32 v3, v3, v41
	v_max_num_f32_e32 v27, v27, v27
	v_add_f32_e32 v29, 0x40051340, v3
	s_delay_alu instid0(VALU_DEP_1)
	v_max_num_f32_e32 v27, v27, v29
.LBB87_229:
	s_or_b32 exec_lo, exec_lo, s8
	v_cmp_ngt_f32_e64 s2, 0x3f200000, |v7|
                                        ; implicit-def: $vgpr29
	s_and_saveexec_b32 s8, s2
	s_delay_alu instid0(SALU_CYCLE_1)
	s_xor_b32 s2, exec_lo, s8
	s_cbranch_execz .LBB87_231
; %bb.230:
	v_add_f32_e64 v29, |v7|, |v7|
	s_delay_alu instid0(VALU_DEP_1) | instskip(SKIP_1) | instid1(VALU_DEP_2)
	v_mul_f32_e32 v37, 0x3fb8aa3b, v29
	v_cmp_ngt_f32_e32 vcc_lo, 0xc2ce8ed0, v29
	v_rndne_f32_e32 v40, v37
	v_fma_f32 v41, 0x3fb8aa3b, v29, -v37
	s_delay_alu instid0(VALU_DEP_2) | instskip(NEXT) | instid1(VALU_DEP_2)
	v_sub_f32_e32 v37, v37, v40
	v_fmamk_f32 v41, v29, 0x32a5705f, v41
	v_cvt_i32_f32_e32 v40, v40
	s_delay_alu instid0(VALU_DEP_2) | instskip(NEXT) | instid1(VALU_DEP_1)
	v_add_f32_e32 v37, v37, v41
	v_exp_f32_e32 v37, v37
	v_nop
	s_delay_alu instid0(TRANS32_DEP_1) | instskip(NEXT) | instid1(VALU_DEP_1)
	v_ldexp_f32 v37, v37, v40
	v_cndmask_b32_e32 v37, 0, v37, vcc_lo
	v_cmp_nlt_f32_e32 vcc_lo, 0x42b17218, v29
	s_delay_alu instid0(VALU_DEP_2) | instskip(NEXT) | instid1(VALU_DEP_1)
	v_cndmask_b32_e32 v29, 0x7f800000, v37, vcc_lo
	v_add_f32_e32 v29, 1.0, v29
	s_delay_alu instid0(VALU_DEP_1) | instskip(SKIP_1) | instid1(TRANS32_DEP_1)
	v_rcp_f32_e32 v29, v29
	v_nop
	v_fma_f32 v29, v29, -2.0, 1.0
.LBB87_231:
	s_and_not1_saveexec_b32 s2, s2
	s_cbranch_execz .LBB87_233
; %bb.232:
	v_mul_f32_e32 v29, v7, v7
	s_mov_b32 s8, 0xbbbac73d
	s_delay_alu instid0(VALU_DEP_1) | instid1(SALU_CYCLE_1)
	v_fmaak_f32 v37, s8, v29, 0x3ca908c9
	s_delay_alu instid0(VALU_DEP_1) | instskip(NEXT) | instid1(VALU_DEP_1)
	v_fmaak_f32 v37, v29, v37, 0xbd5c1c4e
	v_fmaak_f32 v37, v29, v37, 0x3e088382
	s_delay_alu instid0(VALU_DEP_1) | instskip(NEXT) | instid1(VALU_DEP_1)
	v_fmaak_f32 v37, v29, v37, 0xbeaaaa99
	v_mul_f32_e64 v37, |v7|, v37
	s_delay_alu instid0(VALU_DEP_1)
	v_fma_f32 v29, v29, v37, |v7|
.LBB87_233:
	s_or_b32 exec_lo, exec_lo, s2
	s_delay_alu instid0(VALU_DEP_1) | instskip(NEXT) | instid1(VALU_DEP_1)
	v_bfi_b32 v7, 0x7fffffff, v29, v7
	v_mul_f32_e32 v7, s11, v7
	s_and_saveexec_b32 s2, s3
	s_cbranch_execz .LBB87_238
; %bb.234:
	v_cmp_ne_u32_e32 vcc_lo, 1, v50
	s_cbranch_vccnz .LBB87_236
; %bb.235:
	v_dual_ashrrev_i32 v29, 31, v28 :: v_dual_mov_b32 v37, 0
	s_delay_alu instid0(VALU_DEP_1) | instskip(NEXT) | instid1(VALU_DEP_1)
	v_add_nc_u64_e32 v[40:41], v[28:29], v[36:37]
	v_lshl_add_u64 v[40:41], v[40:41], 1, s[36:37]
	global_load_u16 v29, v[40:41], off offset:64
	s_wait_loadcnt 0x0
	v_cvt_f32_f16_e32 v29, v29
	s_delay_alu instid0(VALU_DEP_1)
	v_mul_f32_e32 v29, v83, v29
	s_branch .LBB87_237
.LBB87_236:
	v_mov_b32_e32 v29, 0
.LBB87_237:
	s_delay_alu instid0(VALU_DEP_1) | instskip(SKIP_1) | instid1(VALU_DEP_2)
	v_add_f32_e32 v7, v7, v29
	v_max_num_f32_e32 v27, v27, v27
	v_add_f32_e32 v29, 0x40051340, v7
	s_delay_alu instid0(VALU_DEP_1)
	v_max_num_f32_e32 v27, v27, v29
.LBB87_238:
	s_or_b32 exec_lo, exec_lo, s2
	v_cmp_ngt_f32_e64 s2, 0x3f200000, |v11|
                                        ; implicit-def: $vgpr29
	s_and_saveexec_b32 s3, s2
	s_delay_alu instid0(SALU_CYCLE_1)
	s_xor_b32 s2, exec_lo, s3
	s_cbranch_execz .LBB87_240
; %bb.239:
	v_add_f32_e64 v29, |v11|, |v11|
	s_delay_alu instid0(VALU_DEP_1) | instskip(SKIP_1) | instid1(VALU_DEP_2)
	v_mul_f32_e32 v37, 0x3fb8aa3b, v29
	v_cmp_ngt_f32_e32 vcc_lo, 0xc2ce8ed0, v29
	v_rndne_f32_e32 v40, v37
	v_fma_f32 v41, 0x3fb8aa3b, v29, -v37
	s_delay_alu instid0(VALU_DEP_2) | instskip(NEXT) | instid1(VALU_DEP_2)
	v_sub_f32_e32 v37, v37, v40
	v_fmamk_f32 v41, v29, 0x32a5705f, v41
	v_cvt_i32_f32_e32 v40, v40
	s_delay_alu instid0(VALU_DEP_2) | instskip(NEXT) | instid1(VALU_DEP_1)
	v_add_f32_e32 v37, v37, v41
	v_exp_f32_e32 v37, v37
	v_nop
	s_delay_alu instid0(TRANS32_DEP_1) | instskip(NEXT) | instid1(VALU_DEP_1)
	v_ldexp_f32 v37, v37, v40
	v_cndmask_b32_e32 v37, 0, v37, vcc_lo
	v_cmp_nlt_f32_e32 vcc_lo, 0x42b17218, v29
	s_delay_alu instid0(VALU_DEP_2) | instskip(NEXT) | instid1(VALU_DEP_1)
	v_cndmask_b32_e32 v29, 0x7f800000, v37, vcc_lo
	v_add_f32_e32 v29, 1.0, v29
	s_delay_alu instid0(VALU_DEP_1) | instskip(SKIP_1) | instid1(TRANS32_DEP_1)
	v_rcp_f32_e32 v29, v29
	v_nop
	v_fma_f32 v29, v29, -2.0, 1.0
.LBB87_240:
	s_and_not1_saveexec_b32 s2, s2
	s_cbranch_execz .LBB87_242
; %bb.241:
	v_mul_f32_e32 v29, v11, v11
	s_mov_b32 s3, 0xbbbac73d
	s_delay_alu instid0(VALU_DEP_1) | instid1(SALU_CYCLE_1)
	v_fmaak_f32 v37, s3, v29, 0x3ca908c9
	s_delay_alu instid0(VALU_DEP_1) | instskip(NEXT) | instid1(VALU_DEP_1)
	v_fmaak_f32 v37, v29, v37, 0xbd5c1c4e
	v_fmaak_f32 v37, v29, v37, 0x3e088382
	s_delay_alu instid0(VALU_DEP_1) | instskip(NEXT) | instid1(VALU_DEP_1)
	v_fmaak_f32 v37, v29, v37, 0xbeaaaa99
	v_mul_f32_e64 v37, |v11|, v37
	s_delay_alu instid0(VALU_DEP_1)
	v_fma_f32 v29, v29, v37, |v11|
.LBB87_242:
	s_or_b32 exec_lo, exec_lo, s2
	s_delay_alu instid0(VALU_DEP_1) | instskip(NEXT) | instid1(VALU_DEP_1)
	v_bfi_b32 v11, 0x7fffffff, v29, v11
	v_mul_f32_e32 v11, s11, v11
	s_and_saveexec_b32 s2, s4
	s_cbranch_execz .LBB87_247
; %bb.243:
	v_cmp_ne_u32_e32 vcc_lo, 1, v50
	s_cbranch_vccnz .LBB87_245
; %bb.244:
	v_dual_ashrrev_i32 v29, 31, v28 :: v_dual_mov_b32 v37, 0
	s_delay_alu instid0(VALU_DEP_1) | instskip(NEXT) | instid1(VALU_DEP_1)
	v_add_nc_u64_e32 v[40:41], v[28:29], v[36:37]
	v_lshl_add_u64 v[40:41], v[40:41], 1, s[36:37]
	global_load_u16 v29, v[40:41], off offset:128
	s_wait_loadcnt 0x0
	v_cvt_f32_f16_e32 v29, v29
	s_delay_alu instid0(VALU_DEP_1)
	v_mul_f32_e32 v29, v83, v29
	s_branch .LBB87_246
.LBB87_245:
	v_mov_b32_e32 v29, 0
.LBB87_246:
	s_delay_alu instid0(VALU_DEP_1) | instskip(SKIP_1) | instid1(VALU_DEP_2)
	v_add_f32_e32 v11, v11, v29
	v_max_num_f32_e32 v27, v27, v27
	v_add_f32_e32 v29, 0x40051340, v11
	s_delay_alu instid0(VALU_DEP_1)
	v_max_num_f32_e32 v27, v27, v29
.LBB87_247:
	s_or_b32 exec_lo, exec_lo, s2
	v_cmp_ngt_f32_e64 s2, 0x3f200000, |v15|
                                        ; implicit-def: $vgpr29
	s_and_saveexec_b32 s3, s2
	s_delay_alu instid0(SALU_CYCLE_1)
	s_xor_b32 s2, exec_lo, s3
	s_cbranch_execz .LBB87_249
; %bb.248:
	v_add_f32_e64 v29, |v15|, |v15|
	s_delay_alu instid0(VALU_DEP_1) | instskip(SKIP_1) | instid1(VALU_DEP_2)
	v_mul_f32_e32 v37, 0x3fb8aa3b, v29
	v_cmp_ngt_f32_e32 vcc_lo, 0xc2ce8ed0, v29
	v_rndne_f32_e32 v40, v37
	v_fma_f32 v41, 0x3fb8aa3b, v29, -v37
	s_delay_alu instid0(VALU_DEP_2) | instskip(NEXT) | instid1(VALU_DEP_2)
	v_sub_f32_e32 v37, v37, v40
	v_fmamk_f32 v41, v29, 0x32a5705f, v41
	v_cvt_i32_f32_e32 v40, v40
	s_delay_alu instid0(VALU_DEP_2) | instskip(NEXT) | instid1(VALU_DEP_1)
	v_add_f32_e32 v37, v37, v41
	v_exp_f32_e32 v37, v37
	v_nop
	s_delay_alu instid0(TRANS32_DEP_1) | instskip(NEXT) | instid1(VALU_DEP_1)
	v_ldexp_f32 v37, v37, v40
	v_cndmask_b32_e32 v37, 0, v37, vcc_lo
	v_cmp_nlt_f32_e32 vcc_lo, 0x42b17218, v29
	s_delay_alu instid0(VALU_DEP_2) | instskip(NEXT) | instid1(VALU_DEP_1)
	v_cndmask_b32_e32 v29, 0x7f800000, v37, vcc_lo
	v_add_f32_e32 v29, 1.0, v29
	s_delay_alu instid0(VALU_DEP_1) | instskip(SKIP_1) | instid1(TRANS32_DEP_1)
	v_rcp_f32_e32 v29, v29
	v_nop
	v_fma_f32 v29, v29, -2.0, 1.0
.LBB87_249:
	s_and_not1_saveexec_b32 s2, s2
	s_cbranch_execz .LBB87_251
; %bb.250:
	v_mul_f32_e32 v29, v15, v15
	s_mov_b32 s3, 0xbbbac73d
	s_delay_alu instid0(VALU_DEP_1) | instid1(SALU_CYCLE_1)
	v_fmaak_f32 v37, s3, v29, 0x3ca908c9
	s_delay_alu instid0(VALU_DEP_1) | instskip(NEXT) | instid1(VALU_DEP_1)
	v_fmaak_f32 v37, v29, v37, 0xbd5c1c4e
	v_fmaak_f32 v37, v29, v37, 0x3e088382
	s_delay_alu instid0(VALU_DEP_1) | instskip(NEXT) | instid1(VALU_DEP_1)
	v_fmaak_f32 v37, v29, v37, 0xbeaaaa99
	v_mul_f32_e64 v37, |v15|, v37
	s_delay_alu instid0(VALU_DEP_1)
	v_fma_f32 v29, v29, v37, |v15|
.LBB87_251:
	s_or_b32 exec_lo, exec_lo, s2
	s_delay_alu instid0(VALU_DEP_1) | instskip(NEXT) | instid1(VALU_DEP_1)
	v_bfi_b32 v15, 0x7fffffff, v29, v15
	v_mul_f32_e32 v15, s11, v15
	s_and_saveexec_b32 s2, s5
	s_cbranch_execz .LBB87_256
; %bb.252:
	v_cmp_ne_u32_e32 vcc_lo, 1, v50
	s_cbranch_vccnz .LBB87_254
; %bb.253:
	v_dual_ashrrev_i32 v29, 31, v28 :: v_dual_mov_b32 v37, 0
	s_delay_alu instid0(VALU_DEP_1) | instskip(NEXT) | instid1(VALU_DEP_1)
	v_add_nc_u64_e32 v[28:29], v[28:29], v[36:37]
	v_lshl_add_u64 v[28:29], v[28:29], 1, s[36:37]
	global_load_u16 v28, v[28:29], off offset:192
	s_wait_loadcnt 0x0
	v_cvt_f32_f16_e32 v28, v28
	s_delay_alu instid0(VALU_DEP_1)
	v_mul_f32_e32 v28, v83, v28
	s_branch .LBB87_255
.LBB87_254:
	v_mov_b32_e32 v28, 0
.LBB87_255:
	s_delay_alu instid0(VALU_DEP_1) | instskip(SKIP_1) | instid1(VALU_DEP_2)
	v_add_f32_e32 v15, v15, v28
	v_max_num_f32_e32 v27, v27, v27
	v_add_f32_e32 v28, 0x40051340, v15
	s_delay_alu instid0(VALU_DEP_1)
	v_max_num_f32_e32 v27, v27, v28
.LBB87_256:
	s_or_b32 exec_lo, exec_lo, s2
	ds_bpermute_b32 v28, v51, v27
	v_dual_sub_f32 v0, v0, v24 :: v_dual_sub_f32 v1, v1, v25
	v_cmp_gt_u32_e64 s3, s26, v36
	v_sub_f32_e32 v8, v8, v24
	v_sub_f32_e32 v12, v12, v24
	s_delay_alu instid0(VALU_DEP_4)
	v_cmp_ngt_f32_e32 vcc_lo, 0xc2ce8ed0, v0
	v_cmp_gt_u32_e64 s2, s26, v46
	v_cmp_gt_u32_e64 s4, s26, v48
	v_dual_sub_f32 v20, v20, v24 :: v_dual_sub_f32 v21, v21, v25
	v_cmp_ngt_f32_e64 s5, 0xc2ce8ed0, v12
	v_lshl_add_u32 v44, v80, 1, v81
	s_wait_dscnt 0x0
	s_barrier_signal -1
	s_barrier_wait -1
	s_ashr_i32 s15, s14, 31
	v_add_nc_u32_e32 v43, 32, v44
	s_mov_b32 s8, 0
	v_dual_max_num_f32 v28, v28, v28 :: v_dual_max_num_f32 v27, v27, v27
	s_mov_b32 s9, s8
	s_mov_b32 s10, s8
	v_sub_f32_e32 v9, v9, v25
	s_delay_alu instid0(VALU_DEP_2)
	v_dual_sub_f32 v13, v13, v25 :: v_dual_max_num_f32 v27, v27, v28
	v_sub_f32_e32 v22, v22, v26
	v_dual_sub_f32 v2, v2, v26 :: v_dual_add_nc_u32 v45, 16, v44
	ds_bpermute_b32 v28, v52, v27
	s_wait_dscnt 0x0
	v_max_num_f32_e32 v28, v28, v28
	s_delay_alu instid0(VALU_DEP_1) | instskip(SKIP_3) | instid1(VALU_DEP_1)
	v_max_num_f32_e32 v27, v27, v28
	ds_bpermute_b32 v28, v53, v27
	s_wait_dscnt 0x0
	v_max_num_f32_e32 v28, v28, v28
	v_max_num_f32_e32 v27, v27, v28
	ds_bpermute_b32 v28, v54, v27
	s_wait_dscnt 0x0
	v_max_num_f32_e32 v28, v28, v28
	s_delay_alu instid0(VALU_DEP_1) | instskip(SKIP_3) | instid1(VALU_DEP_1)
	v_max_num_f32_e32 v27, v27, v28
	ds_bpermute_b32 v28, v55, v27
	s_wait_dscnt 0x0
	v_max_num_f32_e32 v28, v28, v28
	v_max_num_f32_e32 v27, v27, v28
	v_mul_f32_e32 v28, 0x3fb8aa3b, v0
	s_delay_alu instid0(VALU_DEP_1) | instskip(SKIP_1) | instid1(VALU_DEP_1)
	v_fma_f32 v29, 0x3fb8aa3b, v0, -v28
	v_rndne_f32_e32 v37, v28
	v_dual_fmac_f32 v29, 0x32a5705f, v0 :: v_dual_sub_f32 v28, v28, v37
	v_dual_sub_f32 v10, v10, v26 :: v_dual_sub_f32 v3, v3, v27
	s_delay_alu instid0(VALU_DEP_2) | instskip(SKIP_1) | instid1(VALU_DEP_2)
	v_dual_sub_f32 v11, v11, v27 :: v_dual_add_f32 v28, v28, v29
	v_cvt_i32_f32_e32 v29, v37
	v_exp_f32_e32 v28, v28
	v_nop
	s_delay_alu instid0(TRANS32_DEP_1) | instskip(NEXT) | instid1(VALU_DEP_1)
	v_ldexp_f32 v28, v28, v29
	v_cndmask_b32_e32 v28, 0, v28, vcc_lo
	v_cmp_nlt_f32_e32 vcc_lo, 0x42b17218, v0
	s_delay_alu instid0(VALU_DEP_2) | instskip(NEXT) | instid1(VALU_DEP_1)
	v_cndmask_b32_e32 v0, 0x7f800000, v28, vcc_lo
	v_cndmask_b32_e64 v29, 0, v0, s3
	v_sub_f32_e32 v0, v4, v24
	s_delay_alu instid0(VALU_DEP_1) | instskip(SKIP_1) | instid1(VALU_DEP_2)
	v_mul_f32_e32 v4, 0x3fb8aa3b, v0
	v_cmp_ngt_f32_e32 vcc_lo, 0xc2ce8ed0, v0
	v_fma_f32 v28, 0x3fb8aa3b, v0, -v4
	v_rndne_f32_e32 v37, v4
	s_delay_alu instid0(VALU_DEP_2) | instskip(NEXT) | instid1(VALU_DEP_2)
	v_fmac_f32_e32 v28, 0x32a5705f, v0
	v_sub_f32_e32 v4, v4, v37
	s_delay_alu instid0(VALU_DEP_1) | instskip(SKIP_1) | instid1(VALU_DEP_2)
	v_add_f32_e32 v4, v4, v28
	v_cvt_i32_f32_e32 v28, v37
	v_exp_f32_e32 v4, v4
	v_nop
	s_delay_alu instid0(TRANS32_DEP_1) | instskip(SKIP_1) | instid1(VALU_DEP_1)
	v_ldexp_f32 v4, v4, v28
	v_mul_f32_e32 v28, 0x3fb8aa3b, v8
	v_fma_f32 v37, 0x3fb8aa3b, v8, -v28
	v_rndne_f32_e32 v40, v28
	s_delay_alu instid0(VALU_DEP_2) | instskip(NEXT) | instid1(VALU_DEP_2)
	v_fmac_f32_e32 v37, 0x32a5705f, v8
	v_sub_f32_e32 v28, v28, v40
	v_cndmask_b32_e32 v4, 0, v4, vcc_lo
	v_cmp_nlt_f32_e32 vcc_lo, 0x42b17218, v0
	s_delay_alu instid0(VALU_DEP_3) | instskip(SKIP_1) | instid1(VALU_DEP_4)
	v_add_f32_e32 v28, v28, v37
	v_cvt_i32_f32_e32 v37, v40
	v_cndmask_b32_e32 v0, 0x7f800000, v4, vcc_lo
	v_cmp_ngt_f32_e32 vcc_lo, 0xc2ce8ed0, v8
	s_delay_alu instid0(VALU_DEP_4) | instskip(SKIP_1) | instid1(TRANS32_DEP_1)
	v_exp_f32_e32 v28, v28
	v_nop
	v_ldexp_f32 v28, v28, v37
	s_delay_alu instid0(VALU_DEP_1) | instskip(SKIP_1) | instid1(VALU_DEP_2)
	v_cndmask_b32_e32 v28, 0, v28, vcc_lo
	v_cmp_nlt_f32_e32 vcc_lo, 0x42b17218, v8
	v_cndmask_b32_e32 v8, 0x7f800000, v28, vcc_lo
	v_mul_f32_e32 v28, 0x3fb8aa3b, v12
	v_cmp_gt_u32_e32 vcc_lo, s26, v49
	s_delay_alu instid0(VALU_DEP_3) | instskip(NEXT) | instid1(VALU_DEP_3)
	v_cndmask_b32_e64 v8, 0, v8, s4
	v_fma_f32 v37, 0x3fb8aa3b, v12, -v28
	v_rndne_f32_e32 v40, v28
	v_cndmask_b32_e64 v4, 0, v0, s2
	s_delay_alu instid0(VALU_DEP_3) | instskip(NEXT) | instid1(VALU_DEP_3)
	v_fmac_f32_e32 v37, 0x32a5705f, v12
	v_sub_f32_e32 v28, v28, v40
	s_delay_alu instid0(VALU_DEP_1) | instskip(SKIP_1) | instid1(VALU_DEP_2)
	v_dual_add_f32 v0, v29, v4 :: v_dual_add_f32 v28, v28, v37
	v_cvt_i32_f32_e32 v37, v40
	v_exp_f32_e32 v28, v28
	v_nop
	s_delay_alu instid0(TRANS32_DEP_1) | instskip(NEXT) | instid1(VALU_DEP_1)
	v_ldexp_f32 v28, v28, v37
	v_cndmask_b32_e64 v28, 0, v28, s5
	v_cmp_nlt_f32_e64 s5, 0x42b17218, v12
	s_delay_alu instid0(VALU_DEP_1) | instskip(SKIP_2) | instid1(VALU_DEP_3)
	v_cndmask_b32_e64 v12, 0x7f800000, v28, s5
	v_mul_f32_e32 v28, 0x3fb8aa3b, v20
	v_cmp_ngt_f32_e64 s5, 0xc2ce8ed0, v20
	v_cndmask_b32_e32 v12, 0, v12, vcc_lo
	s_delay_alu instid0(VALU_DEP_3) | instskip(SKIP_1) | instid1(VALU_DEP_2)
	v_fma_f32 v37, 0x3fb8aa3b, v20, -v28
	v_rndne_f32_e32 v40, v28
	v_fmac_f32_e32 v37, 0x32a5705f, v20
	s_delay_alu instid0(VALU_DEP_2) | instskip(NEXT) | instid1(VALU_DEP_1)
	v_sub_f32_e32 v28, v28, v40
	v_add_f32_e32 v28, v28, v37
	v_cvt_i32_f32_e32 v37, v40
	v_add_f32_e32 v0, v8, v0
	s_delay_alu instid0(VALU_DEP_3) | instskip(NEXT) | instid1(VALU_DEP_1)
	v_exp_f32_e32 v28, v28
	v_add_f32_e32 v0, v12, v0
	s_delay_alu instid0(TRANS32_DEP_1) | instskip(NEXT) | instid1(VALU_DEP_1)
	v_ldexp_f32 v28, v28, v37
	v_cndmask_b32_e64 v28, 0, v28, s5
	v_cmp_nlt_f32_e64 s5, 0x42b17218, v20
	s_delay_alu instid0(VALU_DEP_1) | instskip(SKIP_1) | instid1(VALU_DEP_2)
	v_cndmask_b32_e64 v20, 0x7f800000, v28, s5
	v_cmp_ngt_f32_e64 s5, 0xc2ce8ed0, v1
	v_fmac_f32_e32 v0, v16, v20
	v_cvt_f16_f32_e32 v16, v20
	s_delay_alu instid0(VALU_DEP_1) | instskip(NEXT) | instid1(VALU_DEP_1)
	v_and_b32_e32 v16, 0xffff, v16
	v_mul_u32_u24_e32 v28, 0x10001, v16
	v_mul_f32_e32 v16, 0x3fb8aa3b, v1
	s_delay_alu instid0(VALU_DEP_2) | instskip(NEXT) | instid1(VALU_DEP_2)
	v_pk_mul_f16 v20, v102, v28
	v_fma_f32 v37, 0x3fb8aa3b, v1, -v16
	v_rndne_f32_e32 v40, v16
	s_delay_alu instid0(VALU_DEP_1) | instskip(NEXT) | instid1(VALU_DEP_1)
	v_dual_fmac_f32 v37, 0x32a5705f, v1 :: v_dual_sub_f32 v16, v16, v40
	v_add_f32_e32 v16, v16, v37
	v_cvt_i32_f32_e32 v37, v40
	s_delay_alu instid0(VALU_DEP_2) | instskip(SKIP_1) | instid1(TRANS32_DEP_1)
	v_exp_f32_e32 v16, v16
	v_nop
	v_ldexp_f32 v16, v16, v37
	s_delay_alu instid0(VALU_DEP_1) | instskip(SKIP_1) | instid1(VALU_DEP_1)
	v_cndmask_b32_e64 v16, 0, v16, s5
	v_cmp_nlt_f32_e64 s5, 0x42b17218, v1
	v_cndmask_b32_e64 v1, 0x7f800000, v16, s5
	s_delay_alu instid0(VALU_DEP_1) | instskip(SKIP_1) | instid1(VALU_DEP_1)
	v_cndmask_b32_e64 v16, 0, v1, s3
	v_sub_f32_e32 v1, v5, v25
	v_mul_f32_e32 v5, 0x3fb8aa3b, v1
	v_cmp_ngt_f32_e64 s5, 0xc2ce8ed0, v1
	s_delay_alu instid0(VALU_DEP_2) | instskip(SKIP_1) | instid1(VALU_DEP_2)
	v_fma_f32 v37, 0x3fb8aa3b, v1, -v5
	v_rndne_f32_e32 v40, v5
	v_fmac_f32_e32 v37, 0x32a5705f, v1
	s_delay_alu instid0(VALU_DEP_2) | instskip(NEXT) | instid1(VALU_DEP_1)
	v_sub_f32_e32 v5, v5, v40
	v_add_f32_e32 v5, v5, v37
	v_cvt_i32_f32_e32 v37, v40
	s_delay_alu instid0(VALU_DEP_2) | instskip(SKIP_1) | instid1(TRANS32_DEP_1)
	v_exp_f32_e32 v5, v5
	v_nop
	v_ldexp_f32 v5, v5, v37
	v_mul_f32_e32 v37, 0x3fb8aa3b, v9
	s_delay_alu instid0(VALU_DEP_2) | instskip(NEXT) | instid1(VALU_DEP_2)
	v_cndmask_b32_e64 v5, 0, v5, s5
	v_fma_f32 v40, 0x3fb8aa3b, v9, -v37
	v_rndne_f32_e32 v41, v37
	v_cmp_nlt_f32_e64 s5, 0x42b17218, v1
	s_delay_alu instid0(VALU_DEP_3) | instskip(NEXT) | instid1(VALU_DEP_3)
	v_fmac_f32_e32 v40, 0x32a5705f, v9
	v_sub_f32_e32 v37, v37, v41
	s_delay_alu instid0(VALU_DEP_3) | instskip(SKIP_1) | instid1(VALU_DEP_3)
	v_cndmask_b32_e64 v1, 0x7f800000, v5, s5
	v_cmp_ngt_f32_e64 s5, 0xc2ce8ed0, v9
	v_add_f32_e32 v37, v37, v40
	v_cvt_i32_f32_e32 v40, v41
	s_delay_alu instid0(VALU_DEP_4) | instskip(NEXT) | instid1(VALU_DEP_3)
	v_cndmask_b32_e64 v5, 0, v1, s2
	v_exp_f32_e32 v37, v37
	s_delay_alu instid0(VALU_DEP_1) | instskip(NEXT) | instid1(TRANS32_DEP_1)
	v_add_f32_e32 v1, v16, v5
	v_ldexp_f32 v37, v37, v40
	s_delay_alu instid0(VALU_DEP_1) | instskip(SKIP_1) | instid1(VALU_DEP_1)
	v_cndmask_b32_e64 v37, 0, v37, s5
	v_cmp_nlt_f32_e64 s5, 0x42b17218, v9
	v_cndmask_b32_e64 v9, 0x7f800000, v37, s5
	v_mul_f32_e32 v37, 0x3fb8aa3b, v13
	v_cmp_ngt_f32_e64 s5, 0xc2ce8ed0, v13
	s_delay_alu instid0(VALU_DEP_3) | instskip(NEXT) | instid1(VALU_DEP_3)
	v_cndmask_b32_e64 v9, 0, v9, s4
	v_fma_f32 v40, 0x3fb8aa3b, v13, -v37
	v_rndne_f32_e32 v41, v37
	s_delay_alu instid0(VALU_DEP_3) | instskip(NEXT) | instid1(VALU_DEP_3)
	v_add_f32_e32 v1, v9, v1
	v_fmac_f32_e32 v40, 0x32a5705f, v13
	s_delay_alu instid0(VALU_DEP_3) | instskip(NEXT) | instid1(VALU_DEP_1)
	v_sub_f32_e32 v37, v37, v41
	v_add_f32_e32 v37, v37, v40
	v_cvt_i32_f32_e32 v40, v41
	s_delay_alu instid0(VALU_DEP_2) | instskip(SKIP_1) | instid1(TRANS32_DEP_1)
	v_exp_f32_e32 v37, v37
	v_nop
	v_ldexp_f32 v37, v37, v40
	s_delay_alu instid0(VALU_DEP_1) | instskip(SKIP_1) | instid1(VALU_DEP_1)
	v_cndmask_b32_e64 v37, 0, v37, s5
	v_cmp_nlt_f32_e64 s5, 0x42b17218, v13
	v_cndmask_b32_e64 v13, 0x7f800000, v37, s5
	v_mul_f32_e32 v37, 0x3fb8aa3b, v21
	v_cmp_ngt_f32_e64 s5, 0xc2ce8ed0, v21
	s_delay_alu instid0(VALU_DEP_3) | instskip(NEXT) | instid1(VALU_DEP_3)
	v_cndmask_b32_e32 v13, 0, v13, vcc_lo
	v_fma_f32 v40, 0x3fb8aa3b, v21, -v37
	v_rndne_f32_e32 v41, v37
	s_delay_alu instid0(VALU_DEP_3) | instskip(NEXT) | instid1(VALU_DEP_3)
	v_add_f32_e32 v1, v13, v1
	v_fmac_f32_e32 v40, 0x32a5705f, v21
	s_delay_alu instid0(VALU_DEP_3) | instskip(NEXT) | instid1(VALU_DEP_1)
	v_sub_f32_e32 v37, v37, v41
	v_add_f32_e32 v37, v37, v40
	v_cvt_i32_f32_e32 v40, v41
	s_delay_alu instid0(VALU_DEP_2) | instskip(SKIP_1) | instid1(TRANS32_DEP_1)
	v_exp_f32_e32 v37, v37
	v_nop
	v_ldexp_f32 v37, v37, v40
	s_delay_alu instid0(VALU_DEP_1) | instskip(SKIP_1) | instid1(VALU_DEP_1)
	v_cndmask_b32_e64 v37, 0, v37, s5
	v_cmp_nlt_f32_e64 s5, 0x42b17218, v21
	v_cndmask_b32_e64 v21, 0x7f800000, v37, s5
	v_cmp_ngt_f32_e64 s5, 0xc2ce8ed0, v2
	s_delay_alu instid0(VALU_DEP_2) | instskip(SKIP_1) | instid1(VALU_DEP_1)
	v_fmac_f32_e32 v1, v17, v21
	v_cvt_f16_f32_e32 v17, v21
	v_and_b32_e32 v17, 0xffff, v17
	s_delay_alu instid0(VALU_DEP_1) | instskip(SKIP_1) | instid1(VALU_DEP_2)
	v_mul_u32_u24_e32 v37, 0x10001, v17
	v_mul_f32_e32 v17, 0x3fb8aa3b, v2
	v_pk_mul_f16 v21, v101, v37
	s_delay_alu instid0(VALU_DEP_2) | instskip(SKIP_1) | instid1(VALU_DEP_1)
	v_fma_f32 v40, 0x3fb8aa3b, v2, -v17
	v_rndne_f32_e32 v41, v17
	v_dual_fmac_f32 v40, 0x32a5705f, v2 :: v_dual_sub_f32 v17, v17, v41
	s_delay_alu instid0(VALU_DEP_1) | instskip(SKIP_1) | instid1(VALU_DEP_2)
	v_add_f32_e32 v17, v17, v40
	v_cvt_i32_f32_e32 v40, v41
	v_exp_f32_e32 v17, v17
	v_nop
	s_delay_alu instid0(TRANS32_DEP_1) | instskip(NEXT) | instid1(VALU_DEP_1)
	v_ldexp_f32 v17, v17, v40
	v_cndmask_b32_e64 v17, 0, v17, s5
	v_cmp_nlt_f32_e64 s5, 0x42b17218, v2
	s_delay_alu instid0(VALU_DEP_1) | instskip(NEXT) | instid1(VALU_DEP_1)
	v_cndmask_b32_e64 v2, 0x7f800000, v17, s5
	v_cndmask_b32_e64 v17, 0, v2, s3
	v_sub_f32_e32 v2, v6, v26
	s_delay_alu instid0(VALU_DEP_1) | instskip(SKIP_1) | instid1(VALU_DEP_2)
	v_mul_f32_e32 v6, 0x3fb8aa3b, v2
	v_cmp_ngt_f32_e64 s5, 0xc2ce8ed0, v2
	v_fma_f32 v40, 0x3fb8aa3b, v2, -v6
	v_rndne_f32_e32 v41, v6
	s_delay_alu instid0(VALU_DEP_2) | instskip(NEXT) | instid1(VALU_DEP_2)
	v_fmac_f32_e32 v40, 0x32a5705f, v2
	v_sub_f32_e32 v6, v6, v41
	s_delay_alu instid0(VALU_DEP_1) | instskip(SKIP_1) | instid1(VALU_DEP_2)
	v_add_f32_e32 v6, v6, v40
	v_cvt_i32_f32_e32 v40, v41
	v_exp_f32_e32 v6, v6
	v_nop
	s_delay_alu instid0(TRANS32_DEP_1) | instskip(SKIP_1) | instid1(VALU_DEP_1)
	v_ldexp_f32 v6, v6, v40
	v_mul_f32_e32 v40, 0x3fb8aa3b, v10
	v_fma_f32 v41, 0x3fb8aa3b, v10, -v40
	v_rndne_f32_e32 v42, v40
	s_delay_alu instid0(VALU_DEP_2) | instskip(NEXT) | instid1(VALU_DEP_2)
	v_fmac_f32_e32 v41, 0x32a5705f, v10
	v_sub_f32_e32 v40, v40, v42
	v_cndmask_b32_e64 v6, 0, v6, s5
	v_cmp_nlt_f32_e64 s5, 0x42b17218, v2
	s_delay_alu instid0(VALU_DEP_3) | instskip(SKIP_1) | instid1(VALU_DEP_3)
	v_add_f32_e32 v40, v40, v41
	v_cvt_i32_f32_e32 v41, v42
	v_cndmask_b32_e64 v2, 0x7f800000, v6, s5
	v_cmp_ngt_f32_e64 s5, 0xc2ce8ed0, v10
	s_delay_alu instid0(VALU_DEP_4) | instskip(SKIP_1) | instid1(TRANS32_DEP_1)
	v_exp_f32_e32 v40, v40
	v_nop
	v_ldexp_f32 v40, v40, v41
	s_delay_alu instid0(VALU_DEP_1) | instskip(SKIP_1) | instid1(VALU_DEP_1)
	v_dual_cndmask_b32 v6, 0, v2, s2 :: v_dual_cndmask_b32 v40, 0, v40, s5
	v_cmp_nlt_f32_e64 s5, 0x42b17218, v10
	v_cndmask_b32_e64 v10, 0x7f800000, v40, s5
	s_delay_alu instid0(VALU_DEP_1) | instskip(SKIP_1) | instid1(VALU_DEP_1)
	v_cndmask_b32_e64 v40, 0, v10, s4
	v_sub_f32_e32 v10, v14, v26
	v_mul_f32_e32 v14, 0x3fb8aa3b, v10
	v_cmp_ngt_f32_e64 s5, 0xc2ce8ed0, v10
	s_delay_alu instid0(VALU_DEP_2) | instskip(SKIP_1) | instid1(VALU_DEP_2)
	v_fma_f32 v41, 0x3fb8aa3b, v10, -v14
	v_rndne_f32_e32 v42, v14
	v_fmac_f32_e32 v41, 0x32a5705f, v10
	s_delay_alu instid0(VALU_DEP_2) | instskip(NEXT) | instid1(VALU_DEP_1)
	v_sub_f32_e32 v14, v14, v42
	v_dual_add_f32 v2, v17, v6 :: v_dual_add_f32 v14, v14, v41
	v_cvt_i32_f32_e32 v41, v42
	s_delay_alu instid0(VALU_DEP_2) | instskip(SKIP_1) | instid1(TRANS32_DEP_1)
	v_exp_f32_e32 v14, v14
	v_nop
	v_ldexp_f32 v14, v14, v41
	s_delay_alu instid0(VALU_DEP_1) | instskip(SKIP_1) | instid1(VALU_DEP_1)
	v_cndmask_b32_e64 v14, 0, v14, s5
	v_cmp_nlt_f32_e64 s5, 0x42b17218, v10
	v_cndmask_b32_e64 v10, 0x7f800000, v14, s5
	v_cmp_ngt_f32_e64 s5, 0xc2ce8ed0, v22
	s_delay_alu instid0(VALU_DEP_2) | instskip(SKIP_1) | instid1(VALU_DEP_1)
	v_cndmask_b32_e32 v14, 0, v10, vcc_lo
	v_mul_f32_e32 v10, 0x3fb8aa3b, v22
	v_fma_f32 v41, 0x3fb8aa3b, v22, -v10
	v_rndne_f32_e32 v42, v10
	s_delay_alu instid0(VALU_DEP_2) | instskip(NEXT) | instid1(VALU_DEP_2)
	v_fmac_f32_e32 v41, 0x32a5705f, v22
	v_sub_f32_e32 v10, v10, v42
	s_delay_alu instid0(VALU_DEP_1) | instskip(SKIP_1) | instid1(VALU_DEP_2)
	v_dual_add_f32 v2, v40, v2 :: v_dual_add_f32 v10, v10, v41
	v_cvt_i32_f32_e32 v41, v42
	v_add_f32_e32 v2, v14, v2
	s_delay_alu instid0(VALU_DEP_3) | instskip(SKIP_1) | instid1(TRANS32_DEP_1)
	v_exp_f32_e32 v10, v10
	v_nop
	v_ldexp_f32 v10, v10, v41
	s_delay_alu instid0(VALU_DEP_1) | instskip(SKIP_1) | instid1(VALU_DEP_1)
	v_cndmask_b32_e64 v10, 0, v10, s5
	v_cmp_nlt_f32_e64 s5, 0x42b17218, v22
	v_cndmask_b32_e64 v10, 0x7f800000, v10, s5
	v_cmp_ngt_f32_e64 s5, 0xc2ce8ed0, v3
	s_delay_alu instid0(VALU_DEP_2) | instskip(SKIP_2) | instid1(VALU_DEP_2)
	v_fmac_f32_e32 v2, v18, v10
	v_cvt_f16_f32_e32 v10, v10
	v_mul_f32_e32 v18, 0x3fb8aa3b, v3
	v_and_b32_e32 v10, 0xffff, v10
	s_delay_alu instid0(VALU_DEP_2) | instskip(NEXT) | instid1(VALU_DEP_2)
	v_rndne_f32_e32 v41, v18
	v_mul_u32_u24_e32 v50, 0x10001, v10
	v_sub_f32_e32 v10, v23, v27
	v_fma_f32 v23, 0x3fb8aa3b, v3, -v18
	s_delay_alu instid0(VALU_DEP_4) | instskip(NEXT) | instid1(VALU_DEP_4)
	v_sub_f32_e32 v18, v18, v41
	v_pk_mul_f16 v22, v100, v50
	s_delay_alu instid0(VALU_DEP_3) | instskip(NEXT) | instid1(VALU_DEP_1)
	v_fmac_f32_e32 v23, 0x32a5705f, v3
	v_add_f32_e32 v18, v18, v23
	v_cvt_i32_f32_e32 v23, v41
	s_delay_alu instid0(VALU_DEP_2) | instskip(SKIP_1) | instid1(TRANS32_DEP_1)
	v_exp_f32_e32 v18, v18
	v_nop
	v_ldexp_f32 v18, v18, v23
	s_delay_alu instid0(VALU_DEP_1) | instskip(SKIP_1) | instid1(VALU_DEP_1)
	v_cndmask_b32_e64 v18, 0, v18, s5
	v_cmp_nlt_f32_e64 s5, 0x42b17218, v3
	v_cndmask_b32_e64 v3, 0x7f800000, v18, s5
	s_delay_alu instid0(VALU_DEP_1) | instskip(SKIP_1) | instid1(VALU_DEP_1)
	v_cndmask_b32_e64 v18, 0, v3, s3
	v_sub_f32_e32 v3, v7, v27
	v_mul_f32_e32 v7, 0x3fb8aa3b, v3
	v_cmp_ngt_f32_e64 s3, 0xc2ce8ed0, v3
	s_delay_alu instid0(VALU_DEP_2) | instskip(SKIP_1) | instid1(VALU_DEP_2)
	v_fma_f32 v23, 0x3fb8aa3b, v3, -v7
	v_rndne_f32_e32 v41, v7
	v_fmac_f32_e32 v23, 0x32a5705f, v3
	s_delay_alu instid0(VALU_DEP_2) | instskip(NEXT) | instid1(VALU_DEP_1)
	v_sub_f32_e32 v7, v7, v41
	v_add_f32_e32 v7, v7, v23
	v_cvt_i32_f32_e32 v23, v41
	s_delay_alu instid0(VALU_DEP_2) | instskip(SKIP_1) | instid1(TRANS32_DEP_1)
	v_exp_f32_e32 v7, v7
	v_nop
	v_ldexp_f32 v7, v7, v23
	v_mul_f32_e32 v23, 0x3fb8aa3b, v11
	s_delay_alu instid0(VALU_DEP_1) | instskip(SKIP_1) | instid1(VALU_DEP_2)
	v_fma_f32 v41, 0x3fb8aa3b, v11, -v23
	v_rndne_f32_e32 v42, v23
	v_fmac_f32_e32 v41, 0x32a5705f, v11
	s_delay_alu instid0(VALU_DEP_2) | instskip(SKIP_1) | instid1(VALU_DEP_2)
	v_dual_sub_f32 v23, v23, v42 :: v_dual_cndmask_b32 v7, 0, v7, s3
	v_cmp_nlt_f32_e64 s3, 0x42b17218, v3
	v_add_f32_e32 v23, v23, v41
	v_cvt_i32_f32_e32 v41, v42
	s_delay_alu instid0(VALU_DEP_3) | instskip(NEXT) | instid1(VALU_DEP_3)
	v_cndmask_b32_e64 v3, 0x7f800000, v7, s3
	v_exp_f32_e32 v23, v23
	s_delay_alu instid0(VALU_DEP_1) | instskip(SKIP_1) | instid1(TRANS32_DEP_1)
	v_cndmask_b32_e64 v7, 0, v3, s2
	v_cmp_ngt_f32_e64 s2, 0xc2ce8ed0, v11
	v_ldexp_f32 v23, v23, v41
	s_delay_alu instid0(VALU_DEP_1) | instskip(SKIP_1) | instid1(VALU_DEP_1)
	v_cndmask_b32_e64 v23, 0, v23, s2
	v_cmp_nlt_f32_e64 s2, 0x42b17218, v11
	v_cndmask_b32_e64 v11, 0x7f800000, v23, s2
	s_delay_alu instid0(VALU_DEP_1) | instskip(SKIP_2) | instid1(VALU_DEP_1)
	v_cndmask_b32_e64 v23, 0, v11, s4
	v_sub_f32_e32 v11, v15, v27
	s_sub_co_i32 s4, s26, 64
	v_mul_f32_e32 v15, 0x3fb8aa3b, v11
	v_cmp_ngt_f32_e64 s2, 0xc2ce8ed0, v11
	s_delay_alu instid0(VALU_DEP_2) | instskip(SKIP_2) | instid1(VALU_DEP_3)
	v_fma_f32 v41, 0x3fb8aa3b, v11, -v15
	v_rndne_f32_e32 v42, v15
	v_add_f32_e32 v3, v18, v7
	v_fmac_f32_e32 v41, 0x32a5705f, v11
	s_delay_alu instid0(VALU_DEP_3) | instskip(NEXT) | instid1(VALU_DEP_1)
	v_sub_f32_e32 v15, v15, v42
	v_add_f32_e32 v15, v15, v41
	v_cvt_i32_f32_e32 v41, v42
	s_delay_alu instid0(VALU_DEP_2) | instskip(SKIP_1) | instid1(TRANS32_DEP_1)
	v_exp_f32_e32 v15, v15
	v_nop
	v_ldexp_f32 v15, v15, v41
	s_delay_alu instid0(VALU_DEP_1) | instskip(SKIP_1) | instid1(VALU_DEP_1)
	v_cndmask_b32_e64 v15, 0, v15, s2
	v_cmp_nlt_f32_e64 s2, 0x42b17218, v11
	v_cndmask_b32_e64 v11, 0x7f800000, v15, s2
	s_lshl_b32 s2, s14, 4
	s_delay_alu instid0(VALU_DEP_1)
	v_cndmask_b32_e32 v15, 0, v11, vcc_lo
	v_mul_f32_e32 v11, 0x3fb8aa3b, v10
	v_add_f32_e32 v3, v23, v3
	v_cvt_pk_f16_f32 v7, v6, v7
	v_cvt_pk_f16_f32 v6, v4, v5
	;; [unrolled: 1-line block ×3, first 2 shown]
	v_add_nc_u32_e32 v40, 48, v44
	v_fma_f32 v41, 0x3fb8aa3b, v10, -v11
	v_rndne_f32_e32 v42, v11
	v_cmp_ngt_f32_e32 vcc_lo, 0xc2ce8ed0, v10
	v_add_f32_e32 v3, v15, v3
	v_cvt_pk_f16_f32 v4, v8, v9
	v_fmac_f32_e32 v41, 0x32a5705f, v10
	v_sub_f32_e32 v11, v11, v42
	s_delay_alu instid0(VALU_DEP_1) | instskip(SKIP_1) | instid1(VALU_DEP_2)
	v_add_f32_e32 v11, v11, v41
	v_cvt_i32_f32_e32 v41, v42
	v_exp_f32_e32 v11, v11
	v_nop
	s_delay_alu instid0(TRANS32_DEP_1) | instskip(NEXT) | instid1(VALU_DEP_1)
	v_ldexp_f32 v11, v11, v41
	v_cndmask_b32_e32 v11, 0, v11, vcc_lo
	v_cmp_nlt_f32_e32 vcc_lo, 0x42b17218, v10
	s_delay_alu instid0(VALU_DEP_2) | instskip(SKIP_2) | instid1(VALU_DEP_3)
	v_cndmask_b32_e32 v10, 0x7f800000, v11, vcc_lo
	v_cvt_pk_f16_f32 v11, v17, v18
	v_cmp_gt_i32_e32 vcc_lo, s26, v44
	v_fmac_f32_e32 v3, v19, v10
	v_cvt_f16_f32_e32 v10, v10
	v_add_nc_u32_e32 v19, v82, v79
	s_delay_alu instid0(VALU_DEP_2) | instskip(NEXT) | instid1(VALU_DEP_1)
	v_and_b32_e32 v10, 0xffff, v10
	v_mul_u32_u24_e32 v10, 0x10001, v10
	s_delay_alu instid0(VALU_DEP_1)
	v_pk_mul_f16 v51, v98, v10
	v_pk_mul_f16 v68, v99, v10
	v_cvt_pk_f16_f32 v10, v29, v16
	ds_store_b64 v19, v[10:11]
	v_lshl_add_u32 v10, v46, 3, v82
	v_mov_b32_e32 v11, 0
	ds_store_b64 v10, v[6:7]
	v_lshl_add_u32 v6, v48, 3, v82
	v_lshlrev_b32_e32 v10, 2, v38
	ds_store_b64 v6, v[4:5]
	v_cvt_pk_f16_f32 v4, v12, v13
	v_mul_lo_u32 v12, s14, v44
	v_lshl_add_u32 v6, v49, 3, v82
	v_cvt_pk_f16_f32 v5, v14, v15
	v_lshl_or_b32 v41, v44, 8, v10
	v_lshl_or_b32 v42, v45, 8, v10
	;; [unrolled: 1-line block ×4, first 2 shown]
	ds_store_b64 v6, v[4:5]
	v_mbcnt_lo_u32_b32 v4, -1, 0
	v_dual_add_nc_u32 v18, s2, v12 :: v_dual_ashrrev_i32 v13, 31, v12
	s_delay_alu instid0(VALU_DEP_2) | instskip(NEXT) | instid1(VALU_DEP_2)
	v_dual_mov_b32 v4, 0 :: v_dual_lshlrev_b32 v5, 20, v4
	v_add_nc_u32_e32 v48, s2, v18
	s_delay_alu instid0(VALU_DEP_3) | instskip(SKIP_1) | instid1(VALU_DEP_4)
	v_lshlrev_b64_e32 v[12:13], 2, v[12:13]
	v_ashrrev_i32_e32 v19, 31, v18
	v_add_nc_u64_e32 v[8:9], src_flat_scratch_base_lo, v[4:5]
	s_delay_alu instid0(VALU_DEP_4)
	v_dual_mov_b32 v4, s8 :: v_dual_ashrrev_i32 v49, 31, v48
	v_add_nc_u32_e32 v56, s2, v48
	s_mul_u64 s[2:3], s[24:25], s[14:15]
	v_mov_b32_e32 v5, s9
	s_lshl_b64 s[2:3], s[2:3], 2
	v_lshlrev_b64_e32 v[18:19], 2, v[18:19]
	s_add_nc_u64 s[2:3], s[6:7], s[2:3]
	v_ashrrev_i32_e32 v57, 31, v56
	v_add_nc_u64_e32 v[14:15], s[2:3], v[12:13]
	s_delay_alu instid0(VALU_DEP_1) | instskip(NEXT) | instid1(VALU_DEP_1)
	v_add_nc_u64_e32 v[14:15], v[14:15], v[10:11]
	v_dual_mov_b32 v6, s10 :: v_dual_cndmask_b32 v15, v9, v15
	s_delay_alu instid0(VALU_DEP_2)
	v_cndmask_b32_e32 v14, v8, v14, vcc_lo
	s_clause 0x1
	scratch_store_b32 off, v11, off
	scratch_store_b96 off, v[4:6], off offset:4
	v_cmp_gt_i32_e32 vcc_lo, s26, v45
	flat_load_b128 v[14:17], v[14:15]
	s_wait_loadcnt_dscnt 0x0
	ds_store_b128 v41, v[14:17]
	s_wait_xcnt 0x0
	v_add_nc_u64_e32 v[14:15], s[2:3], v[18:19]
	s_clause 0x1
	scratch_store_b32 off, v11, off
	scratch_store_b96 off, v[4:6], off offset:4
	v_add_nc_u64_e32 v[14:15], v[14:15], v[10:11]
	s_delay_alu instid0(VALU_DEP_1)
	v_dual_cndmask_b32 v15, v9, v15 :: v_dual_cndmask_b32 v14, v8, v14
	v_cmp_gt_i32_e32 vcc_lo, s26, v43
	flat_load_b128 v[14:17], v[14:15]
	s_wait_loadcnt_dscnt 0x0
	ds_store_b128 v42, v[14:17]
	v_lshlrev_b64_e32 v[16:17], 2, v[48:49]
	s_clause 0x1
	scratch_store_b32 off, v11, off
	scratch_store_b96 off, v[4:6], off offset:4
	s_wait_xcnt 0x2
	v_add_nc_u64_e32 v[14:15], s[2:3], v[16:17]
	s_delay_alu instid0(VALU_DEP_1) | instskip(NEXT) | instid1(VALU_DEP_1)
	v_add_nc_u64_e32 v[14:15], v[14:15], v[10:11]
	v_dual_cndmask_b32 v15, v9, v15 :: v_dual_cndmask_b32 v14, v8, v14
	v_cmp_gt_i32_e32 vcc_lo, s26, v40
	flat_load_b128 v[52:55], v[14:15]
	s_wait_xcnt 0x0
	v_lshlrev_b64_e32 v[14:15], 2, v[56:57]
	s_delay_alu instid0(VALU_DEP_1) | instskip(SKIP_1) | instid1(SALU_CYCLE_1)
	v_add_nc_u64_e32 v[48:49], s[2:3], v[14:15]
	s_or_b32 s2, s24, 64
	s_ashr_i32 s3, s2, 31
	s_delay_alu instid0(SALU_CYCLE_1) | instskip(NEXT) | instid1(VALU_DEP_1)
	s_mul_u64 s[2:3], s[2:3], s[14:15]
	v_add_nc_u64_e32 v[48:49], v[48:49], v[10:11]
	s_lshl_b64 s[2:3], s[2:3], 2
	s_delay_alu instid0(SALU_CYCLE_1) | instskip(NEXT) | instid1(SALU_CYCLE_1)
	s_add_nc_u64 s[2:3], s[6:7], s[2:3]
	v_add_nc_u64_e32 v[12:13], s[2:3], v[12:13]
	s_delay_alu instid0(VALU_DEP_2) | instskip(SKIP_1) | instid1(VALU_DEP_3)
	v_dual_cndmask_b32 v49, v9, v49 :: v_dual_cndmask_b32 v48, v8, v48
	v_cmp_gt_i32_e32 vcc_lo, s4, v44
	v_add_nc_u64_e32 v[12:13], v[12:13], v[10:11]
	s_delay_alu instid0(VALU_DEP_1)
	v_dual_cndmask_b32 v12, v8, v12 :: v_dual_cndmask_b32 v13, v9, v13
	v_cmp_gt_i32_e32 vcc_lo, s4, v45
	s_wait_loadcnt_dscnt 0x0
	ds_store_b128 v7, v[52:55]
	s_clause 0x1
	scratch_store_b32 off, v11, off
	scratch_store_b96 off, v[4:6], off offset:4
	flat_load_b128 v[52:55], v[48:49]
	s_wait_loadcnt_dscnt 0x0
	ds_store_b128 v29, v[52:55]
	s_wait_storecnt_dscnt 0x0
	s_barrier_signal -1
	s_barrier_wait -1
	ds_load_2addr_b64 v[52:55], v79 offset1:32
	ds_load_b128 v[56:59], v78 offset:18432
	ds_load_b128 v[60:63], v78 offset:18448
	;; [unrolled: 1-line block ×4, first 2 shown]
	s_wait_dscnt 0x3
	v_and_b32_e32 v46, 0xffff, v56
	v_lshrrev_b32_e32 v23, 16, v56
	s_wait_xcnt 0x0
	v_and_b32_e32 v48, 0xffff, v57
	v_lshrrev_b32_e32 v38, 16, v57
	v_mul_u32_u24_e32 v46, 0x10001, v46
	v_mul_u32_u24_e32 v23, 0x10001, v23
	s_delay_alu instid0(VALU_DEP_4) | instskip(NEXT) | instid1(VALU_DEP_4)
	v_mul_u32_u24_e32 v48, 0x10001, v48
	v_mul_u32_u24_e32 v38, 0x10001, v38
	s_delay_alu instid0(VALU_DEP_4)
	v_pk_mul_f16 v49, v52, v46
	v_pk_fma_f16 v20, v53, v46, v20
	v_pk_fma_f16 v21, v53, v23, v21
	;; [unrolled: 1-line block ×3, first 2 shown]
	v_lshrrev_b32_e32 v46, 16, v59
	v_pk_fma_f16 v28, v86, v28, v49
	v_pk_mul_f16 v49, v52, v23
	v_pk_fma_f16 v23, v53, v38, v68
	s_wait_dscnt 0x2
	v_lshrrev_b32_e32 v53, 16, v61
	s_delay_alu instid0(VALU_DEP_3) | instskip(SKIP_2) | instid1(VALU_DEP_4)
	v_pk_fma_f16 v37, v85, v37, v49
	v_pk_mul_f16 v49, v52, v48
	v_and_b32_e32 v48, 0xffff, v58
	v_mul_u32_u24_e32 v53, 0x10001, v53
	s_delay_alu instid0(VALU_DEP_3)
	v_pk_fma_f16 v49, v84, v50, v49
	v_pk_fma_f16 v50, v52, v38, v51
	v_lshrrev_b32_e32 v38, 16, v58
	v_and_b32_e32 v51, 0xffff, v59
	v_mul_u32_u24_e32 v48, 0x10001, v48
	v_lshrrev_b32_e32 v52, 16, v60
	v_mul_u32_u24_e32 v46, 0x10001, v46
	v_mul_u32_u24_e32 v38, 0x10001, v38
	;; [unrolled: 1-line block ×3, first 2 shown]
	v_pk_fma_f16 v28, v54, v48, v28
	v_pk_fma_f16 v48, v55, v48, v20
	;; [unrolled: 1-line block ×8, first 2 shown]
	ds_load_2addr_b64 v[20:23], v79 offset0:64 offset1:96
	v_and_b32_e32 v54, 0xffff, v60
	v_mul_u32_u24_e32 v52, 0x10001, v52
	v_and_b32_e32 v55, 0xffff, v61
	s_delay_alu instid0(VALU_DEP_3) | instskip(NEXT) | instid1(VALU_DEP_2)
	v_mul_u32_u24_e32 v54, 0x10001, v54
	v_mul_u32_u24_e32 v55, 0x10001, v55
	s_wait_dscnt 0x0
	v_pk_fma_f16 v37, v20, v52, v37
	v_pk_fma_f16 v38, v21, v52, v38
	v_and_b32_e32 v52, 0xffff, v62
	v_pk_fma_f16 v28, v20, v54, v28
	v_pk_fma_f16 v49, v20, v55, v49
	;; [unrolled: 1-line block ×6, first 2 shown]
	v_dual_lshrrev_b32 v46, 16, v62 :: v_dual_lshrrev_b32 v51, 16, v63
	v_mul_u32_u24_e32 v52, 0x10001, v52
	v_and_b32_e32 v53, 0xffff, v63
	v_and_b32_e32 v55, 0xffff, v65
	s_delay_alu instid0(VALU_DEP_4) | instskip(NEXT) | instid1(VALU_DEP_4)
	v_mul_u32_u24_e32 v46, 0x10001, v46
	v_pk_fma_f16 v28, v22, v52, v28
	s_delay_alu instid0(VALU_DEP_4)
	v_mul_u32_u24_e32 v53, 0x10001, v53
	v_pk_fma_f16 v48, v23, v52, v48
	v_lshrrev_b32_e32 v52, 16, v65
	v_mul_u32_u24_e32 v51, 0x10001, v51
	v_pk_fma_f16 v37, v22, v46, v37
	v_pk_fma_f16 v49, v22, v53, v49
	;; [unrolled: 1-line block ×6, first 2 shown]
	ds_load_2addr_b64 v[20:23], v79 offset0:128 offset1:160
	v_lshrrev_b32_e32 v51, 16, v64
	v_and_b32_e32 v53, 0xffff, v64
	v_mul_u32_u24_e32 v55, 0x10001, v55
	v_mul_u32_u24_e32 v52, 0x10001, v52
	s_delay_alu instid0(VALU_DEP_4) | instskip(NEXT) | instid1(VALU_DEP_4)
	v_mul_u32_u24_e32 v51, 0x10001, v51
	v_mul_u32_u24_e32 v53, 0x10001, v53
	s_wait_dscnt 0x0
	s_delay_alu instid0(VALU_DEP_1) | instskip(NEXT) | instid1(VALU_DEP_3)
	v_pk_fma_f16 v28, v20, v53, v28
	v_pk_fma_f16 v37, v20, v51, v37
	;; [unrolled: 1-line block ×8, first 2 shown]
	v_and_b32_e32 v52, 0xffff, v66
	v_dual_lshrrev_b32 v50, 16, v66 :: v_dual_lshrrev_b32 v51, 16, v67
	v_and_b32_e32 v53, 0xffff, v67
	v_and_b32_e32 v55, 0xffff, v81
	s_delay_alu instid0(VALU_DEP_4) | instskip(NEXT) | instid1(VALU_DEP_4)
	v_mul_u32_u24_e32 v52, 0x10001, v52
	v_mul_u32_u24_e32 v50, 0x10001, v50
	s_delay_alu instid0(VALU_DEP_4) | instskip(NEXT) | instid1(VALU_DEP_4)
	v_mul_u32_u24_e32 v53, 0x10001, v53
	v_mul_u32_u24_e32 v55, 0x10001, v55
	s_delay_alu instid0(VALU_DEP_4)
	v_pk_fma_f16 v28, v22, v52, v28
	v_pk_fma_f16 v48, v23, v52, v48
	v_lshrrev_b32_e32 v52, 16, v81
	v_mul_u32_u24_e32 v51, 0x10001, v51
	v_pk_fma_f16 v37, v22, v50, v37
	v_pk_fma_f16 v49, v22, v53, v49
	;; [unrolled: 1-line block ×6, first 2 shown]
	ds_load_2addr_b64 v[20:23], v79 offset0:192 offset1:224
	v_lshrrev_b32_e32 v51, 16, v80
	v_and_b32_e32 v53, 0xffff, v80
	v_mul_u32_u24_e32 v52, 0x10001, v52
	s_delay_alu instid0(VALU_DEP_3) | instskip(NEXT) | instid1(VALU_DEP_3)
	v_mul_u32_u24_e32 v51, 0x10001, v51
	v_mul_u32_u24_e32 v53, 0x10001, v53
	s_wait_dscnt 0x0
	s_delay_alu instid0(VALU_DEP_1) | instskip(NEXT) | instid1(VALU_DEP_3)
	v_pk_fma_f16 v48, v21, v53, v48
	v_pk_fma_f16 v38, v21, v51, v38
	;; [unrolled: 1-line block ×4, first 2 shown]
	v_lshrrev_b32_e32 v50, 16, v82
	v_pk_fma_f16 v28, v20, v53, v28
	v_pk_fma_f16 v37, v20, v51, v37
	;; [unrolled: 1-line block ×4, first 2 shown]
	v_lshrrev_b32_e32 v51, 16, v83
	v_and_b32_e32 v52, 0xffff, v82
	v_mul_u32_u24_e32 v50, 0x10001, v50
	v_and_b32_e32 v53, 0xffff, v83
	s_delay_alu instid0(VALU_DEP_4) | instskip(NEXT) | instid1(VALU_DEP_4)
	v_mul_u32_u24_e32 v51, 0x10001, v51
	v_mul_u32_u24_e32 v52, 0x10001, v52
	s_delay_alu instid0(VALU_DEP_4) | instskip(NEXT) | instid1(VALU_DEP_4)
	v_pk_fma_f16 v54, v22, v50, v37
	v_mul_u32_u24_e32 v53, 0x10001, v53
	v_add_nc_u32_e32 v37, 0x800, v79
	v_pk_fma_f16 v56, v22, v51, v20
	v_pk_fma_f16 v28, v22, v52, v28
	;; [unrolled: 1-line block ×7, first 2 shown]
	ds_load_2addr_b64 v[20:23], v37 offset1:32
	ds_load_b128 v[48:51], v78 offset:18496
	s_wait_dscnt 0x0
	v_dual_lshrrev_b32 v57, 16, v48 :: v_dual_lshrrev_b32 v58, 16, v49
	v_and_b32_e32 v48, 0xffff, v48
	v_and_b32_e32 v49, 0xffff, v49
	s_delay_alu instid0(VALU_DEP_3) | instskip(NEXT) | instid1(VALU_DEP_3)
	v_mul_u32_u24_e32 v57, 0x10001, v57
	v_mul_u32_u24_e32 v48, 0x10001, v48
	s_delay_alu instid0(VALU_DEP_3) | instskip(NEXT) | instid1(VALU_DEP_3)
	v_mul_u32_u24_e32 v49, 0x10001, v49
	v_pk_fma_f16 v54, v20, v57, v54
	v_pk_fma_f16 v38, v21, v57, v38
	s_delay_alu instid0(VALU_DEP_4) | instskip(NEXT) | instid1(VALU_DEP_4)
	v_pk_fma_f16 v28, v20, v48, v28
	v_pk_fma_f16 v55, v20, v49, v55
	;; [unrolled: 1-line block ×4, first 2 shown]
	v_lshrrev_b32_e32 v49, 16, v50
	v_mul_u32_u24_e32 v58, 0x10001, v58
	v_lshrrev_b32_e32 v52, 16, v51
	v_and_b32_e32 v50, 0xffff, v50
	v_and_b32_e32 v51, 0xffff, v51
	v_mul_u32_u24_e32 v49, 0x10001, v49
	v_pk_fma_f16 v20, v20, v58, v56
	v_pk_fma_f16 v21, v21, v58, v53
	v_mul_u32_u24_e32 v50, 0x10001, v50
	v_mul_u32_u24_e32 v51, 0x10001, v51
	;; [unrolled: 1-line block ×3, first 2 shown]
	v_pk_fma_f16 v53, v22, v49, v54
	v_pk_fma_f16 v38, v23, v49, v38
	;; [unrolled: 1-line block ×8, first 2 shown]
	ds_load_2addr_b64 v[20:23], v37 offset0:64 offset1:96
	ds_load_b128 v[48:51], v78 offset:18512
	s_wait_dscnt 0x0
	v_lshrrev_b32_e32 v58, 16, v49
	v_and_b32_e32 v49, 0xffff, v49
	v_lshrrev_b32_e32 v57, 16, v48
	v_and_b32_e32 v48, 0xffff, v48
	s_delay_alu instid0(VALU_DEP_3) | instskip(NEXT) | instid1(VALU_DEP_3)
	v_mul_u32_u24_e32 v49, 0x10001, v49
	v_mul_u32_u24_e32 v57, 0x10001, v57
	s_delay_alu instid0(VALU_DEP_3) | instskip(NEXT) | instid1(VALU_DEP_3)
	v_mul_u32_u24_e32 v48, 0x10001, v48
	v_pk_fma_f16 v54, v20, v49, v54
	v_pk_fma_f16 v46, v21, v49, v46
	v_lshrrev_b32_e32 v49, 16, v50
	v_mul_u32_u24_e32 v58, 0x10001, v58
	v_pk_fma_f16 v28, v20, v48, v28
	v_pk_fma_f16 v48, v21, v48, v56
	;; [unrolled: 1-line block ×3, first 2 shown]
	v_and_b32_e32 v50, 0xffff, v50
	v_pk_fma_f16 v21, v21, v58, v52
	v_lshrrev_b32_e32 v52, 16, v51
	v_and_b32_e32 v51, 0xffff, v51
	v_pk_fma_f16 v53, v20, v57, v53
	v_pk_fma_f16 v20, v20, v58, v55
	v_mul_u32_u24_e32 v50, 0x10001, v50
	v_mul_u32_u24_e32 v49, 0x10001, v49
	;; [unrolled: 1-line block ×4, first 2 shown]
	s_delay_alu instid0(VALU_DEP_4) | instskip(NEXT) | instid1(VALU_DEP_4)
	v_pk_fma_f16 v28, v22, v50, v28
	v_pk_fma_f16 v53, v22, v49, v53
	s_delay_alu instid0(VALU_DEP_4) | instskip(NEXT) | instid1(VALU_DEP_4)
	v_pk_fma_f16 v54, v22, v51, v54
	v_pk_fma_f16 v55, v22, v52, v20
	;; [unrolled: 1-line block ×6, first 2 shown]
	ds_load_2addr_b64 v[20:23], v37 offset0:128 offset1:160
	ds_load_b128 v[48:51], v78 offset:18528
	s_wait_dscnt 0x0
	v_lshrrev_b32_e32 v58, 16, v49
	v_and_b32_e32 v49, 0xffff, v49
	v_lshrrev_b32_e32 v57, 16, v48
	v_and_b32_e32 v48, 0xffff, v48
	s_delay_alu instid0(VALU_DEP_3) | instskip(NEXT) | instid1(VALU_DEP_3)
	v_mul_u32_u24_e32 v49, 0x10001, v49
	v_mul_u32_u24_e32 v57, 0x10001, v57
	s_delay_alu instid0(VALU_DEP_3) | instskip(NEXT) | instid1(VALU_DEP_3)
	v_mul_u32_u24_e32 v48, 0x10001, v48
	v_pk_fma_f16 v54, v20, v49, v54
	v_pk_fma_f16 v46, v21, v49, v46
	v_lshrrev_b32_e32 v49, 16, v50
	v_mul_u32_u24_e32 v58, 0x10001, v58
	v_pk_fma_f16 v28, v20, v48, v28
	v_pk_fma_f16 v48, v21, v48, v56
	;; [unrolled: 1-line block ×3, first 2 shown]
	v_and_b32_e32 v50, 0xffff, v50
	v_pk_fma_f16 v21, v21, v58, v52
	v_lshrrev_b32_e32 v52, 16, v51
	v_and_b32_e32 v51, 0xffff, v51
	v_pk_fma_f16 v53, v20, v57, v53
	v_pk_fma_f16 v20, v20, v58, v55
	v_mul_u32_u24_e32 v50, 0x10001, v50
	v_mul_u32_u24_e32 v49, 0x10001, v49
	v_mul_u32_u24_e32 v51, 0x10001, v51
	v_mul_u32_u24_e32 v52, 0x10001, v52
	s_delay_alu instid0(VALU_DEP_4) | instskip(NEXT) | instid1(VALU_DEP_4)
	v_pk_fma_f16 v28, v22, v50, v28
	v_pk_fma_f16 v53, v22, v49, v53
	s_delay_alu instid0(VALU_DEP_4) | instskip(NEXT) | instid1(VALU_DEP_4)
	v_pk_fma_f16 v54, v22, v51, v54
	v_pk_fma_f16 v55, v22, v52, v20
	;; [unrolled: 1-line block ×6, first 2 shown]
	ds_load_2addr_b64 v[20:23], v37 offset0:192 offset1:224
	ds_load_b128 v[48:51], v78 offset:18544
	s_wait_dscnt 0x0
	v_lshrrev_b32_e32 v58, 16, v49
	v_and_b32_e32 v49, 0xffff, v49
	v_lshrrev_b32_e32 v57, 16, v48
	v_and_b32_e32 v48, 0xffff, v48
	s_delay_alu instid0(VALU_DEP_3) | instskip(NEXT) | instid1(VALU_DEP_3)
	v_mul_u32_u24_e32 v49, 0x10001, v49
	v_mul_u32_u24_e32 v57, 0x10001, v57
	s_delay_alu instid0(VALU_DEP_3) | instskip(NEXT) | instid1(VALU_DEP_3)
	v_mul_u32_u24_e32 v48, 0x10001, v48
	v_pk_fma_f16 v54, v20, v49, v54
	v_pk_fma_f16 v46, v21, v49, v46
	v_lshrrev_b32_e32 v49, 16, v50
	v_mul_u32_u24_e32 v58, 0x10001, v58
	v_pk_fma_f16 v28, v20, v48, v28
	v_pk_fma_f16 v48, v21, v48, v56
	;; [unrolled: 1-line block ×3, first 2 shown]
	v_and_b32_e32 v50, 0xffff, v50
	v_pk_fma_f16 v21, v21, v58, v52
	v_lshrrev_b32_e32 v52, 16, v51
	v_mul_u32_u24_e32 v49, 0x10001, v49
	v_and_b32_e32 v51, 0xffff, v51
	v_pk_fma_f16 v53, v20, v57, v53
	v_pk_fma_f16 v20, v20, v58, v55
	v_mul_u32_u24_e32 v50, 0x10001, v50
	v_mul_u32_u24_e32 v52, 0x10001, v52
	;; [unrolled: 1-line block ×3, first 2 shown]
	v_pk_fma_f16 v57, v23, v49, v38
	v_add_nc_u32_e32 v38, 0x1000, v79
	v_pk_fma_f16 v28, v22, v50, v28
	v_pk_fma_f16 v53, v22, v49, v53
	;; [unrolled: 1-line block ×7, first 2 shown]
	ds_load_2addr_b64 v[20:23], v38 offset1:32
	ds_load_b128 v[48:51], v78 offset:18560
	s_wait_dscnt 0x0
	v_lshrrev_b32_e32 v59, 16, v49
	v_and_b32_e32 v49, 0xffff, v49
	v_lshrrev_b32_e32 v58, 16, v48
	v_and_b32_e32 v48, 0xffff, v48
	s_delay_alu instid0(VALU_DEP_3) | instskip(NEXT) | instid1(VALU_DEP_3)
	v_mul_u32_u24_e32 v49, 0x10001, v49
	v_mul_u32_u24_e32 v58, 0x10001, v58
	s_delay_alu instid0(VALU_DEP_3) | instskip(NEXT) | instid1(VALU_DEP_3)
	v_mul_u32_u24_e32 v48, 0x10001, v48
	v_pk_fma_f16 v54, v20, v49, v54
	v_pk_fma_f16 v46, v21, v49, v46
	v_lshrrev_b32_e32 v49, 16, v50
	v_mul_u32_u24_e32 v59, 0x10001, v59
	v_pk_fma_f16 v28, v20, v48, v28
	v_pk_fma_f16 v53, v20, v58, v53
	;; [unrolled: 1-line block ×3, first 2 shown]
	v_and_b32_e32 v50, 0xffff, v50
	v_pk_fma_f16 v20, v20, v59, v55
	v_pk_fma_f16 v55, v21, v58, v57
	;; [unrolled: 1-line block ×3, first 2 shown]
	v_lshrrev_b32_e32 v52, 16, v51
	v_and_b32_e32 v51, 0xffff, v51
	v_mul_u32_u24_e32 v50, 0x10001, v50
	v_mul_u32_u24_e32 v49, 0x10001, v49
	s_delay_alu instid0(VALU_DEP_4) | instskip(NEXT) | instid1(VALU_DEP_4)
	v_mul_u32_u24_e32 v52, 0x10001, v52
	v_mul_u32_u24_e32 v51, 0x10001, v51
	s_delay_alu instid0(VALU_DEP_4) | instskip(NEXT) | instid1(VALU_DEP_4)
	v_pk_fma_f16 v28, v22, v50, v28
	v_pk_fma_f16 v53, v22, v49, v53
	;; [unrolled: 1-line block ×8, first 2 shown]
	ds_load_2addr_b64 v[20:23], v38 offset0:64 offset1:96
	ds_load_b128 v[48:51], v78 offset:18576
	s_wait_dscnt 0x0
	v_lshrrev_b32_e32 v59, 16, v49
	v_and_b32_e32 v49, 0xffff, v49
	v_lshrrev_b32_e32 v58, 16, v48
	v_and_b32_e32 v48, 0xffff, v48
	s_delay_alu instid0(VALU_DEP_3) | instskip(NEXT) | instid1(VALU_DEP_3)
	v_mul_u32_u24_e32 v49, 0x10001, v49
	v_mul_u32_u24_e32 v58, 0x10001, v58
	s_delay_alu instid0(VALU_DEP_3) | instskip(NEXT) | instid1(VALU_DEP_3)
	v_mul_u32_u24_e32 v48, 0x10001, v48
	v_pk_fma_f16 v54, v20, v49, v54
	v_pk_fma_f16 v46, v21, v49, v46
	v_lshrrev_b32_e32 v49, 16, v50
	v_mul_u32_u24_e32 v59, 0x10001, v59
	v_pk_fma_f16 v28, v20, v48, v28
	v_pk_fma_f16 v48, v21, v48, v57
	;; [unrolled: 1-line block ×3, first 2 shown]
	v_and_b32_e32 v50, 0xffff, v50
	v_pk_fma_f16 v21, v21, v59, v52
	v_lshrrev_b32_e32 v52, 16, v51
	v_and_b32_e32 v51, 0xffff, v51
	v_pk_fma_f16 v53, v20, v58, v53
	v_pk_fma_f16 v20, v20, v59, v56
	v_mul_u32_u24_e32 v50, 0x10001, v50
	v_mul_u32_u24_e32 v49, 0x10001, v49
	;; [unrolled: 1-line block ×4, first 2 shown]
	s_delay_alu instid0(VALU_DEP_4) | instskip(NEXT) | instid1(VALU_DEP_4)
	v_pk_fma_f16 v28, v22, v50, v28
	v_pk_fma_f16 v53, v22, v49, v53
	s_delay_alu instid0(VALU_DEP_4) | instskip(NEXT) | instid1(VALU_DEP_4)
	v_pk_fma_f16 v54, v22, v51, v54
	v_pk_fma_f16 v56, v22, v52, v20
	;; [unrolled: 1-line block ×6, first 2 shown]
	ds_load_2addr_b64 v[20:23], v38 offset0:128 offset1:160
	ds_load_b128 v[48:51], v78 offset:18592
	s_wait_dscnt 0x0
	v_lshrrev_b32_e32 v59, 16, v49
	v_and_b32_e32 v49, 0xffff, v49
	v_lshrrev_b32_e32 v58, 16, v48
	v_and_b32_e32 v48, 0xffff, v48
	s_delay_alu instid0(VALU_DEP_3) | instskip(NEXT) | instid1(VALU_DEP_3)
	v_mul_u32_u24_e32 v49, 0x10001, v49
	v_mul_u32_u24_e32 v58, 0x10001, v58
	s_delay_alu instid0(VALU_DEP_3) | instskip(NEXT) | instid1(VALU_DEP_3)
	v_mul_u32_u24_e32 v48, 0x10001, v48
	v_pk_fma_f16 v54, v20, v49, v54
	v_pk_fma_f16 v46, v21, v49, v46
	v_lshrrev_b32_e32 v49, 16, v50
	v_mul_u32_u24_e32 v59, 0x10001, v59
	v_pk_fma_f16 v28, v20, v48, v28
	v_pk_fma_f16 v48, v21, v48, v57
	;; [unrolled: 1-line block ×3, first 2 shown]
	v_and_b32_e32 v50, 0xffff, v50
	v_pk_fma_f16 v21, v21, v59, v52
	v_lshrrev_b32_e32 v52, 16, v51
	v_and_b32_e32 v51, 0xffff, v51
	v_pk_fma_f16 v53, v20, v58, v53
	v_pk_fma_f16 v20, v20, v59, v56
	v_mul_u32_u24_e32 v50, 0x10001, v50
	v_mul_u32_u24_e32 v49, 0x10001, v49
	;; [unrolled: 1-line block ×4, first 2 shown]
	s_delay_alu instid0(VALU_DEP_4) | instskip(NEXT) | instid1(VALU_DEP_4)
	v_pk_fma_f16 v28, v22, v50, v28
	v_pk_fma_f16 v53, v22, v49, v53
	s_delay_alu instid0(VALU_DEP_4) | instskip(NEXT) | instid1(VALU_DEP_4)
	v_pk_fma_f16 v54, v22, v51, v54
	v_pk_fma_f16 v56, v22, v52, v20
	v_pk_fma_f16 v57, v23, v50, v48
	v_pk_fma_f16 v55, v23, v49, v55
	v_pk_fma_f16 v46, v23, v51, v46
	v_pk_fma_f16 v52, v23, v52, v21
	ds_load_2addr_b64 v[20:23], v38 offset0:192 offset1:224
	ds_load_b128 v[48:51], v78 offset:18608
	s_wait_dscnt 0x0
	v_lshrrev_b32_e32 v59, 16, v49
	v_and_b32_e32 v49, 0xffff, v49
	v_lshrrev_b32_e32 v58, 16, v48
	v_and_b32_e32 v48, 0xffff, v48
	s_delay_alu instid0(VALU_DEP_3) | instskip(NEXT) | instid1(VALU_DEP_3)
	v_mul_u32_u24_e32 v49, 0x10001, v49
	v_mul_u32_u24_e32 v58, 0x10001, v58
	s_delay_alu instid0(VALU_DEP_3) | instskip(NEXT) | instid1(VALU_DEP_3)
	v_mul_u32_u24_e32 v48, 0x10001, v48
	v_pk_fma_f16 v54, v20, v49, v54
	v_pk_fma_f16 v46, v21, v49, v46
	v_lshrrev_b32_e32 v49, 16, v50
	v_mul_u32_u24_e32 v59, 0x10001, v59
	v_and_b32_e32 v50, 0xffff, v50
	v_pk_fma_f16 v28, v20, v48, v28
	v_pk_fma_f16 v48, v21, v48, v57
	;; [unrolled: 1-line block ×4, first 2 shown]
	v_lshrrev_b32_e32 v52, 16, v51
	v_mul_u32_u24_e32 v50, 0x10001, v50
	v_and_b32_e32 v51, 0xffff, v51
	v_pk_fma_f16 v53, v20, v58, v53
	v_pk_fma_f16 v20, v20, v59, v56
	v_mul_u32_u24_e32 v49, 0x10001, v49
	v_mul_u32_u24_e32 v52, 0x10001, v52
	;; [unrolled: 1-line block ×3, first 2 shown]
	v_pk_fma_f16 v56, v22, v50, v28
	v_add_nc_u32_e32 v28, 0x1800, v79
	v_pk_fma_f16 v53, v22, v49, v53
	v_pk_fma_f16 v57, v22, v52, v20
	;; [unrolled: 1-line block ×7, first 2 shown]
	ds_load_2addr_b64 v[20:23], v28 offset1:32
	ds_load_b128 v[48:51], v78 offset:18624
	s_wait_dscnt 0x0
	v_lshrrev_b32_e32 v60, 16, v49
	v_and_b32_e32 v49, 0xffff, v49
	v_lshrrev_b32_e32 v59, 16, v48
	v_and_b32_e32 v48, 0xffff, v48
	s_delay_alu instid0(VALU_DEP_3) | instskip(NEXT) | instid1(VALU_DEP_3)
	v_mul_u32_u24_e32 v49, 0x10001, v49
	v_mul_u32_u24_e32 v59, 0x10001, v59
	s_delay_alu instid0(VALU_DEP_3) | instskip(NEXT) | instid1(VALU_DEP_3)
	v_mul_u32_u24_e32 v48, 0x10001, v48
	v_pk_fma_f16 v54, v20, v49, v54
	v_pk_fma_f16 v46, v21, v49, v46
	v_lshrrev_b32_e32 v49, 16, v50
	v_mul_u32_u24_e32 v60, 0x10001, v60
	v_pk_fma_f16 v56, v20, v48, v56
	v_pk_fma_f16 v48, v21, v48, v58
	v_pk_fma_f16 v55, v21, v59, v55
	v_and_b32_e32 v50, 0xffff, v50
	v_pk_fma_f16 v21, v21, v60, v52
	v_lshrrev_b32_e32 v52, 16, v51
	v_and_b32_e32 v51, 0xffff, v51
	v_pk_fma_f16 v53, v20, v59, v53
	v_pk_fma_f16 v20, v20, v60, v57
	v_mul_u32_u24_e32 v50, 0x10001, v50
	v_mul_u32_u24_e32 v49, 0x10001, v49
	v_mul_u32_u24_e32 v51, 0x10001, v51
	v_mul_u32_u24_e32 v52, 0x10001, v52
	s_delay_alu instid0(VALU_DEP_4) | instskip(NEXT) | instid1(VALU_DEP_4)
	v_pk_fma_f16 v56, v22, v50, v56
	v_pk_fma_f16 v53, v22, v49, v53
	s_delay_alu instid0(VALU_DEP_4) | instskip(NEXT) | instid1(VALU_DEP_4)
	v_pk_fma_f16 v54, v22, v51, v54
	v_pk_fma_f16 v57, v22, v52, v20
	v_pk_fma_f16 v58, v23, v50, v48
	v_pk_fma_f16 v55, v23, v49, v55
	v_pk_fma_f16 v46, v23, v51, v46
	v_pk_fma_f16 v52, v23, v52, v21
	ds_load_2addr_b64 v[20:23], v28 offset0:64 offset1:96
	ds_load_b128 v[48:51], v78 offset:18640
	s_wait_dscnt 0x0
	v_lshrrev_b32_e32 v60, 16, v49
	v_and_b32_e32 v49, 0xffff, v49
	v_lshrrev_b32_e32 v59, 16, v48
	v_and_b32_e32 v48, 0xffff, v48
	s_delay_alu instid0(VALU_DEP_3) | instskip(NEXT) | instid1(VALU_DEP_3)
	v_mul_u32_u24_e32 v49, 0x10001, v49
	v_mul_u32_u24_e32 v59, 0x10001, v59
	s_delay_alu instid0(VALU_DEP_3) | instskip(NEXT) | instid1(VALU_DEP_3)
	v_mul_u32_u24_e32 v48, 0x10001, v48
	v_pk_fma_f16 v54, v20, v49, v54
	v_pk_fma_f16 v46, v21, v49, v46
	v_lshrrev_b32_e32 v49, 16, v50
	v_mul_u32_u24_e32 v60, 0x10001, v60
	v_pk_fma_f16 v56, v20, v48, v56
	v_pk_fma_f16 v48, v21, v48, v58
	v_pk_fma_f16 v55, v21, v59, v55
	v_and_b32_e32 v50, 0xffff, v50
	v_pk_fma_f16 v21, v21, v60, v52
	v_lshrrev_b32_e32 v52, 16, v51
	v_and_b32_e32 v51, 0xffff, v51
	v_pk_fma_f16 v53, v20, v59, v53
	v_pk_fma_f16 v20, v20, v60, v57
	v_mul_u32_u24_e32 v50, 0x10001, v50
	v_mul_u32_u24_e32 v49, 0x10001, v49
	v_mul_u32_u24_e32 v51, 0x10001, v51
	v_mul_u32_u24_e32 v52, 0x10001, v52
	s_delay_alu instid0(VALU_DEP_4) | instskip(NEXT) | instid1(VALU_DEP_4)
	v_pk_fma_f16 v56, v22, v50, v56
	v_pk_fma_f16 v53, v22, v49, v53
	s_delay_alu instid0(VALU_DEP_4) | instskip(NEXT) | instid1(VALU_DEP_4)
	v_pk_fma_f16 v54, v22, v51, v54
	v_pk_fma_f16 v57, v22, v52, v20
	v_pk_fma_f16 v58, v23, v50, v48
	v_pk_fma_f16 v55, v23, v49, v55
	v_pk_fma_f16 v46, v23, v51, v46
	v_pk_fma_f16 v52, v23, v52, v21
	ds_load_2addr_b64 v[20:23], v28 offset0:128 offset1:160
	;; [unrolled: 39-line block ×3, first 2 shown]
	ds_load_b128 v[48:51], v78 offset:18672
	s_wait_dscnt 0x0
	v_lshrrev_b32_e32 v60, 16, v49
	v_and_b32_e32 v49, 0xffff, v49
	v_lshrrev_b32_e32 v59, 16, v48
	v_and_b32_e32 v48, 0xffff, v48
	s_delay_alu instid0(VALU_DEP_3) | instskip(NEXT) | instid1(VALU_DEP_3)
	v_mul_u32_u24_e32 v49, 0x10001, v49
	v_mul_u32_u24_e32 v59, 0x10001, v59
	s_delay_alu instid0(VALU_DEP_3) | instskip(NEXT) | instid1(VALU_DEP_3)
	v_mul_u32_u24_e32 v48, 0x10001, v48
	v_pk_fma_f16 v54, v20, v49, v54
	v_pk_fma_f16 v46, v21, v49, v46
	v_lshrrev_b32_e32 v49, 16, v50
	v_mul_u32_u24_e32 v60, 0x10001, v60
	v_pk_fma_f16 v56, v20, v48, v56
	v_pk_fma_f16 v48, v21, v48, v58
	;; [unrolled: 1-line block ×3, first 2 shown]
	v_and_b32_e32 v50, 0xffff, v50
	v_pk_fma_f16 v21, v21, v60, v52
	v_lshrrev_b32_e32 v52, 16, v51
	v_and_b32_e32 v51, 0xffff, v51
	v_pk_fma_f16 v53, v20, v59, v53
	v_pk_fma_f16 v20, v20, v60, v57
	v_mul_u32_u24_e32 v50, 0x10001, v50
	v_mul_u32_u24_e32 v49, 0x10001, v49
	;; [unrolled: 1-line block ×4, first 2 shown]
	s_delay_alu instid0(VALU_DEP_4) | instskip(NEXT) | instid1(VALU_DEP_4)
	v_pk_fma_f16 v56, v22, v50, v56
	v_pk_fma_f16 v57, v22, v49, v53
	s_delay_alu instid0(VALU_DEP_4) | instskip(NEXT) | instid1(VALU_DEP_4)
	v_pk_fma_f16 v58, v22, v51, v54
	v_pk_fma_f16 v20, v22, v52, v20
	;; [unrolled: 1-line block ×6, first 2 shown]
	v_add_nc_u32_e32 v23, 0x2000, v79
	ds_load_2addr_b64 v[48:51], v23 offset1:32
	ds_load_b128 v[52:55], v78 offset:18688
	s_wait_dscnt 0x0
	v_dual_lshrrev_b32 v60, 16, v52 :: v_dual_lshrrev_b32 v61, 16, v53
	v_and_b32_e32 v52, 0xffff, v52
	v_and_b32_e32 v53, 0xffff, v53
	s_delay_alu instid0(VALU_DEP_3) | instskip(NEXT) | instid1(VALU_DEP_4)
	v_mul_u32_u24_e32 v60, 0x10001, v60
	v_mul_u32_u24_e32 v61, 0x10001, v61
	s_delay_alu instid0(VALU_DEP_4) | instskip(NEXT) | instid1(VALU_DEP_4)
	v_mul_u32_u24_e32 v52, 0x10001, v52
	v_mul_u32_u24_e32 v53, 0x10001, v53
	s_delay_alu instid0(VALU_DEP_4) | instskip(NEXT) | instid1(VALU_DEP_4)
	v_pk_fma_f16 v57, v48, v60, v57
	v_pk_fma_f16 v20, v48, v61, v20
	s_delay_alu instid0(VALU_DEP_4) | instskip(NEXT) | instid1(VALU_DEP_4)
	v_pk_fma_f16 v56, v48, v52, v56
	v_pk_fma_f16 v58, v48, v53, v58
	v_pk_fma_f16 v22, v49, v52, v22
	v_pk_fma_f16 v48, v49, v60, v59
	v_pk_fma_f16 v46, v49, v53, v46
	v_pk_fma_f16 v21, v49, v61, v21
	v_dual_lshrrev_b32 v49, 16, v54 :: v_dual_lshrrev_b32 v52, 16, v55
	v_and_b32_e32 v53, 0xffff, v54
	v_and_b32_e32 v54, 0xffff, v55
	s_delay_alu instid0(VALU_DEP_3) | instskip(NEXT) | instid1(VALU_DEP_4)
	v_mul_u32_u24_e32 v49, 0x10001, v49
	v_mul_u32_u24_e32 v52, 0x10001, v52
	s_delay_alu instid0(VALU_DEP_4) | instskip(NEXT) | instid1(VALU_DEP_4)
	v_mul_u32_u24_e32 v53, 0x10001, v53
	v_mul_u32_u24_e32 v54, 0x10001, v54
	s_delay_alu instid0(VALU_DEP_4) | instskip(NEXT) | instid1(VALU_DEP_4)
	v_pk_fma_f16 v57, v50, v49, v57
	v_pk_fma_f16 v20, v50, v52, v20
	s_delay_alu instid0(VALU_DEP_4) | instskip(NEXT) | instid1(VALU_DEP_4)
	v_pk_fma_f16 v56, v50, v53, v56
	v_pk_fma_f16 v58, v50, v54, v58
	v_pk_fma_f16 v22, v51, v53, v22
	v_pk_fma_f16 v59, v51, v49, v48
	v_pk_fma_f16 v46, v51, v54, v46
	v_pk_fma_f16 v21, v51, v52, v21
	ds_load_2addr_b64 v[48:51], v23 offset0:64 offset1:96
	ds_load_b128 v[52:55], v78 offset:18704
	s_wait_dscnt 0x0
	v_dual_lshrrev_b32 v60, 16, v52 :: v_dual_lshrrev_b32 v61, 16, v53
	v_and_b32_e32 v52, 0xffff, v52
	v_and_b32_e32 v53, 0xffff, v53
	s_delay_alu instid0(VALU_DEP_3) | instskip(NEXT) | instid1(VALU_DEP_4)
	v_mul_u32_u24_e32 v60, 0x10001, v60
	v_mul_u32_u24_e32 v61, 0x10001, v61
	s_delay_alu instid0(VALU_DEP_4) | instskip(NEXT) | instid1(VALU_DEP_4)
	v_mul_u32_u24_e32 v52, 0x10001, v52
	v_mul_u32_u24_e32 v53, 0x10001, v53
	s_delay_alu instid0(VALU_DEP_4) | instskip(NEXT) | instid1(VALU_DEP_4)
	v_pk_fma_f16 v57, v48, v60, v57
	v_pk_fma_f16 v20, v48, v61, v20
	s_delay_alu instid0(VALU_DEP_4) | instskip(NEXT) | instid1(VALU_DEP_4)
	v_pk_fma_f16 v56, v48, v52, v56
	v_pk_fma_f16 v58, v48, v53, v58
	v_pk_fma_f16 v22, v49, v52, v22
	v_pk_fma_f16 v48, v49, v60, v59
	v_pk_fma_f16 v46, v49, v53, v46
	v_pk_fma_f16 v21, v49, v61, v21
	v_dual_lshrrev_b32 v49, 16, v54 :: v_dual_lshrrev_b32 v52, 16, v55
	v_and_b32_e32 v53, 0xffff, v54
	v_and_b32_e32 v54, 0xffff, v55
	s_delay_alu instid0(VALU_DEP_3) | instskip(NEXT) | instid1(VALU_DEP_4)
	v_mul_u32_u24_e32 v49, 0x10001, v49
	v_mul_u32_u24_e32 v52, 0x10001, v52
	s_delay_alu instid0(VALU_DEP_4) | instskip(NEXT) | instid1(VALU_DEP_4)
	v_mul_u32_u24_e32 v53, 0x10001, v53
	v_mul_u32_u24_e32 v54, 0x10001, v54
	s_delay_alu instid0(VALU_DEP_4) | instskip(NEXT) | instid1(VALU_DEP_4)
	v_pk_fma_f16 v57, v50, v49, v57
	v_pk_fma_f16 v20, v50, v52, v20
	s_delay_alu instid0(VALU_DEP_4) | instskip(NEXT) | instid1(VALU_DEP_4)
	v_pk_fma_f16 v56, v50, v53, v56
	v_pk_fma_f16 v58, v50, v54, v58
	v_pk_fma_f16 v22, v51, v53, v22
	v_pk_fma_f16 v59, v51, v49, v48
	v_pk_fma_f16 v46, v51, v54, v46
	v_pk_fma_f16 v21, v51, v52, v21
	ds_load_2addr_b64 v[48:51], v23 offset0:128 offset1:160
	;; [unrolled: 41-line block ×3, first 2 shown]
	ds_load_b128 v[52:55], v78 offset:18736
	s_wait_dscnt 0x0
	v_lshrrev_b32_e32 v61, 16, v53
	v_and_b32_e32 v53, 0xffff, v53
	v_lshrrev_b32_e32 v60, 16, v52
	v_and_b32_e32 v52, 0xffff, v52
	s_delay_alu instid0(VALU_DEP_4) | instskip(NEXT) | instid1(VALU_DEP_4)
	v_mul_u32_u24_e32 v61, 0x10001, v61
	v_mul_u32_u24_e32 v53, 0x10001, v53
	s_delay_alu instid0(VALU_DEP_4) | instskip(NEXT) | instid1(VALU_DEP_4)
	v_mul_u32_u24_e32 v60, 0x10001, v60
	v_mul_u32_u24_e32 v52, 0x10001, v52
	s_delay_alu instid0(VALU_DEP_4) | instskip(NEXT) | instid1(VALU_DEP_4)
	v_pk_fma_f16 v20, v48, v61, v20
	v_pk_fma_f16 v58, v48, v53, v58
	;; [unrolled: 1-line block ×3, first 2 shown]
	v_and_b32_e32 v53, 0xffff, v54
	v_pk_fma_f16 v56, v48, v52, v56
	v_pk_fma_f16 v57, v48, v60, v57
	;; [unrolled: 1-line block ×5, first 2 shown]
	v_dual_lshrrev_b32 v49, 16, v54 :: v_dual_lshrrev_b32 v52, 16, v55
	v_mul_u32_u24_e32 v53, 0x10001, v53
	v_and_b32_e32 v54, 0xffff, v55
	s_delay_alu instid0(VALU_DEP_3) | instskip(NEXT) | instid1(VALU_DEP_4)
	v_mul_u32_u24_e32 v49, 0x10001, v49
	v_mul_u32_u24_e32 v52, 0x10001, v52
	s_delay_alu instid0(VALU_DEP_4) | instskip(NEXT) | instid1(VALU_DEP_4)
	v_pk_fma_f16 v59, v51, v53, v22
	v_mul_u32_u24_e32 v54, 0x10001, v54
	v_add_nc_u32_e32 v22, 0x2800, v79
	v_pk_fma_f16 v56, v50, v53, v56
	v_pk_fma_f16 v57, v50, v49, v57
	;; [unrolled: 1-line block ×7, first 2 shown]
	ds_load_2addr_b64 v[48:51], v22 offset1:32
	ds_load_b128 v[52:55], v78 offset:18752
	s_wait_dscnt 0x0
	v_dual_lshrrev_b32 v61, 16, v52 :: v_dual_lshrrev_b32 v62, 16, v53
	v_and_b32_e32 v52, 0xffff, v52
	v_and_b32_e32 v53, 0xffff, v53
	s_delay_alu instid0(VALU_DEP_3) | instskip(NEXT) | instid1(VALU_DEP_4)
	v_mul_u32_u24_e32 v61, 0x10001, v61
	v_mul_u32_u24_e32 v62, 0x10001, v62
	s_delay_alu instid0(VALU_DEP_4) | instskip(NEXT) | instid1(VALU_DEP_4)
	v_mul_u32_u24_e32 v52, 0x10001, v52
	v_mul_u32_u24_e32 v53, 0x10001, v53
	s_delay_alu instid0(VALU_DEP_4) | instskip(NEXT) | instid1(VALU_DEP_4)
	v_pk_fma_f16 v57, v48, v61, v57
	v_pk_fma_f16 v20, v48, v62, v20
	s_delay_alu instid0(VALU_DEP_4) | instskip(NEXT) | instid1(VALU_DEP_4)
	v_pk_fma_f16 v56, v48, v52, v56
	v_pk_fma_f16 v58, v48, v53, v58
	v_pk_fma_f16 v48, v49, v52, v59
	v_pk_fma_f16 v52, v49, v61, v60
	v_pk_fma_f16 v46, v49, v53, v46
	v_pk_fma_f16 v21, v49, v62, v21
	v_dual_lshrrev_b32 v49, 16, v54 :: v_dual_lshrrev_b32 v53, 16, v55
	v_and_b32_e32 v54, 0xffff, v54
	v_and_b32_e32 v55, 0xffff, v55
	s_delay_alu instid0(VALU_DEP_3) | instskip(NEXT) | instid1(VALU_DEP_4)
	v_mul_u32_u24_e32 v49, 0x10001, v49
	v_mul_u32_u24_e32 v53, 0x10001, v53
	s_delay_alu instid0(VALU_DEP_4) | instskip(NEXT) | instid1(VALU_DEP_4)
	v_mul_u32_u24_e32 v54, 0x10001, v54
	v_mul_u32_u24_e32 v55, 0x10001, v55
	s_delay_alu instid0(VALU_DEP_4) | instskip(NEXT) | instid1(VALU_DEP_4)
	v_pk_fma_f16 v57, v50, v49, v57
	v_pk_fma_f16 v20, v50, v53, v20
	s_delay_alu instid0(VALU_DEP_4) | instskip(NEXT) | instid1(VALU_DEP_4)
	v_pk_fma_f16 v56, v50, v54, v56
	v_pk_fma_f16 v58, v50, v55, v58
	v_pk_fma_f16 v59, v51, v54, v48
	v_pk_fma_f16 v60, v51, v49, v52
	v_pk_fma_f16 v46, v51, v55, v46
	v_pk_fma_f16 v21, v51, v53, v21
	ds_load_2addr_b64 v[48:51], v22 offset0:64 offset1:96
	ds_load_b128 v[52:55], v78 offset:18768
	s_wait_dscnt 0x0
	v_dual_lshrrev_b32 v61, 16, v52 :: v_dual_lshrrev_b32 v62, 16, v53
	v_and_b32_e32 v52, 0xffff, v52
	v_and_b32_e32 v53, 0xffff, v53
	s_delay_alu instid0(VALU_DEP_3) | instskip(NEXT) | instid1(VALU_DEP_4)
	v_mul_u32_u24_e32 v61, 0x10001, v61
	v_mul_u32_u24_e32 v62, 0x10001, v62
	s_delay_alu instid0(VALU_DEP_4) | instskip(NEXT) | instid1(VALU_DEP_4)
	v_mul_u32_u24_e32 v52, 0x10001, v52
	v_mul_u32_u24_e32 v53, 0x10001, v53
	s_delay_alu instid0(VALU_DEP_4) | instskip(NEXT) | instid1(VALU_DEP_4)
	v_pk_fma_f16 v57, v48, v61, v57
	v_pk_fma_f16 v20, v48, v62, v20
	s_delay_alu instid0(VALU_DEP_4) | instskip(NEXT) | instid1(VALU_DEP_4)
	v_pk_fma_f16 v56, v48, v52, v56
	v_pk_fma_f16 v58, v48, v53, v58
	v_pk_fma_f16 v48, v49, v52, v59
	v_pk_fma_f16 v52, v49, v61, v60
	v_pk_fma_f16 v46, v49, v53, v46
	v_pk_fma_f16 v21, v49, v62, v21
	v_dual_lshrrev_b32 v49, 16, v54 :: v_dual_lshrrev_b32 v53, 16, v55
	v_and_b32_e32 v54, 0xffff, v54
	v_and_b32_e32 v55, 0xffff, v55
	s_delay_alu instid0(VALU_DEP_3) | instskip(NEXT) | instid1(VALU_DEP_4)
	v_mul_u32_u24_e32 v49, 0x10001, v49
	v_mul_u32_u24_e32 v53, 0x10001, v53
	s_delay_alu instid0(VALU_DEP_4) | instskip(NEXT) | instid1(VALU_DEP_4)
	v_mul_u32_u24_e32 v54, 0x10001, v54
	v_mul_u32_u24_e32 v55, 0x10001, v55
	s_delay_alu instid0(VALU_DEP_4) | instskip(NEXT) | instid1(VALU_DEP_4)
	v_pk_fma_f16 v57, v50, v49, v57
	v_pk_fma_f16 v20, v50, v53, v20
	s_delay_alu instid0(VALU_DEP_4) | instskip(NEXT) | instid1(VALU_DEP_4)
	v_pk_fma_f16 v56, v50, v54, v56
	v_pk_fma_f16 v58, v50, v55, v58
	v_pk_fma_f16 v59, v51, v54, v48
	v_pk_fma_f16 v60, v51, v49, v52
	v_pk_fma_f16 v46, v51, v55, v46
	v_pk_fma_f16 v21, v51, v53, v21
	ds_load_2addr_b64 v[48:51], v22 offset0:128 offset1:160
	;; [unrolled: 41-line block ×3, first 2 shown]
	ds_load_b128 v[52:55], v78 offset:18800
	s_wait_dscnt 0x0
	v_lshrrev_b32_e32 v62, 16, v53
	v_and_b32_e32 v53, 0xffff, v53
	v_lshrrev_b32_e32 v61, 16, v52
	v_and_b32_e32 v52, 0xffff, v52
	s_delay_alu instid0(VALU_DEP_4) | instskip(NEXT) | instid1(VALU_DEP_4)
	v_mul_u32_u24_e32 v62, 0x10001, v62
	v_mul_u32_u24_e32 v53, 0x10001, v53
	s_delay_alu instid0(VALU_DEP_4) | instskip(NEXT) | instid1(VALU_DEP_4)
	v_mul_u32_u24_e32 v61, 0x10001, v61
	v_mul_u32_u24_e32 v52, 0x10001, v52
	s_delay_alu instid0(VALU_DEP_4) | instskip(NEXT) | instid1(VALU_DEP_4)
	v_pk_fma_f16 v20, v48, v62, v20
	v_pk_fma_f16 v58, v48, v53, v58
	;; [unrolled: 1-line block ×3, first 2 shown]
	v_lshrrev_b32_e32 v53, 16, v55
	v_pk_fma_f16 v56, v48, v52, v56
	v_pk_fma_f16 v57, v48, v61, v57
	;; [unrolled: 1-line block ×5, first 2 shown]
	v_lshrrev_b32_e32 v49, 16, v54
	v_and_b32_e32 v54, 0xffff, v54
	v_and_b32_e32 v55, 0xffff, v55
	v_mul_u32_u24_e32 v53, 0x10001, v53
	s_delay_alu instid0(VALU_DEP_4) | instskip(NEXT) | instid1(VALU_DEP_4)
	v_mul_u32_u24_e32 v49, 0x10001, v49
	v_mul_u32_u24_e32 v54, 0x10001, v54
	s_delay_alu instid0(VALU_DEP_4) | instskip(NEXT) | instid1(VALU_DEP_4)
	v_mul_u32_u24_e32 v55, 0x10001, v55
	v_pk_fma_f16 v61, v51, v53, v21
	v_add_nc_u32_e32 v21, 0x3000, v79
	v_pk_fma_f16 v57, v50, v49, v57
	v_pk_fma_f16 v56, v50, v54, v56
	;; [unrolled: 1-line block ×7, first 2 shown]
	ds_load_2addr_b64 v[48:51], v21 offset1:32
	ds_load_b128 v[52:55], v78 offset:18816
	s_wait_dscnt 0x0
	v_lshrrev_b32_e32 v63, 16, v53
	v_and_b32_e32 v53, 0xffff, v53
	v_lshrrev_b32_e32 v62, 16, v52
	v_and_b32_e32 v52, 0xffff, v52
	s_delay_alu instid0(VALU_DEP_3) | instskip(NEXT) | instid1(VALU_DEP_3)
	v_mul_u32_u24_e32 v53, 0x10001, v53
	v_mul_u32_u24_e32 v62, 0x10001, v62
	s_delay_alu instid0(VALU_DEP_3) | instskip(NEXT) | instid1(VALU_DEP_3)
	v_mul_u32_u24_e32 v52, 0x10001, v52
	v_pk_fma_f16 v58, v48, v53, v58
	v_pk_fma_f16 v46, v49, v53, v46
	v_lshrrev_b32_e32 v53, 16, v54
	v_mul_u32_u24_e32 v63, 0x10001, v63
	v_pk_fma_f16 v56, v48, v52, v56
	v_pk_fma_f16 v57, v48, v62, v57
	v_and_b32_e32 v54, 0xffff, v54
	v_mul_u32_u24_e32 v53, 0x10001, v53
	v_pk_fma_f16 v20, v48, v63, v20
	v_pk_fma_f16 v48, v49, v52, v59
	v_lshrrev_b32_e32 v59, 16, v55
	v_and_b32_e32 v55, 0xffff, v55
	v_pk_fma_f16 v52, v49, v62, v60
	v_pk_fma_f16 v49, v49, v63, v61
	v_mul_u32_u24_e32 v54, 0x10001, v54
	v_mul_u32_u24_e32 v59, 0x10001, v59
	;; [unrolled: 1-line block ×3, first 2 shown]
	v_pk_fma_f16 v57, v50, v53, v57
	v_pk_fma_f16 v61, v51, v53, v52
	;; [unrolled: 1-line block ×8, first 2 shown]
	ds_load_2addr_b64 v[48:51], v21 offset0:64 offset1:96
	ds_load_b128 v[52:55], v78 offset:18832
	s_wait_dscnt 0x0
	v_lshrrev_b32_e32 v63, 16, v53
	v_and_b32_e32 v53, 0xffff, v53
	v_lshrrev_b32_e32 v62, 16, v52
	v_and_b32_e32 v52, 0xffff, v52
	s_delay_alu instid0(VALU_DEP_3) | instskip(NEXT) | instid1(VALU_DEP_3)
	v_mul_u32_u24_e32 v53, 0x10001, v53
	v_mul_u32_u24_e32 v62, 0x10001, v62
	s_delay_alu instid0(VALU_DEP_3) | instskip(NEXT) | instid1(VALU_DEP_3)
	v_mul_u32_u24_e32 v52, 0x10001, v52
	v_pk_fma_f16 v58, v48, v53, v58
	v_pk_fma_f16 v46, v49, v53, v46
	v_lshrrev_b32_e32 v53, 16, v54
	v_mul_u32_u24_e32 v63, 0x10001, v63
	v_pk_fma_f16 v56, v48, v52, v56
	v_pk_fma_f16 v57, v48, v62, v57
	v_and_b32_e32 v54, 0xffff, v54
	v_mul_u32_u24_e32 v53, 0x10001, v53
	v_pk_fma_f16 v20, v48, v63, v20
	v_pk_fma_f16 v48, v49, v52, v60
	;; [unrolled: 1-line block ×4, first 2 shown]
	v_lshrrev_b32_e32 v59, 16, v55
	v_and_b32_e32 v55, 0xffff, v55
	v_mul_u32_u24_e32 v54, 0x10001, v54
	v_pk_fma_f16 v57, v50, v53, v57
	v_pk_fma_f16 v61, v51, v53, v52
	v_mul_u32_u24_e32 v59, 0x10001, v59
	v_mul_u32_u24_e32 v55, 0x10001, v55
	v_pk_fma_f16 v56, v50, v54, v56
	v_pk_fma_f16 v60, v51, v54, v48
	s_delay_alu instid0(VALU_DEP_4) | instskip(NEXT) | instid1(VALU_DEP_4)
	v_pk_fma_f16 v20, v50, v59, v20
	v_pk_fma_f16 v58, v50, v55, v58
	;; [unrolled: 1-line block ×4, first 2 shown]
	ds_load_2addr_b64 v[48:51], v21 offset0:128 offset1:160
	ds_load_b128 v[52:55], v78 offset:18848
	s_wait_dscnt 0x0
	v_lshrrev_b32_e32 v63, 16, v53
	v_and_b32_e32 v53, 0xffff, v53
	v_lshrrev_b32_e32 v62, 16, v52
	v_and_b32_e32 v52, 0xffff, v52
	s_delay_alu instid0(VALU_DEP_3) | instskip(NEXT) | instid1(VALU_DEP_3)
	v_mul_u32_u24_e32 v53, 0x10001, v53
	v_mul_u32_u24_e32 v62, 0x10001, v62
	s_delay_alu instid0(VALU_DEP_3) | instskip(NEXT) | instid1(VALU_DEP_3)
	v_mul_u32_u24_e32 v52, 0x10001, v52
	v_pk_fma_f16 v58, v48, v53, v58
	v_pk_fma_f16 v46, v49, v53, v46
	v_lshrrev_b32_e32 v53, 16, v54
	v_mul_u32_u24_e32 v63, 0x10001, v63
	v_pk_fma_f16 v56, v48, v52, v56
	v_pk_fma_f16 v57, v48, v62, v57
	v_and_b32_e32 v54, 0xffff, v54
	v_mul_u32_u24_e32 v53, 0x10001, v53
	v_pk_fma_f16 v20, v48, v63, v20
	v_pk_fma_f16 v48, v49, v52, v60
	;; [unrolled: 1-line block ×4, first 2 shown]
	v_lshrrev_b32_e32 v59, 16, v55
	v_and_b32_e32 v55, 0xffff, v55
	v_mul_u32_u24_e32 v54, 0x10001, v54
	v_pk_fma_f16 v57, v50, v53, v57
	v_pk_fma_f16 v61, v51, v53, v52
	v_mul_u32_u24_e32 v59, 0x10001, v59
	v_mul_u32_u24_e32 v55, 0x10001, v55
	v_pk_fma_f16 v56, v50, v54, v56
	v_pk_fma_f16 v60, v51, v54, v48
	s_delay_alu instid0(VALU_DEP_4) | instskip(NEXT) | instid1(VALU_DEP_4)
	v_pk_fma_f16 v20, v50, v59, v20
	v_pk_fma_f16 v58, v50, v55, v58
	;; [unrolled: 1-line block ×4, first 2 shown]
	ds_load_2addr_b64 v[48:51], v21 offset0:192 offset1:224
	ds_load_b128 v[52:55], v78 offset:18864
	s_wait_dscnt 0x0
	v_lshrrev_b32_e32 v63, 16, v53
	v_and_b32_e32 v53, 0xffff, v53
	v_lshrrev_b32_e32 v62, 16, v52
	v_and_b32_e32 v52, 0xffff, v52
	s_delay_alu instid0(VALU_DEP_3) | instskip(NEXT) | instid1(VALU_DEP_3)
	v_mul_u32_u24_e32 v53, 0x10001, v53
	v_mul_u32_u24_e32 v62, 0x10001, v62
	s_delay_alu instid0(VALU_DEP_3) | instskip(NEXT) | instid1(VALU_DEP_3)
	v_mul_u32_u24_e32 v52, 0x10001, v52
	v_pk_fma_f16 v58, v48, v53, v58
	v_pk_fma_f16 v46, v49, v53, v46
	v_lshrrev_b32_e32 v53, 16, v54
	v_mul_u32_u24_e32 v63, 0x10001, v63
	v_pk_fma_f16 v56, v48, v52, v56
	v_pk_fma_f16 v57, v48, v62, v57
	v_and_b32_e32 v54, 0xffff, v54
	v_mul_u32_u24_e32 v53, 0x10001, v53
	v_pk_fma_f16 v20, v48, v63, v20
	v_pk_fma_f16 v48, v49, v52, v60
	;; [unrolled: 1-line block ×4, first 2 shown]
	v_lshrrev_b32_e32 v59, 16, v55
	v_and_b32_e32 v55, 0xffff, v55
	v_mul_u32_u24_e32 v54, 0x10001, v54
	v_pk_fma_f16 v57, v50, v53, v57
	v_pk_fma_f16 v62, v51, v53, v52
	v_mul_u32_u24_e32 v59, 0x10001, v59
	v_mul_u32_u24_e32 v55, 0x10001, v55
	v_pk_fma_f16 v56, v50, v54, v56
	v_pk_fma_f16 v61, v51, v54, v48
	s_delay_alu instid0(VALU_DEP_4)
	v_pk_fma_f16 v60, v50, v59, v20
	v_add_nc_u32_e32 v20, 0x3800, v79
	v_pk_fma_f16 v58, v50, v55, v58
	v_pk_fma_f16 v46, v51, v55, v46
	v_pk_fma_f16 v59, v51, v59, v49
	ds_load_2addr_b64 v[48:51], v20 offset1:32
	ds_load_b128 v[52:55], v78 offset:18880
	s_wait_dscnt 0x0
	v_lshrrev_b32_e32 v64, 16, v53
	v_and_b32_e32 v53, 0xffff, v53
	v_lshrrev_b32_e32 v63, 16, v52
	v_and_b32_e32 v52, 0xffff, v52
	s_delay_alu instid0(VALU_DEP_3) | instskip(NEXT) | instid1(VALU_DEP_3)
	v_mul_u32_u24_e32 v53, 0x10001, v53
	v_mul_u32_u24_e32 v63, 0x10001, v63
	s_delay_alu instid0(VALU_DEP_3) | instskip(NEXT) | instid1(VALU_DEP_3)
	v_mul_u32_u24_e32 v52, 0x10001, v52
	v_pk_fma_f16 v58, v48, v53, v58
	v_pk_fma_f16 v46, v49, v53, v46
	v_lshrrev_b32_e32 v53, 16, v54
	v_mul_u32_u24_e32 v64, 0x10001, v64
	v_pk_fma_f16 v56, v48, v52, v56
	v_pk_fma_f16 v57, v48, v63, v57
	;; [unrolled: 1-line block ×3, first 2 shown]
	v_and_b32_e32 v54, 0xffff, v54
	v_pk_fma_f16 v48, v48, v64, v60
	v_pk_fma_f16 v60, v49, v63, v62
	;; [unrolled: 1-line block ×3, first 2 shown]
	v_lshrrev_b32_e32 v59, 16, v55
	v_and_b32_e32 v55, 0xffff, v55
	v_mul_u32_u24_e32 v54, 0x10001, v54
	v_mul_u32_u24_e32 v53, 0x10001, v53
	s_delay_alu instid0(VALU_DEP_4) | instskip(NEXT) | instid1(VALU_DEP_4)
	v_mul_u32_u24_e32 v59, 0x10001, v59
	v_mul_u32_u24_e32 v55, 0x10001, v55
	s_delay_alu instid0(VALU_DEP_4) | instskip(NEXT) | instid1(VALU_DEP_4)
	v_pk_fma_f16 v56, v50, v54, v56
	v_pk_fma_f16 v57, v50, v53, v57
	;; [unrolled: 1-line block ×8, first 2 shown]
	ds_load_2addr_b64 v[48:51], v20 offset0:64 offset1:96
	ds_load_b128 v[52:55], v78 offset:18896
	s_wait_dscnt 0x0
	v_lshrrev_b32_e32 v64, 16, v53
	v_and_b32_e32 v53, 0xffff, v53
	v_lshrrev_b32_e32 v63, 16, v52
	v_and_b32_e32 v52, 0xffff, v52
	s_delay_alu instid0(VALU_DEP_3) | instskip(NEXT) | instid1(VALU_DEP_3)
	v_mul_u32_u24_e32 v53, 0x10001, v53
	v_mul_u32_u24_e32 v63, 0x10001, v63
	s_delay_alu instid0(VALU_DEP_3) | instskip(NEXT) | instid1(VALU_DEP_3)
	v_mul_u32_u24_e32 v52, 0x10001, v52
	v_pk_fma_f16 v58, v48, v53, v58
	v_pk_fma_f16 v46, v49, v53, v46
	v_lshrrev_b32_e32 v53, 16, v54
	v_mul_u32_u24_e32 v64, 0x10001, v64
	v_pk_fma_f16 v56, v48, v52, v56
	v_pk_fma_f16 v52, v49, v52, v62
	;; [unrolled: 1-line block ×3, first 2 shown]
	v_and_b32_e32 v54, 0xffff, v54
	v_pk_fma_f16 v49, v49, v64, v59
	v_lshrrev_b32_e32 v59, 16, v55
	v_and_b32_e32 v55, 0xffff, v55
	v_pk_fma_f16 v57, v48, v63, v57
	v_pk_fma_f16 v48, v48, v64, v61
	v_mul_u32_u24_e32 v54, 0x10001, v54
	v_mul_u32_u24_e32 v53, 0x10001, v53
	;; [unrolled: 1-line block ×4, first 2 shown]
	s_delay_alu instid0(VALU_DEP_4) | instskip(NEXT) | instid1(VALU_DEP_4)
	v_pk_fma_f16 v56, v50, v54, v56
	v_pk_fma_f16 v57, v50, v53, v57
	s_delay_alu instid0(VALU_DEP_4) | instskip(NEXT) | instid1(VALU_DEP_4)
	v_pk_fma_f16 v58, v50, v55, v58
	v_pk_fma_f16 v61, v50, v59, v48
	;; [unrolled: 1-line block ×6, first 2 shown]
	ds_load_2addr_b64 v[48:51], v20 offset0:128 offset1:160
	ds_load_b128 v[52:55], v78 offset:18912
	s_wait_dscnt 0x0
	v_lshrrev_b32_e32 v64, 16, v53
	v_and_b32_e32 v53, 0xffff, v53
	v_lshrrev_b32_e32 v63, 16, v52
	v_and_b32_e32 v52, 0xffff, v52
	s_delay_alu instid0(VALU_DEP_3) | instskip(NEXT) | instid1(VALU_DEP_3)
	v_mul_u32_u24_e32 v53, 0x10001, v53
	v_mul_u32_u24_e32 v63, 0x10001, v63
	s_delay_alu instid0(VALU_DEP_3) | instskip(NEXT) | instid1(VALU_DEP_3)
	v_mul_u32_u24_e32 v52, 0x10001, v52
	v_pk_fma_f16 v58, v48, v53, v58
	v_pk_fma_f16 v46, v49, v53, v46
	v_lshrrev_b32_e32 v53, 16, v54
	v_mul_u32_u24_e32 v64, 0x10001, v64
	v_pk_fma_f16 v56, v48, v52, v56
	v_pk_fma_f16 v52, v49, v52, v62
	v_pk_fma_f16 v60, v49, v63, v60
	v_and_b32_e32 v54, 0xffff, v54
	v_pk_fma_f16 v49, v49, v64, v59
	v_lshrrev_b32_e32 v59, 16, v55
	v_and_b32_e32 v55, 0xffff, v55
	v_pk_fma_f16 v57, v48, v63, v57
	v_pk_fma_f16 v48, v48, v64, v61
	v_mul_u32_u24_e32 v54, 0x10001, v54
	v_mul_u32_u24_e32 v53, 0x10001, v53
	;; [unrolled: 1-line block ×4, first 2 shown]
	s_delay_alu instid0(VALU_DEP_4) | instskip(NEXT) | instid1(VALU_DEP_4)
	v_pk_fma_f16 v56, v50, v54, v56
	v_pk_fma_f16 v57, v50, v53, v57
	s_delay_alu instid0(VALU_DEP_4) | instskip(NEXT) | instid1(VALU_DEP_4)
	v_pk_fma_f16 v58, v50, v55, v58
	v_pk_fma_f16 v61, v50, v59, v48
	;; [unrolled: 1-line block ×6, first 2 shown]
	ds_load_2addr_b64 v[52:55], v20 offset0:192 offset1:224
	ds_load_b128 v[48:51], v78 offset:18928
	s_wait_dscnt 0x0
	s_barrier_signal -1
	s_barrier_wait -1
	s_clause 0x1
	scratch_store_b32 off, v11, off
	scratch_store_b96 off, v[4:6], off offset:4
	v_dual_lshrrev_b32 v63, 16, v48 :: v_dual_lshrrev_b32 v64, 16, v49
	v_and_b32_e32 v48, 0xffff, v48
	v_and_b32_e32 v49, 0xffff, v49
	s_delay_alu instid0(VALU_DEP_3) | instskip(NEXT) | instid1(VALU_DEP_4)
	v_mul_u32_u24_e32 v63, 0x10001, v63
	v_mul_u32_u24_e32 v64, 0x10001, v64
	s_delay_alu instid0(VALU_DEP_4) | instskip(NEXT) | instid1(VALU_DEP_4)
	v_mul_u32_u24_e32 v48, 0x10001, v48
	v_mul_u32_u24_e32 v49, 0x10001, v49
	s_delay_alu instid0(VALU_DEP_4) | instskip(SKIP_1) | instid1(VALU_DEP_4)
	v_pk_fma_f16 v57, v52, v63, v57
	v_pk_fma_f16 v60, v53, v63, v60
	;; [unrolled: 1-line block ×3, first 2 shown]
	s_delay_alu instid0(VALU_DEP_4)
	v_pk_fma_f16 v58, v52, v49, v58
	v_pk_fma_f16 v52, v52, v64, v61
	;; [unrolled: 1-line block ×4, first 2 shown]
	v_dual_lshrrev_b32 v46, 16, v50 :: v_dual_lshrrev_b32 v48, 16, v51
	v_and_b32_e32 v49, 0xffff, v50
	v_pk_fma_f16 v59, v53, v64, v59
	s_delay_alu instid0(VALU_DEP_3) | instskip(SKIP_1) | instid1(VALU_DEP_4)
	v_mul_u32_u24_e32 v63, 0x10001, v46
	v_and_b32_e32 v46, 0xffff, v51
	v_mul_u32_u24_e32 v53, 0x10001, v49
	v_mul_u32_u24_e32 v65, 0x10001, v48
	s_delay_alu instid0(VALU_DEP_4) | instskip(NEXT) | instid1(VALU_DEP_4)
	v_pk_fma_f16 v48, v54, v63, v57
	v_mul_u32_u24_e32 v64, 0x10001, v46
	s_delay_alu instid0(VALU_DEP_4) | instskip(NEXT) | instid1(VALU_DEP_4)
	v_pk_fma_f16 v46, v54, v53, v56
	v_pk_fma_f16 v50, v54, v65, v52
	v_pk_fma_f16 v51, v55, v53, v61
	v_pk_fma_f16 v52, v55, v63, v60
	v_pk_fma_f16 v49, v54, v64, v58
	v_pk_fma_f16 v54, v55, v65, v59
	flat_load_b128 v[56:59], v[12:13]
	s_wait_xcnt 0x0
	v_add_nc_u64_e32 v[12:13], s[2:3], v[18:19]
	v_pk_fma_f16 v53, v55, v64, v62
	s_delay_alu instid0(VALU_DEP_2) | instskip(NEXT) | instid1(VALU_DEP_1)
	v_add_nc_u64_e32 v[12:13], v[12:13], v[10:11]
	v_dual_cndmask_b32 v13, v9, v13 :: v_dual_cndmask_b32 v12, v8, v12
	v_cmp_gt_i32_e32 vcc_lo, s4, v43
	s_wait_loadcnt_dscnt 0x0
	ds_store_b128 v41, v[56:59]
	s_clause 0x1
	scratch_store_b32 off, v11, off
	scratch_store_b96 off, v[4:6], off offset:4
	flat_load_b128 v[56:59], v[12:13]
	s_wait_xcnt 0x0
	v_add_nc_u64_e32 v[12:13], s[2:3], v[16:17]
	s_delay_alu instid0(VALU_DEP_1) | instskip(NEXT) | instid1(VALU_DEP_1)
	v_add_nc_u64_e32 v[12:13], v[12:13], v[10:11]
	v_dual_cndmask_b32 v13, v9, v13 :: v_dual_cndmask_b32 v12, v8, v12
	v_cmp_gt_i32_e32 vcc_lo, s4, v40
	s_wait_loadcnt_dscnt 0x0
	ds_store_b128 v42, v[56:59]
	s_clause 0x1
	scratch_store_b32 off, v11, off
	scratch_store_b96 off, v[4:6], off offset:4
	flat_load_b128 v[16:19], v[12:13]
	s_wait_loadcnt_dscnt 0x0
	ds_store_b128 v7, v[16:19]
	s_clause 0x1
	scratch_store_b32 off, v11, off
	scratch_store_b96 off, v[4:6], off offset:4
	s_wait_xcnt 0x0
	v_add_nc_u64_e32 v[4:5], s[2:3], v[14:15]
	s_delay_alu instid0(VALU_DEP_1) | instskip(NEXT) | instid1(VALU_DEP_1)
	v_add_nc_u64_e32 v[4:5], v[4:5], v[10:11]
	v_dual_cndmask_b32 v5, v9, v5 :: v_dual_cndmask_b32 v4, v8, v4
	flat_load_b128 v[4:7], v[4:5]
	s_wait_loadcnt_dscnt 0x0
	ds_store_b128 v29, v[4:7]
	s_wait_storecnt_dscnt 0x0
	s_barrier_signal -1
	s_barrier_wait -1
	s_wait_xcnt 0x0
	ds_load_2addr_b64 v[4:7], v79 offset1:32
	ds_load_b128 v[8:11], v78 offset:18944
	ds_load_b128 v[12:15], v78 offset:18960
	;; [unrolled: 1-line block ×4, first 2 shown]
	s_wait_dscnt 0x3
	v_dual_lshrrev_b32 v29, 16, v8 :: v_dual_lshrrev_b32 v44, 16, v9
	v_and_b32_e32 v8, 0xffff, v8
	v_and_b32_e32 v9, 0xffff, v9
	s_delay_alu instid0(VALU_DEP_3) | instskip(NEXT) | instid1(VALU_DEP_4)
	v_mul_u32_u24_e32 v29, 0x10001, v29
	v_mul_u32_u24_e32 v44, 0x10001, v44
	s_delay_alu instid0(VALU_DEP_4) | instskip(NEXT) | instid1(VALU_DEP_4)
	v_mul_u32_u24_e32 v8, 0x10001, v8
	v_mul_u32_u24_e32 v9, 0x10001, v9
	s_delay_alu instid0(VALU_DEP_2) | instskip(SKIP_1) | instid1(VALU_DEP_3)
	v_pk_fma_f16 v45, v4, v8, v46
	v_pk_fma_f16 v46, v4, v29, v48
	;; [unrolled: 1-line block ×8, first 2 shown]
	v_dual_lshrrev_b32 v44, 16, v10 :: v_dual_lshrrev_b32 v49, 16, v11
	v_and_b32_e32 v10, 0xffff, v10
	v_and_b32_e32 v11, 0xffff, v11
	s_delay_alu instid0(VALU_DEP_3) | instskip(NEXT) | instid1(VALU_DEP_4)
	v_mul_u32_u24_e32 v44, 0x10001, v44
	v_mul_u32_u24_e32 v49, 0x10001, v49
	s_delay_alu instid0(VALU_DEP_4) | instskip(NEXT) | instid1(VALU_DEP_4)
	v_mul_u32_u24_e32 v10, 0x10001, v10
	v_mul_u32_u24_e32 v11, 0x10001, v11
	s_delay_alu instid0(VALU_DEP_4) | instskip(NEXT) | instid1(VALU_DEP_4)
	v_pk_fma_f16 v46, v6, v44, v46
	v_pk_fma_f16 v50, v6, v49, v4
	s_delay_alu instid0(VALU_DEP_4) | instskip(NEXT) | instid1(VALU_DEP_4)
	v_pk_fma_f16 v45, v6, v10, v45
	v_pk_fma_f16 v48, v6, v11, v48
	;; [unrolled: 1-line block ×6, first 2 shown]
	ds_load_2addr_b64 v[4:7], v79 offset0:64 offset1:96
	s_wait_dscnt 0x3
	v_dual_lshrrev_b32 v29, 16, v12 :: v_dual_lshrrev_b32 v44, 16, v13
	v_and_b32_e32 v12, 0xffff, v12
	v_and_b32_e32 v13, 0xffff, v13
	s_delay_alu instid0(VALU_DEP_3) | instskip(NEXT) | instid1(VALU_DEP_4)
	v_mul_u32_u24_e32 v29, 0x10001, v29
	v_mul_u32_u24_e32 v44, 0x10001, v44
	s_delay_alu instid0(VALU_DEP_4) | instskip(NEXT) | instid1(VALU_DEP_4)
	v_mul_u32_u24_e32 v12, 0x10001, v12
	v_mul_u32_u24_e32 v13, 0x10001, v13
	s_wait_dscnt 0x0
	s_delay_alu instid0(VALU_DEP_2) | instskip(NEXT) | instid1(VALU_DEP_2)
	v_pk_fma_f16 v45, v4, v12, v45
	v_pk_fma_f16 v48, v4, v13, v48
	;; [unrolled: 1-line block ×6, first 2 shown]
	v_dual_lshrrev_b32 v11, 16, v14 :: v_dual_lshrrev_b32 v12, 16, v15
	v_and_b32_e32 v13, 0xffff, v14
	v_and_b32_e32 v14, 0xffff, v15
	v_pk_fma_f16 v46, v4, v29, v46
	v_pk_fma_f16 v4, v4, v44, v50
	v_mul_u32_u24_e32 v11, 0x10001, v11
	v_mul_u32_u24_e32 v13, 0x10001, v13
	;; [unrolled: 1-line block ×4, first 2 shown]
	s_delay_alu instid0(VALU_DEP_4) | instskip(NEXT) | instid1(VALU_DEP_4)
	v_pk_fma_f16 v29, v6, v11, v46
	v_pk_fma_f16 v15, v6, v13, v45
	s_delay_alu instid0(VALU_DEP_4) | instskip(NEXT) | instid1(VALU_DEP_4)
	v_pk_fma_f16 v44, v6, v14, v48
	v_pk_fma_f16 v45, v6, v12, v4
	;; [unrolled: 1-line block ×6, first 2 shown]
	ds_load_2addr_b64 v[4:7], v79 offset0:128 offset1:160
	v_dual_lshrrev_b32 v12, 16, v16 :: v_dual_lshrrev_b32 v13, 16, v17
	v_and_b32_e32 v14, 0xffff, v16
	v_and_b32_e32 v16, 0xffff, v17
	s_delay_alu instid0(VALU_DEP_3) | instskip(NEXT) | instid1(VALU_DEP_4)
	v_mul_u32_u24_e32 v12, 0x10001, v12
	v_mul_u32_u24_e32 v13, 0x10001, v13
	s_delay_alu instid0(VALU_DEP_4) | instskip(NEXT) | instid1(VALU_DEP_4)
	v_mul_u32_u24_e32 v14, 0x10001, v14
	v_mul_u32_u24_e32 v16, 0x10001, v16
	s_wait_dscnt 0x0
	s_delay_alu instid0(VALU_DEP_2) | instskip(SKIP_1) | instid1(VALU_DEP_3)
	v_pk_fma_f16 v15, v4, v14, v15
	v_pk_fma_f16 v17, v4, v12, v29
	;; [unrolled: 1-line block ×8, first 2 shown]
	v_dual_lshrrev_b32 v11, 16, v18 :: v_dual_lshrrev_b32 v12, 16, v19
	v_and_b32_e32 v13, 0xffff, v18
	v_and_b32_e32 v14, 0xffff, v19
	;; [unrolled: 1-line block ×3, first 2 shown]
	s_delay_alu instid0(VALU_DEP_4)
	v_mul_u32_u24_e32 v11, 0x10001, v11
	v_mul_u32_u24_e32 v12, 0x10001, v12
	;; [unrolled: 1-line block ×5, first 2 shown]
	v_pk_fma_f16 v16, v6, v11, v17
	v_pk_fma_f16 v18, v6, v12, v4
	;; [unrolled: 1-line block ×8, first 2 shown]
	ds_load_2addr_b64 v[4:7], v79 offset0:192 offset1:224
	v_dual_lshrrev_b32 v12, 16, v40 :: v_dual_lshrrev_b32 v13, 16, v41
	v_and_b32_e32 v14, 0xffff, v40
	s_delay_alu instid0(VALU_DEP_2) | instskip(NEXT) | instid1(VALU_DEP_3)
	v_mul_u32_u24_e32 v12, 0x10001, v12
	v_mul_u32_u24_e32 v13, 0x10001, v13
	s_delay_alu instid0(VALU_DEP_3) | instskip(SKIP_1) | instid1(VALU_DEP_1)
	v_mul_u32_u24_e32 v14, 0x10001, v14
	s_wait_dscnt 0x0
	v_pk_fma_f16 v15, v4, v14, v15
	v_pk_fma_f16 v16, v4, v12, v16
	;; [unrolled: 1-line block ×8, first 2 shown]
	v_dual_lshrrev_b32 v11, 16, v42 :: v_dual_lshrrev_b32 v12, 16, v43
	v_and_b32_e32 v13, 0xffff, v42
	v_and_b32_e32 v14, 0xffff, v43
	s_delay_alu instid0(VALU_DEP_3) | instskip(NEXT) | instid1(VALU_DEP_4)
	v_mul_u32_u24_e32 v11, 0x10001, v11
	v_mul_u32_u24_e32 v12, 0x10001, v12
	s_delay_alu instid0(VALU_DEP_4) | instskip(NEXT) | instid1(VALU_DEP_4)
	v_mul_u32_u24_e32 v13, 0x10001, v13
	v_mul_u32_u24_e32 v14, 0x10001, v14
	s_delay_alu instid0(VALU_DEP_4) | instskip(NEXT) | instid1(VALU_DEP_4)
	v_pk_fma_f16 v16, v6, v11, v16
	v_pk_fma_f16 v18, v6, v12, v4
	s_delay_alu instid0(VALU_DEP_4) | instskip(NEXT) | instid1(VALU_DEP_4)
	v_pk_fma_f16 v15, v6, v13, v15
	v_pk_fma_f16 v17, v6, v14, v17
	;; [unrolled: 1-line block ×6, first 2 shown]
	ds_load_2addr_b64 v[4:7], v37 offset1:32
	ds_load_b128 v[8:11], v78 offset:19008
	s_wait_dscnt 0x0
	v_dual_lshrrev_b32 v29, 16, v8 :: v_dual_lshrrev_b32 v40, 16, v9
	v_and_b32_e32 v8, 0xffff, v8
	v_and_b32_e32 v9, 0xffff, v9
	s_delay_alu instid0(VALU_DEP_3) | instskip(NEXT) | instid1(VALU_DEP_4)
	v_mul_u32_u24_e32 v29, 0x10001, v29
	v_mul_u32_u24_e32 v40, 0x10001, v40
	s_delay_alu instid0(VALU_DEP_4) | instskip(NEXT) | instid1(VALU_DEP_4)
	v_mul_u32_u24_e32 v8, 0x10001, v8
	v_mul_u32_u24_e32 v9, 0x10001, v9
	s_delay_alu instid0(VALU_DEP_4) | instskip(NEXT) | instid1(VALU_DEP_3)
	v_pk_fma_f16 v16, v4, v29, v16
	v_pk_fma_f16 v15, v4, v8, v15
	s_delay_alu instid0(VALU_DEP_3)
	v_pk_fma_f16 v17, v4, v9, v17
	v_pk_fma_f16 v8, v5, v8, v13
	;; [unrolled: 1-line block ×5, first 2 shown]
	v_dual_lshrrev_b32 v12, 16, v10 :: v_dual_lshrrev_b32 v14, 16, v11
	v_and_b32_e32 v10, 0xffff, v10
	v_and_b32_e32 v11, 0xffff, v11
	v_pk_fma_f16 v4, v4, v40, v18
	s_delay_alu instid0(VALU_DEP_4) | instskip(SKIP_3) | instid1(VALU_DEP_4)
	v_mul_u32_u24_e32 v12, 0x10001, v12
	v_mul_u32_u24_e32 v14, 0x10001, v14
	v_mul_u32_u24_e32 v10, 0x10001, v10
	v_mul_u32_u24_e32 v11, 0x10001, v11
	v_pk_fma_f16 v16, v6, v12, v16
	s_delay_alu instid0(VALU_DEP_4) | instskip(NEXT) | instid1(VALU_DEP_4)
	v_pk_fma_f16 v18, v6, v14, v4
	v_pk_fma_f16 v15, v6, v10, v15
	s_delay_alu instid0(VALU_DEP_4)
	v_pk_fma_f16 v17, v6, v11, v17
	v_pk_fma_f16 v19, v7, v10, v8
	v_pk_fma_f16 v12, v7, v12, v13
	v_pk_fma_f16 v13, v7, v11, v9
	v_pk_fma_f16 v14, v7, v14, v5
	ds_load_2addr_b64 v[4:7], v37 offset0:64 offset1:96
	ds_load_b128 v[8:11], v78 offset:19024
	s_wait_dscnt 0x0
	v_dual_lshrrev_b32 v29, 16, v8 :: v_dual_lshrrev_b32 v40, 16, v9
	v_and_b32_e32 v8, 0xffff, v8
	v_and_b32_e32 v9, 0xffff, v9
	s_delay_alu instid0(VALU_DEP_3) | instskip(NEXT) | instid1(VALU_DEP_4)
	v_mul_u32_u24_e32 v29, 0x10001, v29
	v_mul_u32_u24_e32 v40, 0x10001, v40
	s_delay_alu instid0(VALU_DEP_4) | instskip(NEXT) | instid1(VALU_DEP_4)
	v_mul_u32_u24_e32 v8, 0x10001, v8
	v_mul_u32_u24_e32 v9, 0x10001, v9
	s_delay_alu instid0(VALU_DEP_4) | instskip(SKIP_1) | instid1(VALU_DEP_4)
	v_pk_fma_f16 v12, v5, v29, v12
	v_pk_fma_f16 v16, v4, v29, v16
	v_pk_fma_f16 v15, v4, v8, v15
	s_delay_alu instid0(VALU_DEP_4)
	v_pk_fma_f16 v17, v4, v9, v17
	v_pk_fma_f16 v8, v5, v8, v19
	v_pk_fma_f16 v9, v5, v9, v13
	v_pk_fma_f16 v5, v5, v40, v14
	v_dual_lshrrev_b32 v13, 16, v10 :: v_dual_lshrrev_b32 v14, 16, v11
	v_and_b32_e32 v10, 0xffff, v10
	v_and_b32_e32 v11, 0xffff, v11
	v_pk_fma_f16 v4, v4, v40, v18
	s_delay_alu instid0(VALU_DEP_4) | instskip(SKIP_3) | instid1(VALU_DEP_4)
	v_mul_u32_u24_e32 v13, 0x10001, v13
	v_mul_u32_u24_e32 v14, 0x10001, v14
	v_mul_u32_u24_e32 v10, 0x10001, v10
	v_mul_u32_u24_e32 v11, 0x10001, v11
	v_pk_fma_f16 v16, v6, v13, v16
	s_delay_alu instid0(VALU_DEP_4) | instskip(NEXT) | instid1(VALU_DEP_4)
	v_pk_fma_f16 v18, v6, v14, v4
	v_pk_fma_f16 v15, v6, v10, v15
	s_delay_alu instid0(VALU_DEP_4)
	v_pk_fma_f16 v17, v6, v11, v17
	v_pk_fma_f16 v19, v7, v10, v8
	v_pk_fma_f16 v12, v7, v13, v12
	v_pk_fma_f16 v13, v7, v11, v9
	v_pk_fma_f16 v14, v7, v14, v5
	ds_load_2addr_b64 v[4:7], v37 offset0:128 offset1:160
	ds_load_b128 v[8:11], v78 offset:19040
	s_wait_dscnt 0x0
	v_dual_lshrrev_b32 v29, 16, v8 :: v_dual_lshrrev_b32 v40, 16, v9
	v_and_b32_e32 v8, 0xffff, v8
	v_and_b32_e32 v9, 0xffff, v9
	s_delay_alu instid0(VALU_DEP_3) | instskip(NEXT) | instid1(VALU_DEP_4)
	v_mul_u32_u24_e32 v29, 0x10001, v29
	v_mul_u32_u24_e32 v40, 0x10001, v40
	s_delay_alu instid0(VALU_DEP_4) | instskip(NEXT) | instid1(VALU_DEP_4)
	v_mul_u32_u24_e32 v8, 0x10001, v8
	v_mul_u32_u24_e32 v9, 0x10001, v9
	s_delay_alu instid0(VALU_DEP_4) | instskip(SKIP_1) | instid1(VALU_DEP_4)
	v_pk_fma_f16 v12, v5, v29, v12
	v_pk_fma_f16 v16, v4, v29, v16
	v_pk_fma_f16 v15, v4, v8, v15
	s_delay_alu instid0(VALU_DEP_4)
	v_pk_fma_f16 v17, v4, v9, v17
	v_pk_fma_f16 v8, v5, v8, v19
	v_pk_fma_f16 v9, v5, v9, v13
	v_pk_fma_f16 v5, v5, v40, v14
	;; [unrolled: 40-line block ×3, first 2 shown]
	v_dual_lshrrev_b32 v13, 16, v10 :: v_dual_lshrrev_b32 v14, 16, v11
	v_and_b32_e32 v10, 0xffff, v10
	v_and_b32_e32 v11, 0xffff, v11
	v_pk_fma_f16 v4, v4, v37, v18
	s_delay_alu instid0(VALU_DEP_4) | instskip(SKIP_3) | instid1(VALU_DEP_4)
	v_mul_u32_u24_e32 v13, 0x10001, v13
	v_mul_u32_u24_e32 v14, 0x10001, v14
	;; [unrolled: 1-line block ×4, first 2 shown]
	v_pk_fma_f16 v16, v6, v13, v16
	s_delay_alu instid0(VALU_DEP_4) | instskip(NEXT) | instid1(VALU_DEP_4)
	v_pk_fma_f16 v18, v6, v14, v4
	v_pk_fma_f16 v15, v6, v10, v15
	s_delay_alu instid0(VALU_DEP_4)
	v_pk_fma_f16 v17, v6, v11, v17
	v_pk_fma_f16 v19, v7, v10, v8
	;; [unrolled: 1-line block ×5, first 2 shown]
	ds_load_2addr_b64 v[4:7], v38 offset1:32
	ds_load_b128 v[8:11], v78 offset:19072
	s_wait_dscnt 0x0
	v_dual_lshrrev_b32 v29, 16, v8 :: v_dual_lshrrev_b32 v37, 16, v9
	v_and_b32_e32 v8, 0xffff, v8
	v_and_b32_e32 v9, 0xffff, v9
	s_delay_alu instid0(VALU_DEP_3) | instskip(NEXT) | instid1(VALU_DEP_4)
	v_mul_u32_u24_e32 v29, 0x10001, v29
	v_mul_u32_u24_e32 v37, 0x10001, v37
	s_delay_alu instid0(VALU_DEP_4) | instskip(NEXT) | instid1(VALU_DEP_4)
	v_mul_u32_u24_e32 v8, 0x10001, v8
	v_mul_u32_u24_e32 v9, 0x10001, v9
	s_delay_alu instid0(VALU_DEP_4) | instskip(SKIP_1) | instid1(VALU_DEP_4)
	v_pk_fma_f16 v12, v5, v29, v12
	v_pk_fma_f16 v16, v4, v29, v16
	v_pk_fma_f16 v15, v4, v8, v15
	s_delay_alu instid0(VALU_DEP_4)
	v_pk_fma_f16 v17, v4, v9, v17
	v_pk_fma_f16 v8, v5, v8, v19
	v_pk_fma_f16 v9, v5, v9, v13
	v_pk_fma_f16 v5, v5, v37, v14
	v_dual_lshrrev_b32 v13, 16, v10 :: v_dual_lshrrev_b32 v14, 16, v11
	v_and_b32_e32 v10, 0xffff, v10
	v_and_b32_e32 v11, 0xffff, v11
	v_pk_fma_f16 v4, v4, v37, v18
	s_delay_alu instid0(VALU_DEP_4) | instskip(SKIP_3) | instid1(VALU_DEP_4)
	v_mul_u32_u24_e32 v13, 0x10001, v13
	v_mul_u32_u24_e32 v14, 0x10001, v14
	v_mul_u32_u24_e32 v10, 0x10001, v10
	v_mul_u32_u24_e32 v11, 0x10001, v11
	v_pk_fma_f16 v16, v6, v13, v16
	s_delay_alu instid0(VALU_DEP_4) | instskip(NEXT) | instid1(VALU_DEP_4)
	v_pk_fma_f16 v18, v6, v14, v4
	v_pk_fma_f16 v15, v6, v10, v15
	s_delay_alu instid0(VALU_DEP_4)
	v_pk_fma_f16 v17, v6, v11, v17
	v_pk_fma_f16 v19, v7, v10, v8
	v_pk_fma_f16 v12, v7, v13, v12
	v_pk_fma_f16 v13, v7, v11, v9
	v_pk_fma_f16 v14, v7, v14, v5
	ds_load_2addr_b64 v[4:7], v38 offset0:64 offset1:96
	ds_load_b128 v[8:11], v78 offset:19088
	s_wait_dscnt 0x0
	v_dual_lshrrev_b32 v29, 16, v8 :: v_dual_lshrrev_b32 v37, 16, v9
	v_and_b32_e32 v8, 0xffff, v8
	v_and_b32_e32 v9, 0xffff, v9
	s_delay_alu instid0(VALU_DEP_3) | instskip(NEXT) | instid1(VALU_DEP_4)
	v_mul_u32_u24_e32 v29, 0x10001, v29
	v_mul_u32_u24_e32 v37, 0x10001, v37
	s_delay_alu instid0(VALU_DEP_4) | instskip(NEXT) | instid1(VALU_DEP_4)
	v_mul_u32_u24_e32 v8, 0x10001, v8
	v_mul_u32_u24_e32 v9, 0x10001, v9
	s_delay_alu instid0(VALU_DEP_4) | instskip(SKIP_1) | instid1(VALU_DEP_4)
	v_pk_fma_f16 v12, v5, v29, v12
	v_pk_fma_f16 v16, v4, v29, v16
	v_pk_fma_f16 v15, v4, v8, v15
	s_delay_alu instid0(VALU_DEP_4)
	v_pk_fma_f16 v17, v4, v9, v17
	v_pk_fma_f16 v8, v5, v8, v19
	v_pk_fma_f16 v9, v5, v9, v13
	v_pk_fma_f16 v5, v5, v37, v14
	v_dual_lshrrev_b32 v13, 16, v10 :: v_dual_lshrrev_b32 v14, 16, v11
	v_and_b32_e32 v10, 0xffff, v10
	v_and_b32_e32 v11, 0xffff, v11
	v_pk_fma_f16 v4, v4, v37, v18
	s_delay_alu instid0(VALU_DEP_4) | instskip(SKIP_3) | instid1(VALU_DEP_4)
	v_mul_u32_u24_e32 v13, 0x10001, v13
	v_mul_u32_u24_e32 v14, 0x10001, v14
	v_mul_u32_u24_e32 v10, 0x10001, v10
	v_mul_u32_u24_e32 v11, 0x10001, v11
	v_pk_fma_f16 v16, v6, v13, v16
	s_delay_alu instid0(VALU_DEP_4) | instskip(NEXT) | instid1(VALU_DEP_4)
	v_pk_fma_f16 v18, v6, v14, v4
	v_pk_fma_f16 v15, v6, v10, v15
	s_delay_alu instid0(VALU_DEP_4)
	v_pk_fma_f16 v17, v6, v11, v17
	v_pk_fma_f16 v19, v7, v10, v8
	v_pk_fma_f16 v12, v7, v13, v12
	v_pk_fma_f16 v13, v7, v11, v9
	v_pk_fma_f16 v14, v7, v14, v5
	ds_load_2addr_b64 v[4:7], v38 offset0:128 offset1:160
	;; [unrolled: 40-line block ×3, first 2 shown]
	ds_load_b128 v[8:11], v78 offset:19120
	s_wait_dscnt 0x0
	v_dual_lshrrev_b32 v29, 16, v8 :: v_dual_lshrrev_b32 v37, 16, v9
	v_and_b32_e32 v8, 0xffff, v8
	v_and_b32_e32 v9, 0xffff, v9
	s_delay_alu instid0(VALU_DEP_3) | instskip(NEXT) | instid1(VALU_DEP_4)
	v_mul_u32_u24_e32 v29, 0x10001, v29
	v_mul_u32_u24_e32 v37, 0x10001, v37
	s_delay_alu instid0(VALU_DEP_4) | instskip(NEXT) | instid1(VALU_DEP_4)
	v_mul_u32_u24_e32 v8, 0x10001, v8
	v_mul_u32_u24_e32 v9, 0x10001, v9
	s_delay_alu instid0(VALU_DEP_4) | instskip(SKIP_1) | instid1(VALU_DEP_4)
	v_pk_fma_f16 v12, v5, v29, v12
	v_pk_fma_f16 v16, v4, v29, v16
	;; [unrolled: 1-line block ×3, first 2 shown]
	s_delay_alu instid0(VALU_DEP_4)
	v_pk_fma_f16 v17, v4, v9, v17
	v_pk_fma_f16 v8, v5, v8, v19
	;; [unrolled: 1-line block ×4, first 2 shown]
	v_dual_lshrrev_b32 v13, 16, v10 :: v_dual_lshrrev_b32 v14, 16, v11
	v_and_b32_e32 v10, 0xffff, v10
	v_and_b32_e32 v11, 0xffff, v11
	v_pk_fma_f16 v4, v4, v37, v18
	s_delay_alu instid0(VALU_DEP_4) | instskip(SKIP_3) | instid1(VALU_DEP_4)
	v_mul_u32_u24_e32 v13, 0x10001, v13
	v_mul_u32_u24_e32 v14, 0x10001, v14
	;; [unrolled: 1-line block ×4, first 2 shown]
	v_pk_fma_f16 v16, v6, v13, v16
	s_delay_alu instid0(VALU_DEP_4) | instskip(NEXT) | instid1(VALU_DEP_4)
	v_pk_fma_f16 v18, v6, v14, v4
	v_pk_fma_f16 v15, v6, v10, v15
	s_delay_alu instid0(VALU_DEP_4)
	v_pk_fma_f16 v17, v6, v11, v17
	v_pk_fma_f16 v19, v7, v10, v8
	;; [unrolled: 1-line block ×5, first 2 shown]
	ds_load_2addr_b64 v[4:7], v28 offset1:32
	ds_load_b128 v[8:11], v78 offset:19136
	s_wait_dscnt 0x0
	v_dual_lshrrev_b32 v29, 16, v8 :: v_dual_lshrrev_b32 v37, 16, v9
	v_and_b32_e32 v8, 0xffff, v8
	v_and_b32_e32 v9, 0xffff, v9
	s_delay_alu instid0(VALU_DEP_3) | instskip(NEXT) | instid1(VALU_DEP_4)
	v_mul_u32_u24_e32 v29, 0x10001, v29
	v_mul_u32_u24_e32 v37, 0x10001, v37
	s_delay_alu instid0(VALU_DEP_4) | instskip(NEXT) | instid1(VALU_DEP_4)
	v_mul_u32_u24_e32 v8, 0x10001, v8
	v_mul_u32_u24_e32 v9, 0x10001, v9
	s_delay_alu instid0(VALU_DEP_4) | instskip(SKIP_1) | instid1(VALU_DEP_4)
	v_pk_fma_f16 v12, v5, v29, v12
	v_pk_fma_f16 v16, v4, v29, v16
	v_pk_fma_f16 v15, v4, v8, v15
	s_delay_alu instid0(VALU_DEP_4)
	v_pk_fma_f16 v17, v4, v9, v17
	v_pk_fma_f16 v8, v5, v8, v19
	v_pk_fma_f16 v9, v5, v9, v13
	v_pk_fma_f16 v5, v5, v37, v14
	v_dual_lshrrev_b32 v13, 16, v10 :: v_dual_lshrrev_b32 v14, 16, v11
	v_and_b32_e32 v10, 0xffff, v10
	v_and_b32_e32 v11, 0xffff, v11
	v_pk_fma_f16 v4, v4, v37, v18
	s_delay_alu instid0(VALU_DEP_4) | instskip(SKIP_3) | instid1(VALU_DEP_4)
	v_mul_u32_u24_e32 v13, 0x10001, v13
	v_mul_u32_u24_e32 v14, 0x10001, v14
	v_mul_u32_u24_e32 v10, 0x10001, v10
	v_mul_u32_u24_e32 v11, 0x10001, v11
	v_pk_fma_f16 v16, v6, v13, v16
	s_delay_alu instid0(VALU_DEP_4) | instskip(NEXT) | instid1(VALU_DEP_4)
	v_pk_fma_f16 v18, v6, v14, v4
	v_pk_fma_f16 v15, v6, v10, v15
	s_delay_alu instid0(VALU_DEP_4)
	v_pk_fma_f16 v17, v6, v11, v17
	v_pk_fma_f16 v19, v7, v10, v8
	v_pk_fma_f16 v12, v7, v13, v12
	v_pk_fma_f16 v13, v7, v11, v9
	v_pk_fma_f16 v14, v7, v14, v5
	ds_load_2addr_b64 v[4:7], v28 offset0:64 offset1:96
	ds_load_b128 v[8:11], v78 offset:19152
	s_wait_dscnt 0x0
	v_dual_lshrrev_b32 v29, 16, v8 :: v_dual_lshrrev_b32 v37, 16, v9
	v_and_b32_e32 v8, 0xffff, v8
	v_and_b32_e32 v9, 0xffff, v9
	s_delay_alu instid0(VALU_DEP_3) | instskip(NEXT) | instid1(VALU_DEP_4)
	v_mul_u32_u24_e32 v29, 0x10001, v29
	v_mul_u32_u24_e32 v37, 0x10001, v37
	s_delay_alu instid0(VALU_DEP_4) | instskip(NEXT) | instid1(VALU_DEP_4)
	v_mul_u32_u24_e32 v8, 0x10001, v8
	v_mul_u32_u24_e32 v9, 0x10001, v9
	s_delay_alu instid0(VALU_DEP_4) | instskip(SKIP_1) | instid1(VALU_DEP_4)
	v_pk_fma_f16 v12, v5, v29, v12
	v_pk_fma_f16 v16, v4, v29, v16
	v_pk_fma_f16 v15, v4, v8, v15
	s_delay_alu instid0(VALU_DEP_4)
	v_pk_fma_f16 v17, v4, v9, v17
	v_pk_fma_f16 v8, v5, v8, v19
	v_pk_fma_f16 v9, v5, v9, v13
	v_pk_fma_f16 v5, v5, v37, v14
	v_dual_lshrrev_b32 v13, 16, v10 :: v_dual_lshrrev_b32 v14, 16, v11
	v_and_b32_e32 v10, 0xffff, v10
	v_and_b32_e32 v11, 0xffff, v11
	v_pk_fma_f16 v4, v4, v37, v18
	s_delay_alu instid0(VALU_DEP_4) | instskip(SKIP_3) | instid1(VALU_DEP_4)
	v_mul_u32_u24_e32 v13, 0x10001, v13
	v_mul_u32_u24_e32 v14, 0x10001, v14
	v_mul_u32_u24_e32 v10, 0x10001, v10
	v_mul_u32_u24_e32 v11, 0x10001, v11
	v_pk_fma_f16 v16, v6, v13, v16
	s_delay_alu instid0(VALU_DEP_4) | instskip(NEXT) | instid1(VALU_DEP_4)
	v_pk_fma_f16 v18, v6, v14, v4
	v_pk_fma_f16 v15, v6, v10, v15
	s_delay_alu instid0(VALU_DEP_4)
	v_pk_fma_f16 v17, v6, v11, v17
	v_pk_fma_f16 v19, v7, v10, v8
	v_pk_fma_f16 v12, v7, v13, v12
	v_pk_fma_f16 v13, v7, v11, v9
	v_pk_fma_f16 v14, v7, v14, v5
	ds_load_2addr_b64 v[4:7], v28 offset0:128 offset1:160
	;; [unrolled: 40-line block ×3, first 2 shown]
	ds_load_b128 v[8:11], v78 offset:19184
	s_wait_dscnt 0x0
	v_dual_lshrrev_b32 v28, 16, v8 :: v_dual_lshrrev_b32 v29, 16, v9
	v_and_b32_e32 v8, 0xffff, v8
	v_and_b32_e32 v9, 0xffff, v9
	s_delay_alu instid0(VALU_DEP_3) | instskip(NEXT) | instid1(VALU_DEP_4)
	v_mul_u32_u24_e32 v28, 0x10001, v28
	v_mul_u32_u24_e32 v29, 0x10001, v29
	s_delay_alu instid0(VALU_DEP_4) | instskip(NEXT) | instid1(VALU_DEP_4)
	v_mul_u32_u24_e32 v8, 0x10001, v8
	v_mul_u32_u24_e32 v9, 0x10001, v9
	s_delay_alu instid0(VALU_DEP_4) | instskip(SKIP_1) | instid1(VALU_DEP_4)
	v_pk_fma_f16 v12, v5, v28, v12
	v_pk_fma_f16 v16, v4, v28, v16
	;; [unrolled: 1-line block ×3, first 2 shown]
	s_delay_alu instid0(VALU_DEP_4)
	v_pk_fma_f16 v17, v4, v9, v17
	v_pk_fma_f16 v8, v5, v8, v19
	;; [unrolled: 1-line block ×4, first 2 shown]
	v_dual_lshrrev_b32 v13, 16, v10 :: v_dual_lshrrev_b32 v14, 16, v11
	v_and_b32_e32 v10, 0xffff, v10
	v_and_b32_e32 v11, 0xffff, v11
	v_pk_fma_f16 v4, v4, v29, v18
	s_delay_alu instid0(VALU_DEP_4) | instskip(SKIP_3) | instid1(VALU_DEP_4)
	v_mul_u32_u24_e32 v13, 0x10001, v13
	v_mul_u32_u24_e32 v14, 0x10001, v14
	;; [unrolled: 1-line block ×4, first 2 shown]
	v_pk_fma_f16 v16, v6, v13, v16
	s_delay_alu instid0(VALU_DEP_4) | instskip(NEXT) | instid1(VALU_DEP_4)
	v_pk_fma_f16 v18, v6, v14, v4
	v_pk_fma_f16 v15, v6, v10, v15
	s_delay_alu instid0(VALU_DEP_4)
	v_pk_fma_f16 v17, v6, v11, v17
	v_pk_fma_f16 v19, v7, v10, v8
	;; [unrolled: 1-line block ×5, first 2 shown]
	ds_load_2addr_b64 v[4:7], v23 offset1:32
	ds_load_b128 v[8:11], v78 offset:19200
	s_wait_dscnt 0x0
	v_dual_lshrrev_b32 v28, 16, v8 :: v_dual_lshrrev_b32 v29, 16, v9
	v_and_b32_e32 v8, 0xffff, v8
	v_and_b32_e32 v9, 0xffff, v9
	s_delay_alu instid0(VALU_DEP_3) | instskip(NEXT) | instid1(VALU_DEP_4)
	v_mul_u32_u24_e32 v28, 0x10001, v28
	v_mul_u32_u24_e32 v29, 0x10001, v29
	s_delay_alu instid0(VALU_DEP_4) | instskip(NEXT) | instid1(VALU_DEP_4)
	v_mul_u32_u24_e32 v8, 0x10001, v8
	v_mul_u32_u24_e32 v9, 0x10001, v9
	s_delay_alu instid0(VALU_DEP_4) | instskip(SKIP_1) | instid1(VALU_DEP_4)
	v_pk_fma_f16 v12, v5, v28, v12
	v_pk_fma_f16 v16, v4, v28, v16
	v_pk_fma_f16 v15, v4, v8, v15
	s_delay_alu instid0(VALU_DEP_4)
	v_pk_fma_f16 v17, v4, v9, v17
	v_pk_fma_f16 v8, v5, v8, v19
	v_pk_fma_f16 v9, v5, v9, v13
	v_pk_fma_f16 v5, v5, v29, v14
	v_dual_lshrrev_b32 v13, 16, v10 :: v_dual_lshrrev_b32 v14, 16, v11
	v_and_b32_e32 v10, 0xffff, v10
	v_and_b32_e32 v11, 0xffff, v11
	v_pk_fma_f16 v4, v4, v29, v18
	s_delay_alu instid0(VALU_DEP_4) | instskip(SKIP_3) | instid1(VALU_DEP_4)
	v_mul_u32_u24_e32 v13, 0x10001, v13
	v_mul_u32_u24_e32 v14, 0x10001, v14
	v_mul_u32_u24_e32 v10, 0x10001, v10
	v_mul_u32_u24_e32 v11, 0x10001, v11
	v_pk_fma_f16 v16, v6, v13, v16
	s_delay_alu instid0(VALU_DEP_4) | instskip(NEXT) | instid1(VALU_DEP_4)
	v_pk_fma_f16 v18, v6, v14, v4
	v_pk_fma_f16 v15, v6, v10, v15
	s_delay_alu instid0(VALU_DEP_4)
	v_pk_fma_f16 v17, v6, v11, v17
	v_pk_fma_f16 v19, v7, v10, v8
	v_pk_fma_f16 v12, v7, v13, v12
	v_pk_fma_f16 v13, v7, v11, v9
	v_pk_fma_f16 v14, v7, v14, v5
	ds_load_2addr_b64 v[4:7], v23 offset0:64 offset1:96
	ds_load_b128 v[8:11], v78 offset:19216
	s_wait_dscnt 0x0
	v_dual_lshrrev_b32 v28, 16, v8 :: v_dual_lshrrev_b32 v29, 16, v9
	v_and_b32_e32 v8, 0xffff, v8
	v_and_b32_e32 v9, 0xffff, v9
	s_delay_alu instid0(VALU_DEP_3) | instskip(NEXT) | instid1(VALU_DEP_4)
	v_mul_u32_u24_e32 v28, 0x10001, v28
	v_mul_u32_u24_e32 v29, 0x10001, v29
	s_delay_alu instid0(VALU_DEP_4) | instskip(NEXT) | instid1(VALU_DEP_4)
	v_mul_u32_u24_e32 v8, 0x10001, v8
	v_mul_u32_u24_e32 v9, 0x10001, v9
	s_delay_alu instid0(VALU_DEP_4) | instskip(SKIP_1) | instid1(VALU_DEP_4)
	v_pk_fma_f16 v12, v5, v28, v12
	v_pk_fma_f16 v16, v4, v28, v16
	v_pk_fma_f16 v15, v4, v8, v15
	s_delay_alu instid0(VALU_DEP_4)
	v_pk_fma_f16 v17, v4, v9, v17
	v_pk_fma_f16 v8, v5, v8, v19
	v_pk_fma_f16 v9, v5, v9, v13
	v_pk_fma_f16 v5, v5, v29, v14
	v_dual_lshrrev_b32 v13, 16, v10 :: v_dual_lshrrev_b32 v14, 16, v11
	v_and_b32_e32 v10, 0xffff, v10
	v_and_b32_e32 v11, 0xffff, v11
	v_pk_fma_f16 v4, v4, v29, v18
	s_delay_alu instid0(VALU_DEP_4) | instskip(SKIP_3) | instid1(VALU_DEP_4)
	v_mul_u32_u24_e32 v13, 0x10001, v13
	v_mul_u32_u24_e32 v14, 0x10001, v14
	v_mul_u32_u24_e32 v10, 0x10001, v10
	v_mul_u32_u24_e32 v11, 0x10001, v11
	v_pk_fma_f16 v16, v6, v13, v16
	s_delay_alu instid0(VALU_DEP_4) | instskip(NEXT) | instid1(VALU_DEP_4)
	v_pk_fma_f16 v18, v6, v14, v4
	v_pk_fma_f16 v15, v6, v10, v15
	s_delay_alu instid0(VALU_DEP_4)
	v_pk_fma_f16 v17, v6, v11, v17
	v_pk_fma_f16 v19, v7, v10, v8
	v_pk_fma_f16 v12, v7, v13, v12
	v_pk_fma_f16 v13, v7, v11, v9
	v_pk_fma_f16 v14, v7, v14, v5
	ds_load_2addr_b64 v[4:7], v23 offset0:128 offset1:160
	;; [unrolled: 40-line block ×3, first 2 shown]
	ds_load_b128 v[8:11], v78 offset:19248
	s_wait_dscnt 0x0
	v_dual_lshrrev_b32 v23, 16, v8 :: v_dual_lshrrev_b32 v28, 16, v9
	v_and_b32_e32 v8, 0xffff, v8
	v_and_b32_e32 v9, 0xffff, v9
	s_delay_alu instid0(VALU_DEP_3) | instskip(NEXT) | instid1(VALU_DEP_4)
	v_mul_u32_u24_e32 v23, 0x10001, v23
	v_mul_u32_u24_e32 v28, 0x10001, v28
	s_delay_alu instid0(VALU_DEP_4) | instskip(NEXT) | instid1(VALU_DEP_4)
	v_mul_u32_u24_e32 v8, 0x10001, v8
	v_mul_u32_u24_e32 v9, 0x10001, v9
	s_delay_alu instid0(VALU_DEP_4) | instskip(SKIP_1) | instid1(VALU_DEP_4)
	v_pk_fma_f16 v12, v5, v23, v12
	v_pk_fma_f16 v16, v4, v23, v16
	;; [unrolled: 1-line block ×3, first 2 shown]
	s_delay_alu instid0(VALU_DEP_4)
	v_pk_fma_f16 v17, v4, v9, v17
	v_pk_fma_f16 v8, v5, v8, v19
	;; [unrolled: 1-line block ×4, first 2 shown]
	v_dual_lshrrev_b32 v13, 16, v10 :: v_dual_lshrrev_b32 v14, 16, v11
	v_and_b32_e32 v10, 0xffff, v10
	v_and_b32_e32 v11, 0xffff, v11
	v_pk_fma_f16 v4, v4, v28, v18
	s_delay_alu instid0(VALU_DEP_4) | instskip(SKIP_3) | instid1(VALU_DEP_4)
	v_mul_u32_u24_e32 v13, 0x10001, v13
	v_mul_u32_u24_e32 v14, 0x10001, v14
	v_mul_u32_u24_e32 v10, 0x10001, v10
	v_mul_u32_u24_e32 v11, 0x10001, v11
	v_pk_fma_f16 v16, v6, v13, v16
	s_delay_alu instid0(VALU_DEP_4) | instskip(NEXT) | instid1(VALU_DEP_4)
	v_pk_fma_f16 v18, v6, v14, v4
	v_pk_fma_f16 v15, v6, v10, v15
	s_delay_alu instid0(VALU_DEP_4)
	v_pk_fma_f16 v17, v6, v11, v17
	v_pk_fma_f16 v19, v7, v10, v8
	;; [unrolled: 1-line block ×5, first 2 shown]
	ds_load_2addr_b64 v[4:7], v22 offset1:32
	ds_load_b128 v[8:11], v78 offset:19264
	s_wait_dscnt 0x0
	v_dual_lshrrev_b32 v23, 16, v8 :: v_dual_lshrrev_b32 v28, 16, v9
	v_and_b32_e32 v8, 0xffff, v8
	v_and_b32_e32 v9, 0xffff, v9
	s_delay_alu instid0(VALU_DEP_3) | instskip(NEXT) | instid1(VALU_DEP_4)
	v_mul_u32_u24_e32 v23, 0x10001, v23
	v_mul_u32_u24_e32 v28, 0x10001, v28
	s_delay_alu instid0(VALU_DEP_4) | instskip(NEXT) | instid1(VALU_DEP_4)
	v_mul_u32_u24_e32 v8, 0x10001, v8
	v_mul_u32_u24_e32 v9, 0x10001, v9
	s_delay_alu instid0(VALU_DEP_4) | instskip(SKIP_1) | instid1(VALU_DEP_4)
	v_pk_fma_f16 v12, v5, v23, v12
	v_pk_fma_f16 v16, v4, v23, v16
	v_pk_fma_f16 v15, v4, v8, v15
	s_delay_alu instid0(VALU_DEP_4)
	v_pk_fma_f16 v17, v4, v9, v17
	v_pk_fma_f16 v8, v5, v8, v19
	v_pk_fma_f16 v9, v5, v9, v13
	v_pk_fma_f16 v5, v5, v28, v14
	v_dual_lshrrev_b32 v13, 16, v10 :: v_dual_lshrrev_b32 v14, 16, v11
	v_and_b32_e32 v10, 0xffff, v10
	v_and_b32_e32 v11, 0xffff, v11
	v_pk_fma_f16 v4, v4, v28, v18
	s_delay_alu instid0(VALU_DEP_4) | instskip(SKIP_3) | instid1(VALU_DEP_4)
	v_mul_u32_u24_e32 v13, 0x10001, v13
	v_mul_u32_u24_e32 v14, 0x10001, v14
	v_mul_u32_u24_e32 v10, 0x10001, v10
	v_mul_u32_u24_e32 v11, 0x10001, v11
	v_pk_fma_f16 v16, v6, v13, v16
	s_delay_alu instid0(VALU_DEP_4) | instskip(NEXT) | instid1(VALU_DEP_4)
	v_pk_fma_f16 v18, v6, v14, v4
	v_pk_fma_f16 v15, v6, v10, v15
	s_delay_alu instid0(VALU_DEP_4)
	v_pk_fma_f16 v17, v6, v11, v17
	v_pk_fma_f16 v19, v7, v10, v8
	v_pk_fma_f16 v12, v7, v13, v12
	v_pk_fma_f16 v13, v7, v11, v9
	v_pk_fma_f16 v14, v7, v14, v5
	ds_load_2addr_b64 v[4:7], v22 offset0:64 offset1:96
	ds_load_b128 v[8:11], v78 offset:19280
	s_wait_dscnt 0x0
	v_dual_lshrrev_b32 v23, 16, v8 :: v_dual_lshrrev_b32 v28, 16, v9
	v_and_b32_e32 v8, 0xffff, v8
	v_and_b32_e32 v9, 0xffff, v9
	s_delay_alu instid0(VALU_DEP_3) | instskip(NEXT) | instid1(VALU_DEP_4)
	v_mul_u32_u24_e32 v23, 0x10001, v23
	v_mul_u32_u24_e32 v28, 0x10001, v28
	s_delay_alu instid0(VALU_DEP_4) | instskip(NEXT) | instid1(VALU_DEP_4)
	v_mul_u32_u24_e32 v8, 0x10001, v8
	v_mul_u32_u24_e32 v9, 0x10001, v9
	s_delay_alu instid0(VALU_DEP_4) | instskip(SKIP_1) | instid1(VALU_DEP_4)
	v_pk_fma_f16 v12, v5, v23, v12
	v_pk_fma_f16 v16, v4, v23, v16
	v_pk_fma_f16 v15, v4, v8, v15
	s_delay_alu instid0(VALU_DEP_4)
	v_pk_fma_f16 v17, v4, v9, v17
	v_pk_fma_f16 v8, v5, v8, v19
	v_pk_fma_f16 v9, v5, v9, v13
	v_pk_fma_f16 v5, v5, v28, v14
	v_dual_lshrrev_b32 v13, 16, v10 :: v_dual_lshrrev_b32 v14, 16, v11
	v_and_b32_e32 v10, 0xffff, v10
	v_and_b32_e32 v11, 0xffff, v11
	v_pk_fma_f16 v4, v4, v28, v18
	s_delay_alu instid0(VALU_DEP_4) | instskip(SKIP_3) | instid1(VALU_DEP_4)
	v_mul_u32_u24_e32 v13, 0x10001, v13
	v_mul_u32_u24_e32 v14, 0x10001, v14
	v_mul_u32_u24_e32 v10, 0x10001, v10
	v_mul_u32_u24_e32 v11, 0x10001, v11
	v_pk_fma_f16 v16, v6, v13, v16
	s_delay_alu instid0(VALU_DEP_4) | instskip(NEXT) | instid1(VALU_DEP_4)
	v_pk_fma_f16 v18, v6, v14, v4
	v_pk_fma_f16 v15, v6, v10, v15
	s_delay_alu instid0(VALU_DEP_4)
	v_pk_fma_f16 v17, v6, v11, v17
	v_pk_fma_f16 v19, v7, v10, v8
	v_pk_fma_f16 v12, v7, v13, v12
	v_pk_fma_f16 v13, v7, v11, v9
	v_pk_fma_f16 v14, v7, v14, v5
	ds_load_2addr_b64 v[4:7], v22 offset0:128 offset1:160
	;; [unrolled: 40-line block ×3, first 2 shown]
	ds_load_b128 v[8:11], v78 offset:19312
	s_wait_dscnt 0x0
	v_dual_lshrrev_b32 v22, 16, v8 :: v_dual_lshrrev_b32 v23, 16, v9
	v_and_b32_e32 v8, 0xffff, v8
	v_and_b32_e32 v9, 0xffff, v9
	s_delay_alu instid0(VALU_DEP_3) | instskip(NEXT) | instid1(VALU_DEP_4)
	v_mul_u32_u24_e32 v22, 0x10001, v22
	v_mul_u32_u24_e32 v23, 0x10001, v23
	s_delay_alu instid0(VALU_DEP_4) | instskip(NEXT) | instid1(VALU_DEP_4)
	v_mul_u32_u24_e32 v8, 0x10001, v8
	v_mul_u32_u24_e32 v9, 0x10001, v9
	s_delay_alu instid0(VALU_DEP_4) | instskip(SKIP_1) | instid1(VALU_DEP_4)
	v_pk_fma_f16 v12, v5, v22, v12
	v_pk_fma_f16 v16, v4, v22, v16
	;; [unrolled: 1-line block ×3, first 2 shown]
	s_delay_alu instid0(VALU_DEP_4)
	v_pk_fma_f16 v17, v4, v9, v17
	v_pk_fma_f16 v8, v5, v8, v19
	;; [unrolled: 1-line block ×4, first 2 shown]
	v_dual_lshrrev_b32 v13, 16, v10 :: v_dual_lshrrev_b32 v14, 16, v11
	v_and_b32_e32 v10, 0xffff, v10
	v_and_b32_e32 v11, 0xffff, v11
	v_pk_fma_f16 v4, v4, v23, v18
	s_delay_alu instid0(VALU_DEP_4) | instskip(SKIP_3) | instid1(VALU_DEP_4)
	v_mul_u32_u24_e32 v13, 0x10001, v13
	v_mul_u32_u24_e32 v14, 0x10001, v14
	;; [unrolled: 1-line block ×4, first 2 shown]
	v_pk_fma_f16 v16, v6, v13, v16
	s_delay_alu instid0(VALU_DEP_4) | instskip(NEXT) | instid1(VALU_DEP_4)
	v_pk_fma_f16 v18, v6, v14, v4
	v_pk_fma_f16 v15, v6, v10, v15
	s_delay_alu instid0(VALU_DEP_4)
	v_pk_fma_f16 v17, v6, v11, v17
	v_pk_fma_f16 v19, v7, v10, v8
	;; [unrolled: 1-line block ×5, first 2 shown]
	ds_load_2addr_b64 v[4:7], v21 offset1:32
	ds_load_b128 v[8:11], v78 offset:19328
	s_wait_dscnt 0x0
	v_dual_lshrrev_b32 v22, 16, v8 :: v_dual_lshrrev_b32 v23, 16, v9
	v_and_b32_e32 v8, 0xffff, v8
	v_and_b32_e32 v9, 0xffff, v9
	s_delay_alu instid0(VALU_DEP_3) | instskip(NEXT) | instid1(VALU_DEP_4)
	v_mul_u32_u24_e32 v22, 0x10001, v22
	v_mul_u32_u24_e32 v23, 0x10001, v23
	s_delay_alu instid0(VALU_DEP_4) | instskip(NEXT) | instid1(VALU_DEP_4)
	v_mul_u32_u24_e32 v8, 0x10001, v8
	v_mul_u32_u24_e32 v9, 0x10001, v9
	s_delay_alu instid0(VALU_DEP_4) | instskip(SKIP_1) | instid1(VALU_DEP_4)
	v_pk_fma_f16 v12, v5, v22, v12
	v_pk_fma_f16 v16, v4, v22, v16
	v_pk_fma_f16 v15, v4, v8, v15
	s_delay_alu instid0(VALU_DEP_4)
	v_pk_fma_f16 v17, v4, v9, v17
	v_pk_fma_f16 v8, v5, v8, v19
	v_pk_fma_f16 v9, v5, v9, v13
	v_pk_fma_f16 v5, v5, v23, v14
	v_dual_lshrrev_b32 v13, 16, v10 :: v_dual_lshrrev_b32 v14, 16, v11
	v_and_b32_e32 v10, 0xffff, v10
	v_and_b32_e32 v11, 0xffff, v11
	v_pk_fma_f16 v4, v4, v23, v18
	s_delay_alu instid0(VALU_DEP_4) | instskip(SKIP_3) | instid1(VALU_DEP_4)
	v_mul_u32_u24_e32 v13, 0x10001, v13
	v_mul_u32_u24_e32 v14, 0x10001, v14
	v_mul_u32_u24_e32 v10, 0x10001, v10
	v_mul_u32_u24_e32 v11, 0x10001, v11
	v_pk_fma_f16 v16, v6, v13, v16
	s_delay_alu instid0(VALU_DEP_4) | instskip(NEXT) | instid1(VALU_DEP_4)
	v_pk_fma_f16 v18, v6, v14, v4
	v_pk_fma_f16 v15, v6, v10, v15
	s_delay_alu instid0(VALU_DEP_4)
	v_pk_fma_f16 v17, v6, v11, v17
	v_pk_fma_f16 v19, v7, v10, v8
	v_pk_fma_f16 v12, v7, v13, v12
	v_pk_fma_f16 v13, v7, v11, v9
	v_pk_fma_f16 v14, v7, v14, v5
	ds_load_2addr_b64 v[4:7], v21 offset0:64 offset1:96
	ds_load_b128 v[8:11], v78 offset:19344
	s_wait_dscnt 0x0
	v_dual_lshrrev_b32 v22, 16, v8 :: v_dual_lshrrev_b32 v23, 16, v9
	v_and_b32_e32 v8, 0xffff, v8
	v_and_b32_e32 v9, 0xffff, v9
	s_delay_alu instid0(VALU_DEP_3) | instskip(NEXT) | instid1(VALU_DEP_4)
	v_mul_u32_u24_e32 v22, 0x10001, v22
	v_mul_u32_u24_e32 v23, 0x10001, v23
	s_delay_alu instid0(VALU_DEP_4) | instskip(NEXT) | instid1(VALU_DEP_4)
	v_mul_u32_u24_e32 v8, 0x10001, v8
	v_mul_u32_u24_e32 v9, 0x10001, v9
	s_delay_alu instid0(VALU_DEP_4) | instskip(SKIP_1) | instid1(VALU_DEP_4)
	v_pk_fma_f16 v12, v5, v22, v12
	v_pk_fma_f16 v16, v4, v22, v16
	v_pk_fma_f16 v15, v4, v8, v15
	s_delay_alu instid0(VALU_DEP_4)
	v_pk_fma_f16 v17, v4, v9, v17
	v_pk_fma_f16 v8, v5, v8, v19
	v_pk_fma_f16 v9, v5, v9, v13
	v_pk_fma_f16 v5, v5, v23, v14
	v_dual_lshrrev_b32 v13, 16, v10 :: v_dual_lshrrev_b32 v14, 16, v11
	v_and_b32_e32 v10, 0xffff, v10
	v_and_b32_e32 v11, 0xffff, v11
	v_pk_fma_f16 v4, v4, v23, v18
	s_delay_alu instid0(VALU_DEP_4) | instskip(SKIP_3) | instid1(VALU_DEP_4)
	v_mul_u32_u24_e32 v13, 0x10001, v13
	v_mul_u32_u24_e32 v14, 0x10001, v14
	v_mul_u32_u24_e32 v10, 0x10001, v10
	v_mul_u32_u24_e32 v11, 0x10001, v11
	v_pk_fma_f16 v16, v6, v13, v16
	s_delay_alu instid0(VALU_DEP_4) | instskip(NEXT) | instid1(VALU_DEP_4)
	v_pk_fma_f16 v18, v6, v14, v4
	v_pk_fma_f16 v15, v6, v10, v15
	s_delay_alu instid0(VALU_DEP_4)
	v_pk_fma_f16 v17, v6, v11, v17
	v_pk_fma_f16 v19, v7, v10, v8
	v_pk_fma_f16 v12, v7, v13, v12
	v_pk_fma_f16 v13, v7, v11, v9
	v_pk_fma_f16 v14, v7, v14, v5
	ds_load_2addr_b64 v[4:7], v21 offset0:128 offset1:160
	;; [unrolled: 40-line block ×3, first 2 shown]
	ds_load_b128 v[8:11], v78 offset:19376
	s_wait_dscnt 0x0
	v_dual_lshrrev_b32 v21, 16, v8 :: v_dual_lshrrev_b32 v22, 16, v9
	v_and_b32_e32 v8, 0xffff, v8
	v_and_b32_e32 v9, 0xffff, v9
	s_delay_alu instid0(VALU_DEP_3) | instskip(NEXT) | instid1(VALU_DEP_4)
	v_mul_u32_u24_e32 v21, 0x10001, v21
	v_mul_u32_u24_e32 v22, 0x10001, v22
	s_delay_alu instid0(VALU_DEP_4) | instskip(NEXT) | instid1(VALU_DEP_4)
	v_mul_u32_u24_e32 v8, 0x10001, v8
	v_mul_u32_u24_e32 v9, 0x10001, v9
	s_delay_alu instid0(VALU_DEP_4) | instskip(SKIP_1) | instid1(VALU_DEP_4)
	v_pk_fma_f16 v12, v5, v21, v12
	v_pk_fma_f16 v16, v4, v21, v16
	;; [unrolled: 1-line block ×3, first 2 shown]
	s_delay_alu instid0(VALU_DEP_4)
	v_pk_fma_f16 v17, v4, v9, v17
	v_pk_fma_f16 v8, v5, v8, v19
	;; [unrolled: 1-line block ×4, first 2 shown]
	v_dual_lshrrev_b32 v13, 16, v10 :: v_dual_lshrrev_b32 v14, 16, v11
	v_and_b32_e32 v10, 0xffff, v10
	v_and_b32_e32 v11, 0xffff, v11
	v_pk_fma_f16 v4, v4, v22, v18
	s_delay_alu instid0(VALU_DEP_4) | instskip(SKIP_3) | instid1(VALU_DEP_4)
	v_mul_u32_u24_e32 v13, 0x10001, v13
	v_mul_u32_u24_e32 v14, 0x10001, v14
	;; [unrolled: 1-line block ×4, first 2 shown]
	v_pk_fma_f16 v16, v6, v13, v16
	s_delay_alu instid0(VALU_DEP_4) | instskip(NEXT) | instid1(VALU_DEP_4)
	v_pk_fma_f16 v18, v6, v14, v4
	v_pk_fma_f16 v15, v6, v10, v15
	s_delay_alu instid0(VALU_DEP_4)
	v_pk_fma_f16 v17, v6, v11, v17
	v_pk_fma_f16 v19, v7, v10, v8
	;; [unrolled: 1-line block ×5, first 2 shown]
	ds_load_2addr_b64 v[4:7], v20 offset1:32
	ds_load_b128 v[8:11], v78 offset:19392
	s_wait_dscnt 0x0
	v_dual_lshrrev_b32 v21, 16, v8 :: v_dual_lshrrev_b32 v22, 16, v9
	v_and_b32_e32 v8, 0xffff, v8
	v_and_b32_e32 v9, 0xffff, v9
	s_delay_alu instid0(VALU_DEP_3) | instskip(NEXT) | instid1(VALU_DEP_4)
	v_mul_u32_u24_e32 v21, 0x10001, v21
	v_mul_u32_u24_e32 v22, 0x10001, v22
	s_delay_alu instid0(VALU_DEP_4) | instskip(NEXT) | instid1(VALU_DEP_4)
	v_mul_u32_u24_e32 v8, 0x10001, v8
	v_mul_u32_u24_e32 v9, 0x10001, v9
	s_delay_alu instid0(VALU_DEP_4) | instskip(SKIP_1) | instid1(VALU_DEP_4)
	v_pk_fma_f16 v12, v5, v21, v12
	v_pk_fma_f16 v16, v4, v21, v16
	v_pk_fma_f16 v15, v4, v8, v15
	s_delay_alu instid0(VALU_DEP_4)
	v_pk_fma_f16 v17, v4, v9, v17
	v_pk_fma_f16 v8, v5, v8, v19
	v_pk_fma_f16 v9, v5, v9, v13
	v_pk_fma_f16 v5, v5, v22, v14
	v_dual_lshrrev_b32 v13, 16, v10 :: v_dual_lshrrev_b32 v14, 16, v11
	v_and_b32_e32 v10, 0xffff, v10
	v_and_b32_e32 v11, 0xffff, v11
	v_pk_fma_f16 v4, v4, v22, v18
	s_delay_alu instid0(VALU_DEP_4) | instskip(SKIP_3) | instid1(VALU_DEP_4)
	v_mul_u32_u24_e32 v13, 0x10001, v13
	v_mul_u32_u24_e32 v14, 0x10001, v14
	v_mul_u32_u24_e32 v10, 0x10001, v10
	v_mul_u32_u24_e32 v11, 0x10001, v11
	v_pk_fma_f16 v16, v6, v13, v16
	s_delay_alu instid0(VALU_DEP_4) | instskip(NEXT) | instid1(VALU_DEP_4)
	v_pk_fma_f16 v18, v6, v14, v4
	v_pk_fma_f16 v15, v6, v10, v15
	s_delay_alu instid0(VALU_DEP_4)
	v_pk_fma_f16 v17, v6, v11, v17
	v_pk_fma_f16 v19, v7, v10, v8
	v_pk_fma_f16 v12, v7, v13, v12
	v_pk_fma_f16 v13, v7, v11, v9
	v_pk_fma_f16 v14, v7, v14, v5
	ds_load_2addr_b64 v[4:7], v20 offset0:64 offset1:96
	ds_load_b128 v[8:11], v78 offset:19408
	s_wait_dscnt 0x0
	v_dual_lshrrev_b32 v21, 16, v8 :: v_dual_lshrrev_b32 v22, 16, v9
	v_and_b32_e32 v8, 0xffff, v8
	v_and_b32_e32 v9, 0xffff, v9
	s_delay_alu instid0(VALU_DEP_3) | instskip(NEXT) | instid1(VALU_DEP_4)
	v_mul_u32_u24_e32 v21, 0x10001, v21
	v_mul_u32_u24_e32 v22, 0x10001, v22
	s_delay_alu instid0(VALU_DEP_4) | instskip(NEXT) | instid1(VALU_DEP_4)
	v_mul_u32_u24_e32 v8, 0x10001, v8
	v_mul_u32_u24_e32 v9, 0x10001, v9
	s_delay_alu instid0(VALU_DEP_4) | instskip(SKIP_1) | instid1(VALU_DEP_4)
	v_pk_fma_f16 v12, v5, v21, v12
	v_pk_fma_f16 v16, v4, v21, v16
	v_pk_fma_f16 v15, v4, v8, v15
	s_delay_alu instid0(VALU_DEP_4)
	v_pk_fma_f16 v17, v4, v9, v17
	v_pk_fma_f16 v8, v5, v8, v19
	v_pk_fma_f16 v9, v5, v9, v13
	v_pk_fma_f16 v5, v5, v22, v14
	v_dual_lshrrev_b32 v13, 16, v10 :: v_dual_lshrrev_b32 v14, 16, v11
	v_and_b32_e32 v10, 0xffff, v10
	v_and_b32_e32 v11, 0xffff, v11
	v_pk_fma_f16 v4, v4, v22, v18
	s_delay_alu instid0(VALU_DEP_4) | instskip(SKIP_3) | instid1(VALU_DEP_4)
	v_mul_u32_u24_e32 v13, 0x10001, v13
	v_mul_u32_u24_e32 v14, 0x10001, v14
	v_mul_u32_u24_e32 v10, 0x10001, v10
	v_mul_u32_u24_e32 v11, 0x10001, v11
	v_pk_fma_f16 v16, v6, v13, v16
	s_delay_alu instid0(VALU_DEP_4) | instskip(NEXT) | instid1(VALU_DEP_4)
	v_pk_fma_f16 v18, v6, v14, v4
	v_pk_fma_f16 v15, v6, v10, v15
	s_delay_alu instid0(VALU_DEP_4)
	v_pk_fma_f16 v17, v6, v11, v17
	v_pk_fma_f16 v19, v7, v10, v8
	v_pk_fma_f16 v12, v7, v13, v12
	v_pk_fma_f16 v13, v7, v11, v9
	v_pk_fma_f16 v14, v7, v14, v5
	ds_load_2addr_b64 v[4:7], v20 offset0:128 offset1:160
	;; [unrolled: 40-line block ×3, first 2 shown]
	ds_load_b128 v[8:11], v78 offset:19440
	s_wait_dscnt 0x0
	s_barrier_signal -1
	s_barrier_wait -1
	v_dual_lshrrev_b32 v20, 16, v8 :: v_dual_lshrrev_b32 v21, 16, v9
	v_and_b32_e32 v8, 0xffff, v8
	v_and_b32_e32 v9, 0xffff, v9
	s_delay_alu instid0(VALU_DEP_3) | instskip(NEXT) | instid1(VALU_DEP_4)
	v_mul_u32_u24_e32 v20, 0x10001, v20
	v_mul_u32_u24_e32 v21, 0x10001, v21
	s_delay_alu instid0(VALU_DEP_4) | instskip(NEXT) | instid1(VALU_DEP_4)
	v_mul_u32_u24_e32 v8, 0x10001, v8
	v_mul_u32_u24_e32 v9, 0x10001, v9
	s_delay_alu instid0(VALU_DEP_4) | instskip(SKIP_1) | instid1(VALU_DEP_4)
	v_pk_fma_f16 v12, v5, v20, v12
	v_pk_fma_f16 v16, v4, v20, v16
	;; [unrolled: 1-line block ×3, first 2 shown]
	s_delay_alu instid0(VALU_DEP_4)
	v_pk_fma_f16 v17, v4, v9, v17
	v_pk_fma_f16 v8, v5, v8, v19
	;; [unrolled: 1-line block ×4, first 2 shown]
	v_dual_lshrrev_b32 v13, 16, v10 :: v_dual_lshrrev_b32 v14, 16, v11
	v_and_b32_e32 v11, 0xffff, v11
	v_and_b32_e32 v10, 0xffff, v10
	v_pk_fma_f16 v4, v4, v21, v18
	s_delay_alu instid0(VALU_DEP_4)
	v_mul_u32_u24_e32 v13, 0x10001, v13
	v_mul_u32_u24_e32 v14, 0x10001, v14
	;; [unrolled: 1-line block ×4, first 2 shown]
	v_mov_b64_e32 v[20:21], v[24:25]
	v_pk_fma_f16 v85, v6, v13, v16
	v_mov_b64_e32 v[22:23], v[26:27]
	v_pk_fma_f16 v84, v6, v11, v17
	v_mov_b64_e32 v[18:19], v[2:3]
	v_mov_b64_e32 v[16:17], v[0:1]
	v_pk_fma_f16 v86, v6, v10, v15
	v_pk_fma_f16 v98, v6, v14, v4
	;; [unrolled: 1-line block ×6, first 2 shown]
.LBB87_257:
	v_cmp_lt_i32_e32 vcc_lo, v35, v30
	s_cmp_eq_u64 s[12:13], 0
	s_cselect_b32 s2, -1, 0
	s_cmp_lg_u32 s20, 0
	v_cndmask_b32_e32 v0, v77, v35, vcc_lo
	v_cmp_lt_i32_e32 vcc_lo, v34, v30
	s_cselect_b32 s3, -1, 0
	s_delay_alu instid0(SALU_CYCLE_1) | instskip(SKIP_3) | instid1(VALU_DEP_3)
	s_or_b32 s2, s3, s2
	v_cndmask_b32_e32 v4, v77, v34, vcc_lo
	v_cmp_lt_i32_e32 vcc_lo, v33, v30
	v_lshlrev_b32_e32 v3, 2, v0
	v_dual_cndmask_b32 v8, v77, v33 :: v_dual_lshlrev_b32 v7, 2, v4
	ds_bpermute_b32 v0, v3, v16
	ds_bpermute_b32 v1, v3, v17
	;; [unrolled: 1-line block ×4, first 2 shown]
	v_lshlrev_b32_e32 v8, 2, v8
	v_cmp_lt_i32_e32 vcc_lo, v32, v30
	s_wait_dscnt 0x2
	v_pk_add_f32 v[0:1], v[16:17], v[0:1]
	s_wait_dscnt 0x0
	v_pk_add_f32 v[2:3], v[18:19], v[2:3]
	ds_bpermute_b32 v4, v7, v0
	ds_bpermute_b32 v5, v7, v1
	;; [unrolled: 1-line block ×4, first 2 shown]
	s_wait_dscnt 0x2
	v_pk_add_f32 v[0:1], v[0:1], v[4:5]
	s_wait_dscnt 0x0
	v_pk_add_f32 v[2:3], v[2:3], v[6:7]
	ds_bpermute_b32 v4, v8, v0
	ds_bpermute_b32 v5, v8, v1
	;; [unrolled: 1-line block ×4, first 2 shown]
	v_cndmask_b32_e32 v8, v77, v32, vcc_lo
	v_cmp_lt_i32_e32 vcc_lo, v31, v30
	s_delay_alu instid0(VALU_DEP_2)
	v_lshlrev_b32_e32 v8, 2, v8
	s_wait_dscnt 0x2
	v_pk_add_f32 v[0:1], v[0:1], v[4:5]
	s_wait_dscnt 0x0
	v_pk_add_f32 v[2:3], v[2:3], v[6:7]
	ds_bpermute_b32 v4, v8, v0
	ds_bpermute_b32 v5, v8, v1
	;; [unrolled: 1-line block ×4, first 2 shown]
	v_cndmask_b32_e32 v8, v77, v31, vcc_lo
	s_and_b32 vcc_lo, exec_lo, s2
	s_delay_alu instid0(VALU_DEP_1)
	v_lshlrev_b32_e32 v8, 2, v8
	s_wait_dscnt 0x2
	v_pk_add_f32 v[0:1], v[0:1], v[4:5]
	s_wait_dscnt 0x0
	v_pk_add_f32 v[4:5], v[2:3], v[6:7]
	ds_bpermute_b32 v2, v8, v0
	ds_bpermute_b32 v3, v8, v1
	;; [unrolled: 1-line block ×4, first 2 shown]
	s_wait_dscnt 0x2
	v_pk_add_f32 v[2:3], v[0:1], v[2:3]
	s_wait_dscnt 0x0
	v_pk_add_f32 v[0:1], v[4:5], v[6:7]
	s_cbranch_vccnz .LBB87_259
; %bb.258:
	v_dual_mov_b32 v4, s33 :: v_dual_max_num_f32 v6, v22, v22
	v_dual_max_num_f32 v9, v23, v23 :: v_dual_max_num_f32 v5, v21, v21
	global_load_b32 v8, v4, s[12:13] scale_offset
	s_wait_xcnt 0x0
	v_max_num_f32_e32 v4, v20, v20
	s_wait_loadcnt 0x0
	v_max_num_f32_e32 v7, v8, v8
	s_delay_alu instid0(VALU_DEP_1) | instskip(SKIP_1) | instid1(VALU_DEP_2)
	v_dual_max_num_f32 v4, v4, v7 :: v_dual_max_num_f32 v5, v5, v7
	v_dual_max_num_f32 v6, v6, v7 :: v_dual_max_num_f32 v7, v9, v7
	v_dual_sub_f32 v9, v20, v4 :: v_dual_sub_f32 v11, v21, v5
	v_dual_sub_f32 v10, v8, v4 :: v_dual_sub_f32 v12, v8, v5
	s_delay_alu instid0(VALU_DEP_3) | instskip(NEXT) | instid1(VALU_DEP_4)
	v_dual_sub_f32 v13, v22, v6 :: v_dual_sub_f32 v14, v8, v6
	v_dual_sub_f32 v15, v23, v7 :: v_dual_sub_f32 v16, v8, v7
	s_delay_alu instid0(VALU_DEP_3) | instskip(NEXT) | instid1(VALU_DEP_4)
	v_dual_mul_f32 v8, 0x3fb8aa3b, v9 :: v_dual_mul_f32 v17, 0x3fb8aa3b, v10
	v_dual_mul_f32 v18, 0x3fb8aa3b, v11 :: v_dual_mul_f32 v19, 0x3fb8aa3b, v12
	s_delay_alu instid0(VALU_DEP_4) | instskip(NEXT) | instid1(VALU_DEP_4)
	v_dual_mul_f32 v20, 0x3fb8aa3b, v13 :: v_dual_mul_f32 v21, 0x3fb8aa3b, v14
	v_dual_mul_f32 v22, 0x3fb8aa3b, v15 :: v_dual_mul_f32 v23, 0x3fb8aa3b, v16
	s_delay_alu instid0(VALU_DEP_4)
	v_fma_f32 v24, 0x3fb8aa3b, v9, -v8
	v_rndne_f32_e32 v25, v8
	v_fma_f32 v26, 0x3fb8aa3b, v10, -v17
	v_rndne_f32_e32 v27, v17
	v_rndne_f32_e32 v29, v18
	v_fma_f32 v30, 0x3fb8aa3b, v12, -v19
	v_rndne_f32_e32 v31, v19
	v_rndne_f32_e32 v33, v20
	v_rndne_f32_e32 v35, v21
	v_fma_f32 v37, 0x3fb8aa3b, v15, -v22
	v_rndne_f32_e32 v38, v22
	v_dual_fmac_f32 v24, 0x32a5705f, v9 :: v_dual_sub_f32 v17, v17, v27
	v_dual_sub_f32 v8, v8, v25 :: v_dual_sub_f32 v19, v19, v31
	v_fma_f32 v28, 0x3fb8aa3b, v11, -v18
	v_fma_f32 v32, 0x3fb8aa3b, v13, -v20
	;; [unrolled: 1-line block ×3, first 2 shown]
	v_dual_fmac_f32 v26, 0x32a5705f, v10 :: v_dual_sub_f32 v21, v21, v35
	v_dual_sub_f32 v18, v18, v29 :: v_dual_fmac_f32 v37, 0x32a5705f, v15
	s_delay_alu instid0(VALU_DEP_2) | instskip(SKIP_2) | instid1(VALU_DEP_3)
	v_dual_fmac_f32 v30, 0x32a5705f, v12 :: v_dual_add_f32 v17, v17, v26
	v_dual_sub_f32 v20, v20, v33 :: v_dual_sub_f32 v22, v22, v38
	v_add_f32_e32 v8, v8, v24
	v_dual_fmac_f32 v32, 0x32a5705f, v13 :: v_dual_add_f32 v19, v19, v30
	v_cvt_i32_f32_e32 v25, v25
	s_delay_alu instid0(VALU_DEP_4) | instskip(NEXT) | instid1(VALU_DEP_4)
	v_add_f32_e32 v22, v22, v37
	v_exp_f32_e32 v8, v8
	v_exp_f32_e32 v17, v17
	;; [unrolled: 1-line block ×3, first 2 shown]
	v_rndne_f32_e32 v41, v23
	v_cvt_i32_f32_e32 v27, v27
	v_fmac_f32_e32 v28, 0x32a5705f, v11
	v_cvt_i32_f32_e32 v31, v31
	v_ldexp_f32 v8, v8, v25
	v_cmp_ngt_f32_e32 vcc_lo, 0xc2ce8ed0, v9
	v_fma_f32 v40, 0x3fb8aa3b, v16, -v23
	v_sub_f32_e32 v23, v23, v41
	v_ldexp_f32 v17, v17, v27
	v_ldexp_f32 v19, v19, v31
	v_cndmask_b32_e32 v8, 0, v8, vcc_lo
	v_cmp_ngt_f32_e32 vcc_lo, 0xc2ce8ed0, v10
	v_add_f32_e32 v18, v18, v28
	v_cvt_i32_f32_e32 v29, v29
	v_fmac_f32_e32 v40, 0x32a5705f, v16
	v_dual_fmac_f32 v34, 0x32a5705f, v14 :: v_dual_cndmask_b32 v17, 0, v17
	s_delay_alu instid0(VALU_DEP_4) | instskip(SKIP_1) | instid1(VALU_DEP_2)
	v_exp_f32_e32 v18, v18
	v_cmp_ngt_f32_e32 vcc_lo, 0xc2ce8ed0, v11
	v_dual_add_f32 v23, v23, v40 :: v_dual_add_f32 v21, v21, v34
	v_cvt_i32_f32_e32 v33, v33
	v_cvt_i32_f32_e32 v35, v35
	v_exp_f32_e32 v22, v22
	s_delay_alu instid0(TRANS32_DEP_2)
	v_ldexp_f32 v18, v18, v29
	v_add_f32_e32 v20, v20, v32
	v_exp_f32_e32 v21, v21
	v_cvt_i32_f32_e32 v38, v38
	v_exp_f32_e32 v23, v23
	v_cndmask_b32_e32 v18, 0, v18, vcc_lo
	v_exp_f32_e32 v20, v20
	v_cmp_ngt_f32_e32 vcc_lo, 0xc2ce8ed0, v12
	v_cvt_i32_f32_e32 v41, v41
	v_ldexp_f32 v21, v21, v35
	v_ldexp_f32 v22, v22, v38
	v_cndmask_b32_e32 v19, 0, v19, vcc_lo
	s_delay_alu instid0(TRANS32_DEP_1) | instskip(SKIP_2) | instid1(VALU_DEP_3)
	v_ldexp_f32 v20, v20, v33
	v_cmp_ngt_f32_e32 vcc_lo, 0xc2ce8ed0, v13
	v_ldexp_f32 v23, v23, v41
	v_cndmask_b32_e32 v20, 0, v20, vcc_lo
	v_cmp_ngt_f32_e32 vcc_lo, 0xc2ce8ed0, v14
	v_cndmask_b32_e32 v21, 0, v21, vcc_lo
	v_cmp_ngt_f32_e32 vcc_lo, 0xc2ce8ed0, v15
	;; [unrolled: 2-line block ×3, first 2 shown]
	v_cndmask_b32_e32 v23, 0, v23, vcc_lo
	v_cmp_nlt_f32_e32 vcc_lo, 0x42b17218, v9
	v_cndmask_b32_e32 v8, 0x7f800000, v8, vcc_lo
	v_cmp_nlt_f32_e32 vcc_lo, 0x42b17218, v10
	;; [unrolled: 2-line block ×3, first 2 shown]
	s_delay_alu instid0(VALU_DEP_4) | instskip(SKIP_2) | instid1(VALU_DEP_3)
	v_cvt_f16_f32_e32 v17, v8
	v_cndmask_b32_e32 v9, 0x7f800000, v18, vcc_lo
	v_cmp_nlt_f32_e32 vcc_lo, 0x42b17218, v12
	v_and_b32_e32 v17, 0xffff, v17
	v_cndmask_b32_e32 v11, 0x7f800000, v19, vcc_lo
	v_cmp_nlt_f32_e32 vcc_lo, 0x42b17218, v13
	s_delay_alu instid0(VALU_DEP_2) | instskip(SKIP_3) | instid1(VALU_DEP_3)
	v_pk_fma_f32 v[2:3], v[2:3], v[8:9], v[10:11]
	v_cndmask_b32_e32 v12, 0x7f800000, v20, vcc_lo
	v_cmp_nlt_f32_e32 vcc_lo, 0x42b17218, v14
	v_mul_u32_u24_e32 v11, 0x10001, v17
	v_cvt_f16_f32_e32 v18, v12
	v_cndmask_b32_e32 v14, 0x7f800000, v21, vcc_lo
	v_cmp_nlt_f32_e32 vcc_lo, 0x42b17218, v15
	s_delay_alu instid0(VALU_DEP_4)
	v_pk_mul_f16 v86, v86, v11
	v_pk_mul_f16 v102, v102, v11
	v_cndmask_b32_e32 v13, 0x7f800000, v22, vcc_lo
	v_cmp_nlt_f32_e32 vcc_lo, 0x42b17218, v16
	v_cvt_f16_f32_e32 v16, v9
	v_and_b32_e32 v9, 0xffff, v18
	s_delay_alu instid0(VALU_DEP_4) | instskip(SKIP_1) | instid1(VALU_DEP_4)
	v_cvt_f16_f32_e32 v19, v13
	v_cndmask_b32_e32 v15, 0x7f800000, v23, vcc_lo
	v_and_b32_e32 v8, 0xffff, v16
	s_delay_alu instid0(VALU_DEP_4)
	v_mul_u32_u24_e32 v9, 0x10001, v9
	v_mov_b64_e32 v[22:23], v[6:7]
	v_and_b32_e32 v10, 0xffff, v19
	v_mov_b64_e32 v[20:21], v[4:5]
	v_mul_u32_u24_e32 v8, 0x10001, v8
	v_pk_fma_f32 v[0:1], v[0:1], v[12:13], v[14:15]
	v_pk_mul_f16 v84, v84, v9
	v_mul_u32_u24_e32 v10, 0x10001, v10
	v_pk_mul_f16 v100, v100, v9
	v_pk_mul_f16 v85, v85, v8
	;; [unrolled: 1-line block ×3, first 2 shown]
	s_delay_alu instid0(VALU_DEP_4)
	v_pk_mul_f16 v98, v98, v10
	v_pk_mul_f16 v99, v99, v10
.LBB87_259:
	s_mov_b32 s2, exec_lo
	v_cmpx_gt_i32_e64 s22, v76
	s_cbranch_execz .LBB87_279
; %bb.260:
	s_load_b32 s0, s[0:1], 0xd4
	v_mov_b32_e32 v4, 1.0
	s_wait_kmcnt 0x0
	s_cmp_lg_u32 s0, 1
	s_cselect_b32 s2, -1, 0
	s_cmp_eq_u32 s0, 1
	s_cselect_b32 s3, -1, 0
	s_and_b32 vcc_lo, exec_lo, s2
	s_cbranch_vccnz .LBB87_262
; %bb.261:
	v_div_scale_f32 v4, null, v2, v2, 1.0
	s_delay_alu instid0(VALU_DEP_1) | instskip(SKIP_1) | instid1(TRANS32_DEP_1)
	v_rcp_f32_e32 v5, v4
	v_nop
	v_fma_f32 v6, -v4, v5, 1.0
	s_delay_alu instid0(VALU_DEP_1) | instskip(SKIP_1) | instid1(VALU_DEP_1)
	v_fmac_f32_e32 v5, v6, v5
	v_div_scale_f32 v6, vcc_lo, 1.0, v2, 1.0
	v_mul_f32_e32 v7, v6, v5
	s_delay_alu instid0(VALU_DEP_1) | instskip(NEXT) | instid1(VALU_DEP_1)
	v_fma_f32 v8, -v4, v7, v6
	v_fmac_f32_e32 v7, v8, v5
	s_delay_alu instid0(VALU_DEP_1) | instskip(NEXT) | instid1(VALU_DEP_1)
	v_fma_f32 v4, -v4, v7, v6
	v_div_fmas_f32 v4, v4, v5, v7
	s_delay_alu instid0(VALU_DEP_1)
	v_div_fixup_f32 v4, v4, v2, 1.0
.LBB87_262:
	s_mul_i32 s1, s34, s22
	v_dual_mov_b32 v9, 0 :: v_dual_lshrrev_b32 v11, 16, v102
	s_add_co_i32 s1, s1, s42
	s_delay_alu instid0(SALU_CYCLE_1) | instskip(SKIP_3) | instid1(VALU_DEP_4)
	v_dual_lshrrev_b32 v7, 16, v86 :: v_dual_add_nc_u32 v5, s1, v75
	v_cvt_f32_f16_e32 v6, v86
	v_cvt_f32_f16_e32 v10, v102
	;; [unrolled: 1-line block ×4, first 2 shown]
	v_mad_u32 v5, v5, s23, s33
	v_cmp_eq_u32_e32 vcc_lo, 0, v36
	s_and_b32 s2, vcc_lo, s2
	s_delay_alu instid0(VALU_DEP_2) | instskip(NEXT) | instid1(VALU_DEP_1)
	v_mad_u32 v5, s0, v5, s20
	v_lshl_add_u32 v8, v5, 7, v47
	v_pk_mul_f32 v[6:7], v[4:5], v[6:7] op_sel_hi:[0,1]
	s_delay_alu instid0(VALU_DEP_2)
	v_lshl_add_u64 v[12:13], v[8:9], 2, s[16:17]
	v_pk_mul_f32 v[8:9], v[4:5], v[10:11] op_sel_hi:[0,1]
	global_store_b128 v[12:13], v[6:9], off
	s_wait_xcnt 0x0
	s_and_saveexec_b32 s4, s2
	s_cbranch_execz .LBB87_264
; %bb.263:
	v_dual_mov_b32 v6, v20 :: v_dual_mov_b32 v7, v2
	global_store_b64 v5, v[6:7], s[18:19] scale_offset
.LBB87_264:
	s_wait_xcnt 0x0
	s_or_b32 exec_lo, exec_lo, s4
	v_cmp_gt_i32_e32 vcc_lo, s22, v74
	s_and_b32 exec_lo, exec_lo, vcc_lo
	s_cbranch_execz .LBB87_279
; %bb.265:
	v_cndmask_b32_e64 v4, 0, 1, s3
	v_mov_b32_e32 v2, 1.0
	s_and_not1_b32 vcc_lo, exec_lo, s3
	s_cbranch_vccnz .LBB87_267
; %bb.266:
	v_div_scale_f32 v2, null, v3, v3, 1.0
	s_delay_alu instid0(VALU_DEP_1) | instskip(SKIP_1) | instid1(TRANS32_DEP_1)
	v_rcp_f32_e32 v5, v2
	v_nop
	v_fma_f32 v6, -v2, v5, 1.0
	s_delay_alu instid0(VALU_DEP_1) | instskip(SKIP_1) | instid1(VALU_DEP_1)
	v_fmac_f32_e32 v5, v6, v5
	v_div_scale_f32 v6, vcc_lo, 1.0, v3, 1.0
	v_mul_f32_e32 v7, v6, v5
	s_delay_alu instid0(VALU_DEP_1) | instskip(NEXT) | instid1(VALU_DEP_1)
	v_fma_f32 v8, -v2, v7, v6
	v_fmac_f32_e32 v7, v8, v5
	s_delay_alu instid0(VALU_DEP_1) | instskip(NEXT) | instid1(VALU_DEP_1)
	v_fma_f32 v2, -v2, v7, v6
	v_div_fmas_f32 v2, v2, v5, v7
	s_delay_alu instid0(VALU_DEP_1)
	v_div_fixup_f32 v2, v2, v3, 1.0
.LBB87_267:
	v_dual_add_nc_u32 v5, s1, v73 :: v_dual_mov_b32 v9, 0
	v_lshrrev_b32_e32 v7, 16, v85
	v_lshrrev_b32_e32 v11, 16, v101
	v_cvt_f32_f16_e32 v6, v85
	s_delay_alu instid0(VALU_DEP_4) | instskip(SKIP_3) | instid1(VALU_DEP_2)
	v_mad_u32 v5, v5, s23, s33
	v_cvt_f32_f16_e32 v10, v101
	v_cvt_f32_f16_e32 v7, v7
	;; [unrolled: 1-line block ×3, first 2 shown]
	v_pk_mul_f32 v[6:7], v[2:3], v[6:7] op_sel_hi:[0,1]
	v_mad_u32 v5, s0, v5, s20
	s_delay_alu instid0(VALU_DEP_1) | instskip(NEXT) | instid1(VALU_DEP_1)
	v_lshl_add_u32 v8, v5, 7, v47
	v_lshl_add_u64 v[12:13], v[8:9], 2, s[16:17]
	v_pk_mul_f32 v[8:9], v[2:3], v[10:11] op_sel_hi:[0,1]
	global_store_b128 v[12:13], v[6:9], off
	s_wait_xcnt 0x0
	s_and_saveexec_b32 s3, s2
	s_cbranch_execz .LBB87_269
; %bb.268:
	v_mov_b32_e32 v2, v21
	global_store_b64 v5, v[2:3], s[18:19] scale_offset
.LBB87_269:
	s_wait_xcnt 0x0
	s_or_b32 exec_lo, exec_lo, s3
	v_cmp_gt_i32_e32 vcc_lo, s22, v72
	s_and_b32 exec_lo, exec_lo, vcc_lo
	s_cbranch_execz .LBB87_279
; %bb.270:
	v_cmp_ne_u32_e32 vcc_lo, 1, v4
	v_mov_b32_e32 v2, 1.0
	s_cbranch_vccnz .LBB87_272
; %bb.271:
	v_div_scale_f32 v2, null, v0, v0, 1.0
	s_delay_alu instid0(VALU_DEP_1) | instskip(SKIP_1) | instid1(TRANS32_DEP_1)
	v_rcp_f32_e32 v3, v2
	v_nop
	v_fma_f32 v5, -v2, v3, 1.0
	s_delay_alu instid0(VALU_DEP_1) | instskip(SKIP_1) | instid1(VALU_DEP_1)
	v_fmac_f32_e32 v3, v5, v3
	v_div_scale_f32 v5, vcc_lo, 1.0, v0, 1.0
	v_mul_f32_e32 v6, v5, v3
	s_delay_alu instid0(VALU_DEP_1) | instskip(NEXT) | instid1(VALU_DEP_1)
	v_fma_f32 v7, -v2, v6, v5
	v_fmac_f32_e32 v6, v7, v3
	s_delay_alu instid0(VALU_DEP_1) | instskip(NEXT) | instid1(VALU_DEP_1)
	v_fma_f32 v2, -v2, v6, v5
	v_div_fmas_f32 v2, v2, v3, v6
	s_delay_alu instid0(VALU_DEP_1)
	v_div_fixup_f32 v2, v2, v0, 1.0
.LBB87_272:
	v_dual_add_nc_u32 v3, s1, v71 :: v_dual_lshrrev_b32 v5, 16, v84
	v_dual_mov_b32 v9, 0 :: v_dual_lshrrev_b32 v11, 16, v100
	v_cvt_f32_f16_e32 v6, v84
	s_delay_alu instid0(VALU_DEP_3) | instskip(SKIP_3) | instid1(VALU_DEP_4)
	v_mad_u32 v3, v3, s23, s33
	v_cvt_f32_f16_e32 v10, v100
	v_cvt_f32_f16_e32 v7, v5
	;; [unrolled: 1-line block ×3, first 2 shown]
	v_mad_u32 v3, s0, v3, s20
	s_delay_alu instid0(VALU_DEP_1) | instskip(NEXT) | instid1(VALU_DEP_4)
	v_lshl_add_u32 v8, v3, 7, v47
	v_pk_mul_f32 v[6:7], v[2:3], v[6:7] op_sel_hi:[0,1]
	s_delay_alu instid0(VALU_DEP_2)
	v_lshl_add_u64 v[12:13], v[8:9], 2, s[16:17]
	v_pk_mul_f32 v[8:9], v[2:3], v[10:11] op_sel_hi:[0,1]
	global_store_b128 v[12:13], v[6:9], off
	s_wait_xcnt 0x0
	s_and_saveexec_b32 s3, s2
	s_cbranch_execz .LBB87_274
; %bb.273:
	v_dual_mov_b32 v6, v22 :: v_dual_mov_b32 v7, v0
	global_store_b64 v3, v[6:7], s[18:19] scale_offset
.LBB87_274:
	s_wait_xcnt 0x0
	s_or_b32 exec_lo, exec_lo, s3
	v_cmp_gt_i32_e32 vcc_lo, s22, v70
	s_and_b32 exec_lo, exec_lo, vcc_lo
	s_cbranch_execz .LBB87_279
; %bb.275:
	v_cmp_ne_u32_e32 vcc_lo, 1, v4
	v_mov_b32_e32 v0, 1.0
	s_cbranch_vccnz .LBB87_277
; %bb.276:
	v_div_scale_f32 v0, null, v1, v1, 1.0
	s_delay_alu instid0(VALU_DEP_1) | instskip(SKIP_1) | instid1(TRANS32_DEP_1)
	v_rcp_f32_e32 v2, v0
	v_nop
	v_fma_f32 v3, -v0, v2, 1.0
	s_delay_alu instid0(VALU_DEP_1) | instskip(SKIP_1) | instid1(VALU_DEP_1)
	v_fmac_f32_e32 v2, v3, v2
	v_div_scale_f32 v3, vcc_lo, 1.0, v1, 1.0
	v_mul_f32_e32 v4, v3, v2
	s_delay_alu instid0(VALU_DEP_1) | instskip(NEXT) | instid1(VALU_DEP_1)
	v_fma_f32 v5, -v0, v4, v3
	v_fmac_f32_e32 v4, v5, v2
	s_delay_alu instid0(VALU_DEP_1) | instskip(NEXT) | instid1(VALU_DEP_1)
	v_fma_f32 v0, -v0, v4, v3
	v_div_fmas_f32 v0, v0, v2, v4
	s_delay_alu instid0(VALU_DEP_1)
	v_div_fixup_f32 v0, v0, v1, 1.0
.LBB87_277:
	v_dual_add_nc_u32 v2, s1, v39 :: v_dual_lshrrev_b32 v3, 16, v98
	v_dual_mov_b32 v7, 0 :: v_dual_lshrrev_b32 v9, 16, v99
	v_cvt_f32_f16_e32 v4, v98
	s_delay_alu instid0(VALU_DEP_3) | instskip(SKIP_3) | instid1(VALU_DEP_2)
	v_mad_u32 v2, v2, s23, s33
	v_cvt_f32_f16_e32 v8, v99
	v_cvt_f32_f16_e32 v5, v3
	;; [unrolled: 1-line block ×3, first 2 shown]
	v_pk_mul_f32 v[4:5], v[0:1], v[4:5] op_sel_hi:[0,1]
	v_mad_u32 v2, s0, v2, s20
	s_delay_alu instid0(VALU_DEP_1) | instskip(NEXT) | instid1(VALU_DEP_1)
	v_lshl_add_u32 v6, v2, 7, v47
	v_lshl_add_u64 v[10:11], v[6:7], 2, s[16:17]
	v_pk_mul_f32 v[6:7], v[0:1], v[8:9] op_sel_hi:[0,1]
	global_store_b128 v[10:11], v[4:7], off
	s_wait_xcnt 0x0
	s_and_b32 exec_lo, exec_lo, s2
	s_cbranch_execz .LBB87_279
; %bb.278:
	v_mov_b32_e32 v0, v23
	global_store_b64 v2, v[0:1], s[18:19] scale_offset
.LBB87_279:
	s_sendmsg sendmsg(MSG_DEALLOC_VGPRS)
	s_endpgm
	.section	.rodata,"a",@progbits
	.p2align	6, 0x0
	.amdhsa_kernel _ZL15flash_attn_tileILi128ELi128ELi32ELi1ELb1EEvPKcS1_S1_S1_S1_PKiPfP15HIP_vector_typeIfLj2EEffffjfiS5_IjLj3EEiiiiiiiiiiiliiliiiiil
		.amdhsa_group_segment_fixed_size 34816
		.amdhsa_private_segment_fixed_size 32
		.amdhsa_kernarg_size 464
		.amdhsa_user_sgpr_count 2
		.amdhsa_user_sgpr_dispatch_ptr 0
		.amdhsa_user_sgpr_queue_ptr 0
		.amdhsa_user_sgpr_kernarg_segment_ptr 1
		.amdhsa_user_sgpr_dispatch_id 0
		.amdhsa_user_sgpr_kernarg_preload_length 0
		.amdhsa_user_sgpr_kernarg_preload_offset 0
		.amdhsa_user_sgpr_private_segment_size 0
		.amdhsa_wavefront_size32 1
		.amdhsa_uses_dynamic_stack 0
		.amdhsa_enable_private_segment 1
		.amdhsa_system_sgpr_workgroup_id_x 1
		.amdhsa_system_sgpr_workgroup_id_y 1
		.amdhsa_system_sgpr_workgroup_id_z 1
		.amdhsa_system_sgpr_workgroup_info 0
		.amdhsa_system_vgpr_workitem_id 1
		.amdhsa_next_free_vgpr 132
		.amdhsa_next_free_sgpr 48
		.amdhsa_named_barrier_count 0
		.amdhsa_reserve_vcc 1
		.amdhsa_float_round_mode_32 0
		.amdhsa_float_round_mode_16_64 0
		.amdhsa_float_denorm_mode_32 3
		.amdhsa_float_denorm_mode_16_64 3
		.amdhsa_fp16_overflow 0
		.amdhsa_memory_ordered 1
		.amdhsa_forward_progress 1
		.amdhsa_inst_pref_size 255
		.amdhsa_round_robin_scheduling 0
		.amdhsa_exception_fp_ieee_invalid_op 0
		.amdhsa_exception_fp_denorm_src 0
		.amdhsa_exception_fp_ieee_div_zero 0
		.amdhsa_exception_fp_ieee_overflow 0
		.amdhsa_exception_fp_ieee_underflow 0
		.amdhsa_exception_fp_ieee_inexact 0
		.amdhsa_exception_int_div_zero 0
	.end_amdhsa_kernel
	.section	.text._ZL15flash_attn_tileILi128ELi128ELi32ELi1ELb1EEvPKcS1_S1_S1_S1_PKiPfP15HIP_vector_typeIfLj2EEffffjfiS5_IjLj3EEiiiiiiiiiiiliiliiiiil,"axG",@progbits,_ZL15flash_attn_tileILi128ELi128ELi32ELi1ELb1EEvPKcS1_S1_S1_S1_PKiPfP15HIP_vector_typeIfLj2EEffffjfiS5_IjLj3EEiiiiiiiiiiiliiliiiiil,comdat
.Lfunc_end87:
	.size	_ZL15flash_attn_tileILi128ELi128ELi32ELi1ELb1EEvPKcS1_S1_S1_S1_PKiPfP15HIP_vector_typeIfLj2EEffffjfiS5_IjLj3EEiiiiiiiiiiiliiliiiiil, .Lfunc_end87-_ZL15flash_attn_tileILi128ELi128ELi32ELi1ELb1EEvPKcS1_S1_S1_S1_PKiPfP15HIP_vector_typeIfLj2EEffffjfiS5_IjLj3EEiiiiiiiiiiiliiliiiiil
                                        ; -- End function
	.set _ZL15flash_attn_tileILi128ELi128ELi32ELi1ELb1EEvPKcS1_S1_S1_S1_PKiPfP15HIP_vector_typeIfLj2EEffffjfiS5_IjLj3EEiiiiiiiiiiiliiliiiiil.num_vgpr, 132
	.set _ZL15flash_attn_tileILi128ELi128ELi32ELi1ELb1EEvPKcS1_S1_S1_S1_PKiPfP15HIP_vector_typeIfLj2EEffffjfiS5_IjLj3EEiiiiiiiiiiiliiliiiiil.num_agpr, 0
	.set _ZL15flash_attn_tileILi128ELi128ELi32ELi1ELb1EEvPKcS1_S1_S1_S1_PKiPfP15HIP_vector_typeIfLj2EEffffjfiS5_IjLj3EEiiiiiiiiiiiliiliiiiil.numbered_sgpr, 48
	.set _ZL15flash_attn_tileILi128ELi128ELi32ELi1ELb1EEvPKcS1_S1_S1_S1_PKiPfP15HIP_vector_typeIfLj2EEffffjfiS5_IjLj3EEiiiiiiiiiiiliiliiiiil.num_named_barrier, 0
	.set _ZL15flash_attn_tileILi128ELi128ELi32ELi1ELb1EEvPKcS1_S1_S1_S1_PKiPfP15HIP_vector_typeIfLj2EEffffjfiS5_IjLj3EEiiiiiiiiiiiliiliiiiil.private_seg_size, 32
	.set _ZL15flash_attn_tileILi128ELi128ELi32ELi1ELb1EEvPKcS1_S1_S1_S1_PKiPfP15HIP_vector_typeIfLj2EEffffjfiS5_IjLj3EEiiiiiiiiiiiliiliiiiil.uses_vcc, 1
	.set _ZL15flash_attn_tileILi128ELi128ELi32ELi1ELb1EEvPKcS1_S1_S1_S1_PKiPfP15HIP_vector_typeIfLj2EEffffjfiS5_IjLj3EEiiiiiiiiiiiliiliiiiil.uses_flat_scratch, 1
	.set _ZL15flash_attn_tileILi128ELi128ELi32ELi1ELb1EEvPKcS1_S1_S1_S1_PKiPfP15HIP_vector_typeIfLj2EEffffjfiS5_IjLj3EEiiiiiiiiiiiliiliiiiil.has_dyn_sized_stack, 0
	.set _ZL15flash_attn_tileILi128ELi128ELi32ELi1ELb1EEvPKcS1_S1_S1_S1_PKiPfP15HIP_vector_typeIfLj2EEffffjfiS5_IjLj3EEiiiiiiiiiiiliiliiiiil.has_recursion, 0
	.set _ZL15flash_attn_tileILi128ELi128ELi32ELi1ELb1EEvPKcS1_S1_S1_S1_PKiPfP15HIP_vector_typeIfLj2EEffffjfiS5_IjLj3EEiiiiiiiiiiiliiliiiiil.has_indirect_call, 0
	.section	.AMDGPU.csdata,"",@progbits
; Kernel info:
; codeLenInByte = 68032
; TotalNumSgprs: 50
; NumVgprs: 132
; ScratchSize: 32
; MemoryBound: 0
; FloatMode: 240
; IeeeMode: 1
; LDSByteSize: 34816 bytes/workgroup (compile time only)
; SGPRBlocks: 0
; VGPRBlocks: 8
; NumSGPRsForWavesPerEU: 50
; NumVGPRsForWavesPerEU: 132
; NamedBarCnt: 0
; Occupancy: 7
; WaveLimiterHint : 0
; COMPUTE_PGM_RSRC2:SCRATCH_EN: 1
; COMPUTE_PGM_RSRC2:USER_SGPR: 2
; COMPUTE_PGM_RSRC2:TRAP_HANDLER: 0
; COMPUTE_PGM_RSRC2:TGID_X_EN: 1
; COMPUTE_PGM_RSRC2:TGID_Y_EN: 1
; COMPUTE_PGM_RSRC2:TGID_Z_EN: 1
; COMPUTE_PGM_RSRC2:TIDIG_COMP_CNT: 1
	.section	.text._ZL15flash_attn_tileILi128ELi128ELi16ELi1ELb1EEvPKcS1_S1_S1_S1_PKiPfP15HIP_vector_typeIfLj2EEffffjfiS5_IjLj3EEiiiiiiiiiiiliiliiiiil,"axG",@progbits,_ZL15flash_attn_tileILi128ELi128ELi16ELi1ELb1EEvPKcS1_S1_S1_S1_PKiPfP15HIP_vector_typeIfLj2EEffffjfiS5_IjLj3EEiiiiiiiiiiiliiliiiiil,comdat
	.globl	_ZL15flash_attn_tileILi128ELi128ELi16ELi1ELb1EEvPKcS1_S1_S1_S1_PKiPfP15HIP_vector_typeIfLj2EEffffjfiS5_IjLj3EEiiiiiiiiiiiliiliiiiil ; -- Begin function _ZL15flash_attn_tileILi128ELi128ELi16ELi1ELb1EEvPKcS1_S1_S1_S1_PKiPfP15HIP_vector_typeIfLj2EEffffjfiS5_IjLj3EEiiiiiiiiiiiliiliiiiil
	.p2align	8
	.type	_ZL15flash_attn_tileILi128ELi128ELi16ELi1ELb1EEvPKcS1_S1_S1_S1_PKiPfP15HIP_vector_typeIfLj2EEffffjfiS5_IjLj3EEiiiiiiiiiiiliiliiiiil,@function
_ZL15flash_attn_tileILi128ELi128ELi16ELi1ELb1EEvPKcS1_S1_S1_S1_PKiPfP15HIP_vector_typeIfLj2EEffffjfiS5_IjLj3EEiiiiiiiiiiiliiliiiiil: ; @_ZL15flash_attn_tileILi128ELi128ELi16ELi1ELb1EEvPKcS1_S1_S1_S1_PKiPfP15HIP_vector_typeIfLj2EEffffjfiS5_IjLj3EEiiiiiiiiiiiliiliiiiil
; %bb.0:
	s_clause 0x1
	s_load_b128 s[36:39], s[0:1], 0x5c
	s_load_b64 s[2:3], s[0:1], 0x80
	s_bfe_u32 s6, ttmp6, 0x40014
	s_lshr_b32 s5, ttmp7, 16
	s_add_co_i32 s6, s6, 1
	s_bfe_u32 s7, ttmp6, 0x40008
	s_mul_i32 s6, s5, s6
	s_getreg_b32 s42, hwreg(HW_REG_IB_STS2, 6, 4)
	s_add_co_i32 s7, s7, s6
	s_clause 0x1
	s_load_b512 s[16:31], s[0:1], 0x0
	s_load_b64 s[10:11], s[0:1], 0xb8
	s_mov_b64 s[14:15], 0
	s_wait_kmcnt 0x0
	s_cvt_f32_u32 s4, s39
	s_sub_co_i32 s8, 0, s39
	s_delay_alu instid0(SALU_CYCLE_2) | instskip(SKIP_1) | instid1(TRANS32_DEP_1)
	v_rcp_iflag_f32_e32 v1, s4
	v_nop
	v_readfirstlane_b32 s4, v1
	s_mul_f32 s4, s4, 0x4f7ffffe
	s_delay_alu instid0(SALU_CYCLE_3) | instskip(NEXT) | instid1(SALU_CYCLE_3)
	s_cvt_u32_f32 s4, s4
	s_mul_i32 s8, s8, s4
	s_delay_alu instid0(SALU_CYCLE_1) | instskip(NEXT) | instid1(SALU_CYCLE_1)
	s_mul_hi_u32 s8, s4, s8
	s_add_co_i32 s4, s4, s8
	s_cmp_eq_u32 s42, 0
	s_cselect_b32 s5, s5, s7
	s_delay_alu instid0(SALU_CYCLE_1) | instskip(NEXT) | instid1(SALU_CYCLE_1)
	s_mul_hi_u32 s4, s5, s4
	s_mul_i32 s6, s4, s39
	s_add_co_i32 s7, s4, 1
	s_sub_co_i32 s6, s5, s6
	s_delay_alu instid0(SALU_CYCLE_1)
	s_sub_co_i32 s8, s6, s39
	s_cmp_ge_u32 s6, s39
	s_cselect_b32 s4, s7, s4
	s_cselect_b32 s6, s8, s6
	s_add_co_i32 s7, s4, 1
	s_cmp_ge_u32 s6, s39
	s_cselect_b32 s34, s7, s4
	s_abs_i32 s4, s3
	s_mul_i32 s8, s34, s39
	s_cvt_f32_u32 s6, s4
	s_sub_co_i32 s7, 0, s4
	s_abs_i32 s9, s39
	s_sub_co_i32 s33, s5, s8
	v_rcp_iflag_f32_e32 v1, s6
	s_xor_b32 s3, s39, s3
	s_delay_alu instid0(SALU_CYCLE_1) | instskip(SKIP_1) | instid1(TRANS32_DEP_1)
	s_ashr_i32 s3, s3, 31
	v_nop
	v_readfirstlane_b32 s6, v1
	s_mul_f32 s6, s6, 0x4f7ffffe
	s_delay_alu instid0(SALU_CYCLE_3) | instskip(NEXT) | instid1(SALU_CYCLE_3)
	s_cvt_u32_f32 s6, s6
	s_mul_i32 s7, s7, s6
	s_delay_alu instid0(SALU_CYCLE_1) | instskip(NEXT) | instid1(SALU_CYCLE_1)
	s_mul_hi_u32 s7, s6, s7
	s_add_co_i32 s6, s6, s7
	s_delay_alu instid0(SALU_CYCLE_1) | instskip(NEXT) | instid1(SALU_CYCLE_1)
	s_mul_hi_u32 s5, s9, s6
	s_mul_i32 s6, s5, s4
	s_add_co_i32 s7, s5, 1
	s_sub_co_i32 s6, s9, s6
	s_mov_b32 s9, 0
	s_sub_co_i32 s8, s6, s4
	s_cmp_ge_u32 s6, s4
	s_cselect_b32 s5, s7, s5
	s_cselect_b32 s6, s8, s6
	s_add_co_i32 s7, s5, 1
	s_cmp_ge_u32 s6, s4
	s_cselect_b32 s4, s7, s5
	s_abs_i32 s8, s33
	s_xor_b32 s4, s4, s3
	s_delay_alu instid0(SALU_CYCLE_1) | instskip(NEXT) | instid1(SALU_CYCLE_1)
	s_sub_co_i32 s35, s4, s3
	s_abs_i32 s3, s35
	s_delay_alu instid0(SALU_CYCLE_1) | instskip(SKIP_1) | instid1(SALU_CYCLE_2)
	s_cvt_f32_u32 s4, s3
	s_sub_co_i32 s5, 0, s3
	v_rcp_iflag_f32_e32 v1, s4
	v_nop
	s_delay_alu instid0(TRANS32_DEP_1) | instskip(SKIP_1) | instid1(SALU_CYCLE_3)
	v_readfirstlane_b32 s4, v1
	s_mul_f32 s4, s4, 0x4f7ffffe
	s_cvt_u32_f32 s4, s4
	s_delay_alu instid0(SALU_CYCLE_3) | instskip(NEXT) | instid1(SALU_CYCLE_1)
	s_mul_i32 s5, s5, s4
	s_mul_hi_u32 s5, s4, s5
	s_delay_alu instid0(SALU_CYCLE_1)
	s_add_co_i32 s12, s4, s5
	s_cmp_eq_u64 s[22:23], 0
	s_cbranch_scc1 .LBB88_2
; %bb.1:
	s_abs_i32 s6, s10
	s_abs_i32 s7, s34
	s_cvt_f32_u32 s4, s6
	s_sub_co_i32 s5, 0, s6
	s_delay_alu instid0(SALU_CYCLE_2) | instskip(SKIP_1) | instid1(TRANS32_DEP_1)
	v_rcp_iflag_f32_e32 v1, s4
	v_nop
	v_readfirstlane_b32 s4, v1
	s_mul_f32 s4, s4, 0x4f7ffffe
	s_delay_alu instid0(SALU_CYCLE_3) | instskip(NEXT) | instid1(SALU_CYCLE_3)
	s_cvt_u32_f32 s4, s4
	s_mul_i32 s5, s5, s4
	s_delay_alu instid0(SALU_CYCLE_1) | instskip(NEXT) | instid1(SALU_CYCLE_1)
	s_mul_hi_u32 s5, s4, s5
	s_add_co_i32 s4, s4, s5
	s_delay_alu instid0(SALU_CYCLE_1) | instskip(SKIP_2) | instid1(SALU_CYCLE_1)
	s_mul_hi_u32 s10, s7, s4
	s_load_b64 s[4:5], s[0:1], 0xc8
	s_mul_i32 s10, s10, s6
	s_sub_co_i32 s7, s7, s10
	s_ashr_i32 s10, s34, 31
	s_sub_co_i32 s13, s7, s6
	s_cmp_ge_u32 s7, s6
	s_cselect_b32 s7, s13, s7
	s_delay_alu instid0(SALU_CYCLE_1) | instskip(SKIP_2) | instid1(SALU_CYCLE_1)
	s_sub_co_i32 s13, s7, s6
	s_cmp_ge_u32 s7, s6
	s_cselect_b32 s6, s13, s7
	s_xor_b32 s6, s6, s10
	s_delay_alu instid0(SALU_CYCLE_1) | instskip(NEXT) | instid1(SALU_CYCLE_1)
	s_sub_co_i32 s6, s6, s10
	s_ashr_i32 s7, s6, 31
	s_wait_kmcnt 0x0
	s_mul_u64 s[4:5], s[4:5], s[6:7]
	s_delay_alu instid0(SALU_CYCLE_1)
	s_add_nc_u64 s[14:15], s[22:23], s[4:5]
.LBB88_2:
	s_clause 0x1
	s_load_b128 s[4:7], s[0:1], 0x40
	s_load_b64 s[40:41], s[0:1], 0x50
	v_mov_b32_e32 v87, 1.0
	s_mov_b32 s13, s9
	s_wait_kmcnt 0x0
	s_cmp_le_f32 s5, 0
	s_cbranch_scc1 .LBB88_4
; %bb.3:
	v_sub_co_u32 v1, s5, s33, s40
	s_and_b32 s22, s5, exec_lo
	s_cselect_b32 s7, s6, s7
	v_readfirstlane_b32 s10, v1
	s_lshl_b32 s6, s10, 1
	s_add_co_i32 s10, s33, 1
	s_or_b32 s6, s6, 1
	s_and_b32 s5, s5, exec_lo
	s_cselect_b32 s5, s10, s6
	s_cmp_neq_f32 s7, 1.0
	s_cvt_f32_i32 s5, s5
	s_delay_alu instid0(SALU_CYCLE_3) | instskip(NEXT) | instid1(SALU_CYCLE_1)
	s_cselect_b32 s6, s5, 1.0
	s_cmp_neq_f32 s6, 0
	s_cselect_b32 s5, s7, 1.0
	s_delay_alu instid0(SALU_CYCLE_1) | instskip(NEXT) | instid1(VALU_DEP_1)
	v_cvt_f64_f32_e64 v[2:3], |s5|
	v_frexp_exp_i32_f64_e32 v1, v[2:3]
	v_frexp_mant_f32_e64 v2, |s5|
	s_delay_alu instid0(VALU_DEP_1) | instskip(SKIP_2) | instid1(SALU_CYCLE_1)
	v_readfirstlane_b32 s7, v2
	s_cmp_lt_f32 s7, 0x3f2aaaab
	s_cselect_b32 vcc_lo, -1, 0
	s_and_b32 s10, vcc_lo, exec_lo
	s_cselect_b32 s10, 2.0, 1.0
	s_delay_alu instid0(SALU_CYCLE_1) | instskip(NEXT) | instid1(SALU_CYCLE_3)
	s_mul_f32 s7, s7, s10
	s_add_f32 s10, s7, 1.0
	s_add_f32 s23, s7, -1.0
	s_delay_alu instid0(SALU_CYCLE_2) | instskip(SKIP_2) | instid1(SALU_CYCLE_2)
	v_s_rcp_f32 s22, s10
	s_add_f32 s44, s10, -1.0
	v_subrev_co_ci_u32_e64 v1, null, 0, v1, vcc_lo
	s_sub_f32 s7, s7, s44
	s_delay_alu instid0(TRANS32_DEP_1) | instskip(SKIP_1) | instid1(SALU_CYCLE_2)
	s_mul_f32 s40, s23, s22
	v_cvt_f32_i32_e32 v1, v1
	s_mul_f32 s43, s10, s40
	s_delay_alu instid0(SALU_CYCLE_3) | instskip(SKIP_1) | instid1(SALU_CYCLE_1)
	v_dual_mov_b32 v3, s23 :: v_dual_mov_b32 v4, s43
	s_xor_b32 s45, s43, 0x80000000
	s_fmac_f32 s45, s40, s10
	s_delay_alu instid0(SALU_CYCLE_3) | instskip(NEXT) | instid1(SALU_CYCLE_3)
	s_fmac_f32 s45, s40, s7
	s_add_f32 s7, s43, s45
	s_delay_alu instid0(SALU_CYCLE_3) | instskip(SKIP_1) | instid1(SALU_CYCLE_3)
	v_dual_mov_b32 v6, s45 :: v_dual_mov_b32 v7, s7
	s_sub_f32 s10, s23, s7
	v_dual_mov_b32 v2, s7 :: v_dual_mov_b32 v5, s10
	s_delay_alu instid0(VALU_DEP_1) | instskip(NEXT) | instid1(VALU_DEP_1)
	v_pk_add_f32 v[2:3], v[2:3], v[4:5] neg_lo:[0,1] neg_hi:[0,1]
	v_pk_add_f32 v[2:3], v[2:3], v[6:7] neg_lo:[0,1] neg_hi:[0,1]
	s_delay_alu instid0(VALU_DEP_1) | instskip(NEXT) | instid1(VALU_DEP_2)
	v_readfirstlane_b32 s7, v3
	v_readfirstlane_b32 s23, v2
	s_add_f32 s7, s23, s7
	s_delay_alu instid0(SALU_CYCLE_3) | instskip(NEXT) | instid1(SALU_CYCLE_3)
	s_add_f32 s7, s10, s7
	s_mul_f32 s7, s22, s7
	s_delay_alu instid0(SALU_CYCLE_3) | instskip(NEXT) | instid1(SALU_CYCLE_3)
	s_add_f32 s22, s40, s7
	s_sub_f32 s10, s22, s40
	s_mul_f32 s23, s22, s22
	s_delay_alu instid0(SALU_CYCLE_2) | instskip(NEXT) | instid1(SALU_CYCLE_2)
	s_sub_f32 s7, s7, s10
	s_xor_b32 s10, s23, 0x80000000
	s_delay_alu instid0(SALU_CYCLE_1) | instskip(NEXT) | instid1(SALU_CYCLE_1)
	s_fmac_f32 s10, s22, s22
	s_add_f32 s40, s7, s7
	s_delay_alu instid0(SALU_CYCLE_3) | instskip(SKIP_1) | instid1(SALU_CYCLE_2)
	s_fmac_f32 s10, s22, s40
	s_mov_b32 s40, 0x3e76c4e1
	s_add_f32 s44, s23, s10
	s_delay_alu instid0(SALU_CYCLE_3) | instskip(SKIP_1) | instid1(SALU_CYCLE_2)
	s_fmaak_f32 s40, s44, s40, 0x3e91f4c4
	s_sub_f32 s23, s44, s23
	s_fmaak_f32 s40, s44, s40, 0x3ecccdef
	s_delay_alu instid0(SALU_CYCLE_2) | instskip(NEXT) | instid1(SALU_CYCLE_2)
	s_sub_f32 s10, s10, s23
	s_mul_f32 s43, s44, s40
	s_delay_alu instid0(SALU_CYCLE_3) | instskip(NEXT) | instid1(SALU_CYCLE_1)
	s_xor_b32 s45, s43, 0x80000000
	s_fmac_f32 s45, s44, s40
	s_delay_alu instid0(SALU_CYCLE_3) | instskip(NEXT) | instid1(SALU_CYCLE_3)
	s_fmac_f32 s45, s10, s40
	s_add_f32 s40, s43, s45
	s_delay_alu instid0(SALU_CYCLE_3) | instskip(SKIP_1) | instid1(SALU_CYCLE_2)
	s_sub_f32 s23, s40, s43
	s_add_f32 s43, s40, 0x3f2aaaaa
	s_sub_f32 s23, s45, s23
	s_delay_alu instid0(SALU_CYCLE_2) | instskip(NEXT) | instid1(SALU_CYCLE_2)
	s_add_f32 s45, s43, 0xbf2aaaaa
	s_add_f32 s23, s23, 0x31739010
	s_delay_alu instid0(SALU_CYCLE_2) | instskip(NEXT) | instid1(SALU_CYCLE_2)
	s_sub_f32 s45, s40, s45
	v_mov_b64_e32 v[2:3], s[22:23]
	s_delay_alu instid0(SALU_CYCLE_2) | instskip(NEXT) | instid1(VALU_DEP_1)
	v_mov_b64_e32 v[4:5], s[44:45]
	v_pk_mul_f32 v[6:7], v[2:3], v[4:5]
	v_pk_add_f32 v[2:3], v[2:3], v[4:5]
	v_mov_b32_e32 v9, s43
	s_delay_alu instid0(VALU_DEP_3) | instskip(NEXT) | instid1(VALU_DEP_3)
	v_xor_b32_e32 v8, 0x80000000, v6
	v_mov_b32_e32 v7, v3
	s_delay_alu instid0(VALU_DEP_2) | instskip(NEXT) | instid1(VALU_DEP_1)
	v_fmac_f32_e64 v8, s44, s22
	v_fmac_f32_e64 v8, s44, s7
	s_delay_alu instid0(VALU_DEP_1) | instskip(NEXT) | instid1(VALU_DEP_1)
	v_fmac_f32_e64 v8, s10, s22
	v_pk_add_f32 v[4:5], v[6:7], v[8:9]
	s_delay_alu instid0(VALU_DEP_1) | instskip(SKIP_1) | instid1(VALU_DEP_2)
	v_dual_mov_b32 v2, v5 :: v_dual_sub_f32 v7, s43, v5
	v_mul_f32_e32 v12, 0x3f317218, v1
	v_pk_mul_f32 v[10:11], v[4:5], v[2:3]
	s_delay_alu instid0(VALU_DEP_3) | instskip(NEXT) | instid1(VALU_DEP_3)
	v_add_f32_e32 v3, v3, v7
	v_xor_b32_e32 v7, 0x80000000, v12
	s_delay_alu instid0(VALU_DEP_3) | instskip(NEXT) | instid1(VALU_DEP_2)
	v_xor_b32_e32 v2, 0x80000000, v10
	v_dual_sub_f32 v6, v4, v6 :: v_dual_fmac_f32 v7, 0x3f317218, v1
	s_delay_alu instid0(VALU_DEP_2) | instskip(NEXT) | instid1(VALU_DEP_2)
	v_fmac_f32_e32 v2, v4, v5
	v_sub_f32_e32 v6, v8, v6
	s_delay_alu instid0(VALU_DEP_2) | instskip(NEXT) | instid1(VALU_DEP_1)
	v_fmac_f32_e32 v2, v4, v3
	v_fmac_f32_e32 v2, v6, v5
	v_fmamk_f32 v4, v1, 0xb102e308, v7
	v_ldexp_f32 v5, s22, 1
	v_ldexp_f32 v1, s7, 1
	s_delay_alu instid0(VALU_DEP_2) | instskip(NEXT) | instid1(VALU_DEP_1)
	v_dual_add_f32 v13, v10, v2 :: v_dual_mov_b32 v11, v5
	v_pk_add_f32 v[6:7], v[12:13], v[4:5]
	v_dual_mov_b32 v8, v13 :: v_dual_mov_b32 v3, v13
	s_delay_alu instid0(VALU_DEP_2) | instskip(SKIP_1) | instid1(VALU_DEP_2)
	v_dual_mov_b32 v9, v7 :: v_dual_mov_b32 v5, v6
	v_mov_b32_e32 v14, v7
	v_pk_add_f32 v[8:9], v[8:9], v[10:11] neg_lo:[0,1] neg_hi:[0,1]
	s_delay_alu instid0(VALU_DEP_1) | instskip(NEXT) | instid1(VALU_DEP_1)
	v_pk_add_f32 v[2:3], v[2:3], v[8:9] neg_lo:[0,1] neg_hi:[0,1]
	v_add_f32_e32 v1, v1, v2
	s_delay_alu instid0(VALU_DEP_1) | instskip(NEXT) | instid1(VALU_DEP_1)
	v_add_f32_e32 v13, v1, v3
	v_pk_add_f32 v[2:3], v[6:7], v[12:13]
	v_pk_add_f32 v[8:9], v[6:7], v[12:13] neg_lo:[0,1] neg_hi:[0,1]
	s_delay_alu instid0(VALU_DEP_2) | instskip(NEXT) | instid1(VALU_DEP_1)
	v_mov_b32_e32 v9, v3
	v_pk_add_f32 v[10:11], v[4:5], v[8:9]
	v_pk_add_f32 v[4:5], v[4:5], v[8:9] neg_lo:[0,1] neg_hi:[0,1]
	v_dual_mov_b32 v16, v3 :: v_dual_mov_b32 v5, v6
	s_delay_alu instid0(VALU_DEP_3) | instskip(NEXT) | instid1(VALU_DEP_3)
	v_dual_mov_b32 v12, v11 :: v_dual_mov_b32 v17, v11
	v_readfirstlane_b32 s7, v4
	s_delay_alu instid0(VALU_DEP_2) | instskip(NEXT) | instid1(VALU_DEP_2)
	v_pk_add_f32 v[8:9], v[12:13], v[6:7] neg_lo:[0,1] neg_hi:[0,1]
	v_dual_mov_b32 v4, v13 :: v_dual_mov_b32 v10, s7
	s_delay_alu instid0(VALU_DEP_2) | instskip(NEXT) | instid1(VALU_DEP_1)
	v_dual_mov_b32 v15, v8 :: v_dual_mov_b32 v1, v8
	v_pk_add_f32 v[6:7], v[16:17], v[14:15] neg_lo:[0,1] neg_hi:[0,1]
	s_delay_alu instid0(VALU_DEP_2) | instskip(SKIP_1) | instid1(VALU_DEP_3)
	v_pk_add_f32 v[2:3], v[2:3], v[0:1] neg_lo:[0,1] neg_hi:[0,1]
	v_mov_b32_e32 v2, s7
	v_pk_add_f32 v[4:5], v[4:5], v[6:7] neg_lo:[0,1] neg_hi:[0,1]
	s_delay_alu instid0(VALU_DEP_1) | instskip(NEXT) | instid1(VALU_DEP_1)
	v_pk_add_f32 v[2:3], v[2:3], v[4:5]
	v_readfirstlane_b32 s10, v2
	s_delay_alu instid0(VALU_DEP_2) | instskip(NEXT) | instid1(VALU_DEP_1)
	v_mov_b32_e32 v6, v3
	v_pk_add_f32 v[6:7], v[2:3], v[6:7]
	s_delay_alu instid0(VALU_DEP_3) | instskip(NEXT) | instid1(VALU_DEP_2)
	v_mov_b32_e32 v2, s10
	v_pk_add_f32 v[8:9], v[12:13], v[6:7]
	v_mov_b32_e32 v5, v6
	s_delay_alu instid0(VALU_DEP_2) | instskip(NEXT) | instid1(VALU_DEP_1)
	v_readfirstlane_b32 s22, v8
	v_mov_b32_e32 v3, s22
	s_delay_alu instid0(VALU_DEP_1) | instskip(NEXT) | instid1(VALU_DEP_1)
	v_pk_add_f32 v[2:3], v[2:3], v[10:11] neg_lo:[0,1] neg_hi:[0,1]
	v_readfirstlane_b32 s23, v2
	s_delay_alu instid0(VALU_DEP_2) | instskip(SKIP_1) | instid1(VALU_DEP_1)
	v_pk_add_f32 v[2:3], v[4:5], v[2:3] neg_lo:[0,1] neg_hi:[0,1]
	s_sub_f32 s10, s10, s23
	v_readfirstlane_b32 s23, v2
	s_delay_alu instid0(SALU_CYCLE_2) | instskip(SKIP_1) | instid1(SALU_CYCLE_2)
	s_sub_f32 s7, s7, s10
	v_readfirstlane_b32 s10, v3
	s_add_f32 s7, s23, s7
	s_delay_alu instid0(SALU_CYCLE_3) | instskip(NEXT) | instid1(SALU_CYCLE_3)
	s_add_f32 s7, s7, s10
	s_add_f32 s10, s22, s7
	s_delay_alu instid0(SALU_CYCLE_3) | instskip(SKIP_1) | instid1(SALU_CYCLE_2)
	s_mul_f32 s23, s6, s10
	s_sub_f32 s22, s10, s22
	s_xor_b32 s40, s23, 0x80000000
	s_delay_alu instid0(SALU_CYCLE_2) | instskip(SKIP_1) | instid1(SALU_CYCLE_3)
	s_sub_f32 s7, s7, s22
	s_fmac_f32 s40, s6, s10
	s_fmac_f32 s40, s6, s7
	v_cmp_class_f32_e64 s7, s23, 0x204
	s_delay_alu instid0(SALU_CYCLE_2) | instskip(SKIP_1) | instid1(SALU_CYCLE_2)
	s_add_f32 s10, s23, s40
	s_and_b32 s7, s7, exec_lo
	s_sub_f32 s7, s10, s23
	s_cselect_b32 s10, s23, s10
	s_delay_alu instid0(SALU_CYCLE_1) | instskip(NEXT) | instid1(SALU_CYCLE_1)
	s_and_b32 s22, s10, 0x7fffffff
	s_sub_f32 s7, s40, s7
	s_cmp_neq_f32 s22, 0x7f800000
	s_delay_alu instid0(SALU_CYCLE_2) | instskip(SKIP_2) | instid1(SALU_CYCLE_1)
	s_cselect_b32 s7, s7, 0
	s_cmp_eq_f32 s10, 0x42b17218
	s_cselect_b32 s22, 0x37000000, 0
	s_sub_f32 s10, s10, s22
	s_add_f32 s7, s22, s7
	s_delay_alu instid0(SALU_CYCLE_2) | instskip(NEXT) | instid1(SALU_CYCLE_3)
	s_mul_f32 s23, s10, 0x3fb8aa3b
	s_xor_b32 s40, s23, 0x80000000
	s_rndne_f32 s43, s23
	s_fmamk_f32 s40, s10, 0x3fb8aa3b, s40
	s_cmp_nlt_f32 s10, 0xc2ce8ed0
	s_delay_alu instid0(SALU_CYCLE_1) | instskip(NEXT) | instid1(SALU_CYCLE_1)
	s_sub_f32 s23, s23, s43
	s_fmamk_f32 s40, s10, 0x32a5705f, s40
	s_cselect_b32 vcc_lo, -1, 0
	s_cmp_ngt_f32 s10, 0x42b17218
	s_trunc_f32 s10, s6
	s_add_f32 s23, s23, s40
	s_cvt_i32_f32 s40, s43
	s_delay_alu instid0(SALU_CYCLE_2)
	v_s_exp_f32 s23, s23
	v_nop
	s_delay_alu instid0(TRANS32_DEP_1) | instid1(SALU_CYCLE_1)
	v_ldexp_f32 v1, s23, s40
	s_mul_f32 s23, s6, 0.5
	s_delay_alu instid0(VALU_DEP_1) | instskip(SKIP_3) | instid1(VALU_DEP_1)
	v_cndmask_b32_e32 v1, 0, v1, vcc_lo
	s_cselect_b32 vcc_lo, -1, 0
	s_cmp_eq_f32 s10, s6
	s_trunc_f32 s40, s23
	v_cndmask_b32_e32 v1, 0x7f800000, v1, vcc_lo
	s_cselect_b32 s43, -1, 0
	s_delay_alu instid0(SALU_CYCLE_1) | instskip(NEXT) | instid1(VALU_DEP_1)
	s_cmp_neq_f32 s40, s23
	v_fma_f32 v2, s7, v1, v1
	v_cmp_class_f32_e64 vcc_lo, v1, 0x204
	s_cselect_b32 s22, -1, 0
	s_delay_alu instid0(SALU_CYCLE_1)
	s_and_b32 s7, s43, s22
	v_cndmask_b32_e32 v1, v2, v1, vcc_lo
	s_and_b32 s22, s7, exec_lo
	s_cselect_b32 s22, s5, 1.0
	s_cmp_eq_f32 s10, s6
	v_cmp_class_f32_e64 s10, s5, 0x204
	v_bfi_b32 v1, 0x7fffffff, v1, s22
	s_cselect_b32 vcc_lo, -1, 0
	s_cmp_lt_f32 s5, 0
	s_delay_alu instid0(VALU_DEP_1) | instskip(SKIP_2) | instid1(VALU_DEP_1)
	v_cndmask_b32_e32 v2, 0x7fc00000, v1, vcc_lo
	s_cselect_b32 vcc_lo, -1, 0
	s_cmp_eq_f32 s5, 0
	v_cndmask_b32_e32 v1, v1, v2, vcc_lo
	s_cselect_b32 s22, -1, 0
	s_delay_alu instid0(SALU_CYCLE_1) | instskip(SKIP_2) | instid1(SALU_CYCLE_1)
	s_or_b32 vcc_lo, s22, s10
	s_cmp_lt_f32 s6, 0
	s_cselect_b32 s6, -1, 0
	s_xor_b32 s6, s6, s22
	s_delay_alu instid0(SALU_CYCLE_1)
	s_and_b32 s6, s6, exec_lo
	s_cselect_b32 s6, 0, 0x7f800000
	s_and_b32 s7, s7, exec_lo
	s_cselect_b32 s7, s5, 0
	s_cmp_o_f32 s5, s5
	v_mov_b32_e32 v2, s7
	s_delay_alu instid0(VALU_DEP_1) | instskip(NEXT) | instid1(VALU_DEP_1)
	v_bfi_b32 v2, 0x7fffffff, s6, v2
	v_cndmask_b32_e32 v1, v1, v2, vcc_lo
	s_cselect_b32 vcc_lo, -1, 0
	s_delay_alu instid0(VALU_DEP_1)
	v_cndmask_b32_e32 v87, 0x7fc00000, v1, vcc_lo
.LBB88_4:
	s_bfe_u32 s5, ttmp6, 0x4000c
	v_bfe_u32 v12, v0, 10, 10
	s_add_co_i32 s5, s5, 1
	s_and_b32 s6, ttmp6, 15
	s_mul_i32 s5, ttmp9, s5
	s_ashr_i32 s10, s33, 31
	s_ashr_i32 s22, s35, 31
	s_add_co_i32 s6, s6, s5
	s_cmp_eq_u32 s42, 0
	v_lshlrev_b32_e32 v122, 1, v12
	s_cselect_b32 s5, ttmp9, s6
	s_load_b96 s[44:46], s[0:1], 0x70
	s_lshl_b32 s40, s5, 4
	v_and_b32_e32 v112, 0x3ff, v0
	v_add_nc_u32_e32 v124, s40, v122
	s_mul_u64 s[12:13], s[8:9], s[12:13]
	s_delay_alu instid0(VALU_DEP_2) | instskip(NEXT) | instid1(VALU_DEP_2)
	v_dual_mov_b32 v115, 0 :: v_dual_lshlrev_b32 v114, 4, v112
	v_mul_hi_u32 v1, v124, s36
	s_delay_alu instid0(VALU_DEP_1)
	v_dual_add_nc_u32 v1, v124, v1 :: v_dual_bitop2_b32 v120, 1, v122 bitop3:0x54
	s_wait_kmcnt 0x0
	s_mul_i32 s6, s34, s46
	s_mul_i32 s46, s33, s45
	s_ashr_i32 s7, s6, 31
	v_dual_lshrrev_b32 v1, s37, v1 :: v_dual_add_nc_u32 v121, s40, v120
	s_ashr_i32 s47, s46, 31
	s_add_nc_u64 s[6:7], s[16:17], s[6:7]
	s_ashr_i32 s45, s44, 31
	s_delay_alu instid0(VALU_DEP_1)
	v_mul_lo_u32 v1, v1, s38
	v_mul_hi_u32 v2, v121, s36
	s_add_nc_u64 s[6:7], s[6:7], s[46:47]
	v_mov_b32_e32 v43, v115
	s_lshr_b64 s[16:17], s[44:45], 2
	s_cmp_eq_u64 s[26:27], 0
	s_delay_alu instid0(VALU_DEP_2) | instskip(NEXT) | instid1(VALU_DEP_1)
	v_dual_sub_nc_u32 v42, v124, v1 :: v_dual_add_nc_u32 v2, v121, v2
	v_lshrrev_b32_e32 v0, s37, v2
	s_delay_alu instid0(VALU_DEP_1) | instskip(SKIP_1) | instid1(VALU_DEP_2)
	v_mul_lo_u32 v2, v0, s38
	v_add_nc_u64_e32 v[0:1], s[6:7], v[114:115]
	v_sub_nc_u32_e32 v114, v121, v2
	v_mul_u64_e32 v[2:3], s[16:17], v[42:43]
	v_lshlrev_b32_e32 v43, 3, v112
	s_delay_alu instid0(VALU_DEP_3) | instskip(SKIP_1) | instid1(VALU_DEP_3)
	v_mul_u64_e32 v[4:5], s[16:17], v[114:115]
	s_mov_b32 s17, 0
	v_lshl_add_u64 v[8:9], v[2:3], 2, v[0:1]
	s_delay_alu instid0(VALU_DEP_2)
	v_lshl_add_u64 v[10:11], v[4:5], 2, v[0:1]
	s_clause 0x1
	global_load_b128 v[0:3], v[8:9], off
	global_load_b128 v[4:7], v[10:11], off
	s_wait_xcnt 0x1
	v_add_nc_u32_e32 v8, 0x9800, v43
	s_wait_loadcnt 0x1
	v_fma_mixlo_f16 v0, s4, v0, 0
	v_fma_mixlo_f16 v1, s4, v1, 0
	s_wait_loadcnt 0x0
	v_fma_mixlo_f16 v4, s4, v4, 0
	v_fma_mixlo_f16 v5, s4, v5, 0
	v_lshlrev_b32_e32 v126, 9, v12
	v_fma_mixlo_f16 v2, s4, v2, 0
	v_fma_mixlo_f16 v3, s4, v3, 0
	v_lshlrev_b32_e32 v1, 16, v1
	v_and_b32_e32 v0, 0xffff, v0
	v_fma_mixlo_f16 v6, s4, v6, 0
	v_fma_mixlo_f16 v7, s4, v7, 0
	v_lshlrev_b32_e32 v5, 16, v5
	v_and_b32_e32 v4, 0xffff, v4
	v_dual_add_nc_u32 v9, v8, v126 :: v_dual_lshlrev_b32 v3, 16, v3
	v_and_b32_e32 v2, 0xffff, v2
	v_dual_lshlrev_b32 v7, 16, v7 :: v_dual_bitop2_b32 v0, v1, v0 bitop3:0x54
	v_and_b32_e32 v6, 0xffff, v6
	v_or_b32_e32 v4, v5, v4
	s_delay_alu instid0(VALU_DEP_4) | instskip(NEXT) | instid1(VALU_DEP_4)
	v_or3_b32 v1, v3, v2, 0
	v_or3_b32 v0, 0, 0, v0
	v_lshl_add_u32 v5, v120, 8, v8
	v_or3_b32 v3, v7, v6, 0
	v_or3_b32 v2, 0, 0, v4
	ds_store_b64 v9, v[0:1]
	ds_store_b64 v5, v[2:3]
	s_wait_dscnt 0x0
	s_barrier_signal -1
	s_barrier_wait -1
	s_cbranch_scc1 .LBB88_6
; %bb.5:
	s_load_b32 s2, s[0:1], 0xd0
	s_wait_kmcnt 0x0
	s_mul_i32 s2, s2, s34
	s_delay_alu instid0(SALU_CYCLE_1)
	s_add_co_i32 s2, s2, s5
	s_load_b32 s2, s[26:27], s2 offset:0x0 scale_offset
.LBB88_6:
	s_wait_xcnt 0x0
	s_clause 0x2
	s_load_b64 s[26:27], s[0:1], 0x8c
	s_load_b128 s[4:7], s[0:1], 0x98
	s_load_b64 s[44:45], s[0:1], 0xa8
	s_xor_b32 s9, s10, s22
	s_mul_i32 s10, s13, s3
	s_mov_b32 s16, s36
	s_sub_co_i32 s23, s8, s10
	s_ashr_i32 s36, s11, 1
	s_ashr_i32 s35, s34, 31
	s_add_co_i32 s12, s13, 1
	s_sub_co_i32 s43, s23, s3
	v_dual_lshlrev_b32 v123, 2, v112 :: v_dual_lshrrev_b32 v90, 4, v112
	v_mul_u32_u24_e32 v89, 0x110, v112
	v_or_b32_e32 v40, 1, v124
	v_add_nc_u32_e32 v88, 0x8800, v126
	s_delay_alu instid0(VALU_DEP_4)
	v_and_b32_e32 v44, 60, v123
	v_mbcnt_lo_u32_b32 v125, -1, 0
	s_wait_kmcnt 0x0
	s_ashr_i32 s8, s26, 2
	s_ashr_i32 s22, s6, 2
	s_cmp_ge_u32 s23, s3
	s_mul_u64 s[4:5], s[4:5], s[34:35]
	s_cselect_b32 s6, s12, s13
	s_cselect_b32 s12, s43, s23
	s_add_co_i32 s13, s6, 1
	s_cmp_ge_u32 s12, s3
	s_add_nc_u64 s[4:5], s[18:19], s[4:5]
	s_cselect_b32 s3, s13, s6
	s_bfe_u32 s6, ttmp6, 0x40010
	s_xor_b32 s3, s3, s9
	s_and_b32 s18, ttmp7, 0xffff
	s_add_co_i32 s6, s6, 1
	s_sub_co_i32 s3, s3, s9
	s_bfe_u32 s13, ttmp6, 0x40004
	s_mul_i32 s9, s18, s6
	s_mul_i32 s6, s3, s27
	;; [unrolled: 1-line block ×3, first 2 shown]
	s_add_co_i32 s3, s13, s9
	s_ashr_i32 s7, s6, 31
	s_ashr_i32 s13, s12, 31
	s_cmp_eq_u32 s42, 0
	s_mul_u64 s[10:11], s[44:45], s[34:35]
	s_cselect_b32 s35, s18, s3
	s_add_nc_u64 s[4:5], s[4:5], s[6:7]
	s_add_co_i32 s3, s2, 0xffffff80
	s_lshl_b32 s18, s35, 7
	s_add_nc_u64 s[6:7], s[20:21], s[10:11]
	s_cmp_ge_i32 s18, s3
	s_add_nc_u64 s[26:27], s[6:7], s[12:13]
	s_cbranch_scc1 .LBB88_60
; %bb.7:
	v_mov_b32_e32 v47, 0
	s_ashr_i32 s9, s8, 31
	s_lshl_b32 s6, s8, 4
	s_cmp_lg_u64 s[14:15], 0
	v_mov_b32_e32 v35, 0xfeffffff
	v_dual_mov_b32 v41, v47 :: v_dual_lshlrev_b32 v2, 2, v44
	s_cselect_b32 s10, -1, 0
	s_lshl_b32 s7, s22, 4
	v_mbcnt_lo_u32_b32 v103, -1, 0
	s_delay_alu instid0(VALU_DEP_2) | instskip(SKIP_3) | instid1(VALU_DEP_3)
	v_mul_u64_e32 v[0:1], s[16:17], v[40:41]
	v_add_nc_u32_e32 v0, v90, v122
	v_dual_mov_b32 v114, v47 :: v_dual_add_nc_u32 v41, 0x9800, v126
	v_dual_mov_b32 v115, v47 :: v_dual_lshlrev_b32 v46, 2, v44
	v_mul_lo_u32 v48, s8, v0
	v_mul_lo_u32 v50, s22, v0
	v_mad_u32_u24 v91, 0x110, v0, v2
	v_lshl_or_b32 v92, v0, 8, v2
	s_mov_b32 s11, 0xbbbac73d
	v_dual_mov_b32 v32, v47 :: v_dual_mov_b32 v45, v47
	s_delay_alu instid0(VALU_DEP_3)
	v_add_nc_u32_e32 v94, 0x7700, v91
	v_add_nc_u32_e32 v93, 0x6600, v91
	v_dual_mov_b32 v86, v47 :: v_dual_add_nc_u32 v95, 0x1000, v92
	v_dual_add_nc_u32 v52, s6, v48 :: v_dual_add_nc_u32 v54, s7, v50
	v_dual_mov_b32 v33, v47 :: v_dual_add_nc_u32 v96, 0x2000, v92
	v_add_nc_u32_e32 v97, 0x3000, v92
	s_delay_alu instid0(VALU_DEP_3) | instskip(SKIP_3) | instid1(VALU_DEP_4)
	v_dual_add_nc_u32 v56, s6, v52 :: v_dual_add_nc_u32 v58, s7, v54
	v_add_nc_u32_e32 v98, 0x4000, v92
	v_add_nc_u32_e32 v99, 0x5000, v92
	;; [unrolled: 1-line block ×3, first 2 shown]
	v_dual_add_nc_u32 v60, s6, v56 :: v_dual_add_nc_u32 v62, s7, v58
	v_ashrrev_i32_e32 v55, 31, v54
	v_add_nc_u32_e32 v101, 0x7000, v92
	v_dual_ashrrev_i32 v49, 31, v48 :: v_dual_ashrrev_i32 v51, 31, v50
	v_dual_add_nc_u32 v0, v40, v1 :: v_dual_ashrrev_i32 v53, 31, v52
	v_dual_add_nc_u32 v66, s7, v62 :: v_dual_add_nc_u32 v64, s6, v60
	v_dual_ashrrev_i32 v57, 31, v56 :: v_dual_ashrrev_i32 v59, 31, v58
	s_delay_alu instid0(VALU_DEP_2) | instskip(NEXT) | instid1(VALU_DEP_3)
	v_dual_lshrrev_b32 v0, s37, v0 :: v_dual_add_nc_u32 v70, s7, v66
	v_dual_add_nc_u32 v68, s6, v64 :: v_dual_ashrrev_i32 v65, 31, v64
	v_ashrrev_i32_e32 v67, 31, v66
	s_delay_alu instid0(VALU_DEP_3) | instskip(NEXT) | instid1(VALU_DEP_3)
	v_mul_lo_u32 v0, v0, s38
	v_dual_add_nc_u32 v74, s7, v70 :: v_dual_add_nc_u32 v72, s6, v68
	v_dual_ashrrev_i32 v61, 31, v60 :: v_dual_ashrrev_i32 v63, 31, v62
	v_dual_ashrrev_i32 v69, 31, v68 :: v_dual_ashrrev_i32 v71, 31, v70
	s_delay_alu instid0(VALU_DEP_3) | instskip(SKIP_2) | instid1(VALU_DEP_3)
	v_dual_add_nc_u32 v76, s6, v72 :: v_dual_add_nc_u32 v78, s7, v74
	v_dual_ashrrev_i32 v75, 31, v74 :: v_dual_ashrrev_i32 v73, 31, v72
	v_sub_nc_u32_e32 v0, v40, v0
	v_dual_mov_b32 v34, 0xfeffffff :: v_dual_ashrrev_i32 v77, 31, v76
	s_delay_alu instid0(VALU_DEP_4) | instskip(SKIP_1) | instid1(VALU_DEP_3)
	v_ashrrev_i32_e32 v79, 31, v78
	s_add_nc_u64 s[6:7], s[0:1], 0xd0
	v_mul_lo_u32 v102, v0, s36
	s_ashr_i32 s23, s22, 31
.LBB88_8:                               ; =>This Inner Loop Header: Depth=1
	s_ashr_i32 s19, s18, 31
	v_mov_b32_e32 v119, 0
	s_mul_u64 s[12:13], s[18:19], s[8:9]
	v_mov_b32_e32 v116, 0
	s_lshl_b64 s[12:13], s[12:13], 2
	v_mov_b32_e32 v117, 0
	s_add_nc_u64 s[12:13], s[4:5], s[12:13]
	v_mov_b32_e32 v118, 0
	v_lshl_add_u64 v[0:1], v[48:49], 2, s[12:13]
	v_lshl_add_u64 v[2:3], v[52:53], 2, s[12:13]
	;; [unrolled: 1-line block ×6, first 2 shown]
	v_add_nc_u64_e32 v[36:37], v[0:1], v[46:47]
	v_lshl_add_u64 v[12:13], v[72:73], 2, s[12:13]
	v_add_nc_u64_e32 v[38:39], v[2:3], v[46:47]
	v_lshl_add_u64 v[14:15], v[76:77], 2, s[12:13]
	v_add_nc_u64_e32 v[80:81], v[4:5], v[46:47]
	v_add_nc_u64_e32 v[82:83], v[6:7], v[46:47]
	;; [unrolled: 1-line block ×6, first 2 shown]
	s_clause 0x7
	global_load_b128 v[0:3], v[36:37], off
	global_load_b128 v[4:7], v[38:39], off
	;; [unrolled: 1-line block ×8, first 2 shown]
	s_wait_xcnt 0x7
	v_add_nc_u32_e32 v36, 0x1100, v91
	v_add_nc_u32_e32 v37, 0x2200, v91
	s_wait_xcnt 0x6
	v_add_nc_u32_e32 v38, 0x3300, v91
	v_add_nc_u32_e32 v39, 0x4400, v91
	s_wait_xcnt 0x5
	v_add_nc_u32_e32 v80, 0x5500, v91
	s_wait_loadcnt 0x7
	ds_store_b128 v91, v[0:3]
	s_wait_loadcnt 0x6
	ds_store_b128 v36, v[4:7]
	;; [unrolled: 2-line block ×8, first 2 shown]
	s_wait_dscnt 0x0
	s_barrier_signal -1
	s_barrier_wait -1
	ds_load_b128 v[0:3], v89
	ds_load_b128 v[10:13], v41
	ds_load_b128 v[14:17], v41 offset:256
	ds_load_b128 v[18:21], v89 offset:8704
	v_mov_b32_e32 v6, 0
	ds_load_b128 v[22:25], v89 offset:17408
	ds_load_b128 v[26:29], v89 offset:26112
	v_dual_mov_b32 v7, 0 :: v_dual_mov_b32 v8, 0
	v_mov_b32_e32 v9, 0
	s_wait_dscnt 0x4
	;;#ASMSTART
	v_dot2_f32_f16 v6, v0, v10, v6
	;;#ASMEND
	;;#ASMSTART
	v_dot2_f32_f16 v6, v1, v11, v6
	;;#ASMEND
	;;#ASMSTART
	v_dot2_f32_f16 v6, v2, v12, v6
	;;#ASMEND
	;;#ASMSTART
	v_dot2_f32_f16 v6, v3, v13, v6
	;;#ASMEND
	s_wait_dscnt 0x3
	;;#ASMSTART
	v_dot2_f32_f16 v116, v0, v14, v116
	;;#ASMEND
	;;#ASMSTART
	v_dot2_f32_f16 v116, v1, v15, v116
	;;#ASMEND
	;;#ASMSTART
	v_dot2_f32_f16 v116, v2, v16, v116
	;;#ASMEND
	;;#ASMSTART
	v_dot2_f32_f16 v116, v3, v17, v116
	;;#ASMEND
	;; [unrolled: 13-line block ×3, first 2 shown]
	;;#ASMSTART
	v_dot2_f32_f16 v117, v18, v14, v117
	;;#ASMEND
	;;#ASMSTART
	v_dot2_f32_f16 v117, v19, v15, v117
	;;#ASMEND
	;; [unrolled: 3-line block ×4, first 2 shown]
	s_wait_dscnt 0x1
	;;#ASMSTART
	v_dot2_f32_f16 v8, v22, v10, v8
	;;#ASMEND
	;;#ASMSTART
	v_dot2_f32_f16 v8, v23, v11, v8
	;;#ASMEND
	;; [unrolled: 3-line block ×8, first 2 shown]
	s_wait_dscnt 0x0
	;;#ASMSTART
	v_dot2_f32_f16 v9, v26, v10, v9
	;;#ASMEND
	;;#ASMSTART
	v_dot2_f32_f16 v9, v27, v11, v9
	;;#ASMEND
	;; [unrolled: 3-line block ×8, first 2 shown]
	ds_load_b128 v[0:3], v89 offset:16
	ds_load_b128 v[10:13], v41 offset:16
	;; [unrolled: 1-line block ×6, first 2 shown]
	s_wait_dscnt 0x4
	;;#ASMSTART
	v_dot2_f32_f16 v6, v0, v10, v6
	;;#ASMEND
	;;#ASMSTART
	v_dot2_f32_f16 v6, v1, v11, v6
	;;#ASMEND
	;;#ASMSTART
	v_dot2_f32_f16 v6, v2, v12, v6
	;;#ASMEND
	;;#ASMSTART
	v_dot2_f32_f16 v6, v3, v13, v6
	;;#ASMEND
	s_wait_dscnt 0x3
	;;#ASMSTART
	v_dot2_f32_f16 v116, v0, v14, v116
	;;#ASMEND
	;;#ASMSTART
	v_dot2_f32_f16 v116, v1, v15, v116
	;;#ASMEND
	;;#ASMSTART
	v_dot2_f32_f16 v116, v2, v16, v116
	;;#ASMEND
	;;#ASMSTART
	v_dot2_f32_f16 v116, v3, v17, v116
	;;#ASMEND
	;; [unrolled: 13-line block ×3, first 2 shown]
	;;#ASMSTART
	v_dot2_f32_f16 v117, v18, v14, v117
	;;#ASMEND
	;;#ASMSTART
	v_dot2_f32_f16 v117, v19, v15, v117
	;;#ASMEND
	;; [unrolled: 3-line block ×4, first 2 shown]
	s_wait_dscnt 0x1
	;;#ASMSTART
	v_dot2_f32_f16 v8, v22, v10, v8
	;;#ASMEND
	;;#ASMSTART
	v_dot2_f32_f16 v8, v23, v11, v8
	;;#ASMEND
	;; [unrolled: 3-line block ×8, first 2 shown]
	s_wait_dscnt 0x0
	;;#ASMSTART
	v_dot2_f32_f16 v9, v26, v10, v9
	;;#ASMEND
	;;#ASMSTART
	v_dot2_f32_f16 v9, v27, v11, v9
	;;#ASMEND
	;; [unrolled: 3-line block ×8, first 2 shown]
	ds_load_b128 v[0:3], v89 offset:32
	ds_load_b128 v[10:13], v41 offset:32
	;; [unrolled: 1-line block ×6, first 2 shown]
	s_wait_dscnt 0x4
	;;#ASMSTART
	v_dot2_f32_f16 v6, v0, v10, v6
	;;#ASMEND
	;;#ASMSTART
	v_dot2_f32_f16 v6, v1, v11, v6
	;;#ASMEND
	;;#ASMSTART
	v_dot2_f32_f16 v6, v2, v12, v6
	;;#ASMEND
	;;#ASMSTART
	v_dot2_f32_f16 v6, v3, v13, v6
	;;#ASMEND
	s_wait_dscnt 0x3
	;;#ASMSTART
	v_dot2_f32_f16 v116, v0, v14, v116
	;;#ASMEND
	;;#ASMSTART
	v_dot2_f32_f16 v116, v1, v15, v116
	;;#ASMEND
	;;#ASMSTART
	v_dot2_f32_f16 v116, v2, v16, v116
	;;#ASMEND
	;;#ASMSTART
	v_dot2_f32_f16 v116, v3, v17, v116
	;;#ASMEND
	s_wait_dscnt 0x2
	;;#ASMSTART
	v_dot2_f32_f16 v7, v18, v10, v7
	;;#ASMEND
	;;#ASMSTART
	v_dot2_f32_f16 v7, v19, v11, v7
	;;#ASMEND
	;;#ASMSTART
	v_dot2_f32_f16 v7, v20, v12, v7
	;;#ASMEND
	;;#ASMSTART
	v_dot2_f32_f16 v7, v21, v13, v7
	;;#ASMEND
	;;#ASMSTART
	v_dot2_f32_f16 v117, v18, v14, v117
	;;#ASMEND
	;;#ASMSTART
	v_dot2_f32_f16 v117, v19, v15, v117
	;;#ASMEND
	;; [unrolled: 3-line block ×4, first 2 shown]
	s_wait_dscnt 0x1
	;;#ASMSTART
	v_dot2_f32_f16 v8, v22, v10, v8
	;;#ASMEND
	;;#ASMSTART
	v_dot2_f32_f16 v8, v23, v11, v8
	;;#ASMEND
	;; [unrolled: 3-line block ×8, first 2 shown]
	s_wait_dscnt 0x0
	;;#ASMSTART
	v_dot2_f32_f16 v9, v26, v10, v9
	;;#ASMEND
	;;#ASMSTART
	v_dot2_f32_f16 v9, v27, v11, v9
	;;#ASMEND
	;; [unrolled: 3-line block ×8, first 2 shown]
	ds_load_b128 v[0:3], v89 offset:48
	ds_load_b128 v[10:13], v41 offset:48
	;; [unrolled: 1-line block ×6, first 2 shown]
	s_wait_dscnt 0x4
	;;#ASMSTART
	v_dot2_f32_f16 v6, v0, v10, v6
	;;#ASMEND
	;;#ASMSTART
	v_dot2_f32_f16 v6, v1, v11, v6
	;;#ASMEND
	;;#ASMSTART
	v_dot2_f32_f16 v6, v2, v12, v6
	;;#ASMEND
	;;#ASMSTART
	v_dot2_f32_f16 v6, v3, v13, v6
	;;#ASMEND
	s_wait_dscnt 0x3
	;;#ASMSTART
	v_dot2_f32_f16 v116, v0, v14, v116
	;;#ASMEND
	;;#ASMSTART
	v_dot2_f32_f16 v116, v1, v15, v116
	;;#ASMEND
	;;#ASMSTART
	v_dot2_f32_f16 v116, v2, v16, v116
	;;#ASMEND
	;;#ASMSTART
	v_dot2_f32_f16 v116, v3, v17, v116
	;;#ASMEND
	;; [unrolled: 13-line block ×3, first 2 shown]
	;;#ASMSTART
	v_dot2_f32_f16 v117, v18, v14, v117
	;;#ASMEND
	;;#ASMSTART
	v_dot2_f32_f16 v117, v19, v15, v117
	;;#ASMEND
	;;#ASMSTART
	v_dot2_f32_f16 v117, v20, v16, v117
	;;#ASMEND
	;;#ASMSTART
	v_dot2_f32_f16 v117, v21, v17, v117
	;;#ASMEND
	s_wait_dscnt 0x1
	;;#ASMSTART
	v_dot2_f32_f16 v8, v22, v10, v8
	;;#ASMEND
	;;#ASMSTART
	v_dot2_f32_f16 v8, v23, v11, v8
	;;#ASMEND
	;; [unrolled: 3-line block ×8, first 2 shown]
	s_wait_dscnt 0x0
	;;#ASMSTART
	v_dot2_f32_f16 v9, v26, v10, v9
	;;#ASMEND
	;;#ASMSTART
	v_dot2_f32_f16 v9, v27, v11, v9
	;;#ASMEND
	;; [unrolled: 3-line block ×8, first 2 shown]
	ds_load_b128 v[0:3], v89 offset:64
	ds_load_b128 v[10:13], v41 offset:64
	;; [unrolled: 1-line block ×6, first 2 shown]
	s_wait_dscnt 0x4
	;;#ASMSTART
	v_dot2_f32_f16 v6, v0, v10, v6
	;;#ASMEND
	;;#ASMSTART
	v_dot2_f32_f16 v6, v1, v11, v6
	;;#ASMEND
	;;#ASMSTART
	v_dot2_f32_f16 v6, v2, v12, v6
	;;#ASMEND
	;;#ASMSTART
	v_dot2_f32_f16 v6, v3, v13, v6
	;;#ASMEND
	s_wait_dscnt 0x3
	;;#ASMSTART
	v_dot2_f32_f16 v116, v0, v14, v116
	;;#ASMEND
	;;#ASMSTART
	v_dot2_f32_f16 v116, v1, v15, v116
	;;#ASMEND
	;;#ASMSTART
	v_dot2_f32_f16 v116, v2, v16, v116
	;;#ASMEND
	;;#ASMSTART
	v_dot2_f32_f16 v116, v3, v17, v116
	;;#ASMEND
	;; [unrolled: 13-line block ×3, first 2 shown]
	;;#ASMSTART
	v_dot2_f32_f16 v117, v18, v14, v117
	;;#ASMEND
	;;#ASMSTART
	v_dot2_f32_f16 v117, v19, v15, v117
	;;#ASMEND
	;; [unrolled: 3-line block ×4, first 2 shown]
	s_wait_dscnt 0x1
	;;#ASMSTART
	v_dot2_f32_f16 v8, v22, v10, v8
	;;#ASMEND
	;;#ASMSTART
	v_dot2_f32_f16 v8, v23, v11, v8
	;;#ASMEND
	;; [unrolled: 3-line block ×8, first 2 shown]
	s_wait_dscnt 0x0
	;;#ASMSTART
	v_dot2_f32_f16 v9, v26, v10, v9
	;;#ASMEND
	;;#ASMSTART
	v_dot2_f32_f16 v9, v27, v11, v9
	;;#ASMEND
	;; [unrolled: 3-line block ×8, first 2 shown]
	ds_load_b128 v[0:3], v89 offset:80
	ds_load_b128 v[10:13], v41 offset:80
	;; [unrolled: 1-line block ×6, first 2 shown]
	s_wait_dscnt 0x4
	;;#ASMSTART
	v_dot2_f32_f16 v6, v0, v10, v6
	;;#ASMEND
	;;#ASMSTART
	v_dot2_f32_f16 v6, v1, v11, v6
	;;#ASMEND
	;;#ASMSTART
	v_dot2_f32_f16 v6, v2, v12, v6
	;;#ASMEND
	;;#ASMSTART
	v_dot2_f32_f16 v6, v3, v13, v6
	;;#ASMEND
	s_wait_dscnt 0x3
	;;#ASMSTART
	v_dot2_f32_f16 v116, v0, v14, v116
	;;#ASMEND
	;;#ASMSTART
	v_dot2_f32_f16 v116, v1, v15, v116
	;;#ASMEND
	;;#ASMSTART
	v_dot2_f32_f16 v116, v2, v16, v116
	;;#ASMEND
	;;#ASMSTART
	v_dot2_f32_f16 v116, v3, v17, v116
	;;#ASMEND
	;; [unrolled: 13-line block ×3, first 2 shown]
	;;#ASMSTART
	v_dot2_f32_f16 v117, v18, v14, v117
	;;#ASMEND
	;;#ASMSTART
	v_dot2_f32_f16 v117, v19, v15, v117
	;;#ASMEND
	;; [unrolled: 3-line block ×4, first 2 shown]
	s_wait_dscnt 0x1
	;;#ASMSTART
	v_dot2_f32_f16 v8, v22, v10, v8
	;;#ASMEND
	;;#ASMSTART
	v_dot2_f32_f16 v8, v23, v11, v8
	;;#ASMEND
	;; [unrolled: 3-line block ×8, first 2 shown]
	s_wait_dscnt 0x0
	;;#ASMSTART
	v_dot2_f32_f16 v9, v26, v10, v9
	;;#ASMEND
	;;#ASMSTART
	v_dot2_f32_f16 v9, v27, v11, v9
	;;#ASMEND
	;; [unrolled: 3-line block ×8, first 2 shown]
	ds_load_b128 v[0:3], v89 offset:96
	ds_load_b128 v[10:13], v41 offset:96
	;; [unrolled: 1-line block ×6, first 2 shown]
	s_wait_dscnt 0x4
	;;#ASMSTART
	v_dot2_f32_f16 v6, v0, v10, v6
	;;#ASMEND
	;;#ASMSTART
	v_dot2_f32_f16 v6, v1, v11, v6
	;;#ASMEND
	;;#ASMSTART
	v_dot2_f32_f16 v6, v2, v12, v6
	;;#ASMEND
	;;#ASMSTART
	v_dot2_f32_f16 v6, v3, v13, v6
	;;#ASMEND
	s_wait_dscnt 0x3
	;;#ASMSTART
	v_dot2_f32_f16 v116, v0, v14, v116
	;;#ASMEND
	;;#ASMSTART
	v_dot2_f32_f16 v116, v1, v15, v116
	;;#ASMEND
	;;#ASMSTART
	v_dot2_f32_f16 v116, v2, v16, v116
	;;#ASMEND
	;;#ASMSTART
	v_dot2_f32_f16 v116, v3, v17, v116
	;;#ASMEND
	;; [unrolled: 13-line block ×3, first 2 shown]
	;;#ASMSTART
	v_dot2_f32_f16 v117, v18, v14, v117
	;;#ASMEND
	;;#ASMSTART
	v_dot2_f32_f16 v117, v19, v15, v117
	;;#ASMEND
	;; [unrolled: 3-line block ×4, first 2 shown]
	s_wait_dscnt 0x1
	;;#ASMSTART
	v_dot2_f32_f16 v8, v22, v10, v8
	;;#ASMEND
	;;#ASMSTART
	v_dot2_f32_f16 v8, v23, v11, v8
	;;#ASMEND
	;; [unrolled: 3-line block ×8, first 2 shown]
	s_wait_dscnt 0x0
	;;#ASMSTART
	v_dot2_f32_f16 v9, v26, v10, v9
	;;#ASMEND
	;;#ASMSTART
	v_dot2_f32_f16 v9, v27, v11, v9
	;;#ASMEND
	;; [unrolled: 3-line block ×8, first 2 shown]
	ds_load_b128 v[0:3], v89 offset:112
	ds_load_b128 v[10:13], v41 offset:112
	;; [unrolled: 1-line block ×6, first 2 shown]
	s_wait_dscnt 0x4
	;;#ASMSTART
	v_dot2_f32_f16 v6, v0, v10, v6
	;;#ASMEND
	;;#ASMSTART
	v_dot2_f32_f16 v6, v1, v11, v6
	;;#ASMEND
	;;#ASMSTART
	v_dot2_f32_f16 v6, v2, v12, v6
	;;#ASMEND
	;;#ASMSTART
	v_dot2_f32_f16 v6, v3, v13, v6
	;;#ASMEND
	s_wait_dscnt 0x3
	;;#ASMSTART
	v_dot2_f32_f16 v116, v0, v14, v116
	;;#ASMEND
	;;#ASMSTART
	v_dot2_f32_f16 v116, v1, v15, v116
	;;#ASMEND
	;;#ASMSTART
	v_dot2_f32_f16 v116, v2, v16, v116
	;;#ASMEND
	;;#ASMSTART
	v_dot2_f32_f16 v116, v3, v17, v116
	;;#ASMEND
	;; [unrolled: 13-line block ×3, first 2 shown]
	;;#ASMSTART
	v_dot2_f32_f16 v117, v18, v14, v117
	;;#ASMEND
	;;#ASMSTART
	v_dot2_f32_f16 v117, v19, v15, v117
	;;#ASMEND
	;; [unrolled: 3-line block ×4, first 2 shown]
	s_wait_dscnt 0x1
	;;#ASMSTART
	v_dot2_f32_f16 v8, v22, v10, v8
	;;#ASMEND
	;;#ASMSTART
	v_dot2_f32_f16 v8, v23, v11, v8
	;;#ASMEND
	;; [unrolled: 3-line block ×8, first 2 shown]
	s_wait_dscnt 0x0
	;;#ASMSTART
	v_dot2_f32_f16 v9, v26, v10, v9
	;;#ASMEND
	;;#ASMSTART
	v_dot2_f32_f16 v9, v27, v11, v9
	;;#ASMEND
	;; [unrolled: 3-line block ×8, first 2 shown]
	ds_load_b128 v[0:3], v89 offset:128
	ds_load_b128 v[10:13], v41 offset:128
	;; [unrolled: 1-line block ×6, first 2 shown]
	s_wait_dscnt 0x4
	;;#ASMSTART
	v_dot2_f32_f16 v6, v0, v10, v6
	;;#ASMEND
	;;#ASMSTART
	v_dot2_f32_f16 v6, v1, v11, v6
	;;#ASMEND
	;;#ASMSTART
	v_dot2_f32_f16 v6, v2, v12, v6
	;;#ASMEND
	;;#ASMSTART
	v_dot2_f32_f16 v6, v3, v13, v6
	;;#ASMEND
	s_wait_dscnt 0x3
	;;#ASMSTART
	v_dot2_f32_f16 v116, v0, v14, v116
	;;#ASMEND
	;;#ASMSTART
	v_dot2_f32_f16 v116, v1, v15, v116
	;;#ASMEND
	;;#ASMSTART
	v_dot2_f32_f16 v116, v2, v16, v116
	;;#ASMEND
	;;#ASMSTART
	v_dot2_f32_f16 v116, v3, v17, v116
	;;#ASMEND
	;; [unrolled: 13-line block ×3, first 2 shown]
	;;#ASMSTART
	v_dot2_f32_f16 v117, v18, v14, v117
	;;#ASMEND
	;;#ASMSTART
	v_dot2_f32_f16 v117, v19, v15, v117
	;;#ASMEND
	;; [unrolled: 3-line block ×4, first 2 shown]
	s_wait_dscnt 0x1
	;;#ASMSTART
	v_dot2_f32_f16 v8, v22, v10, v8
	;;#ASMEND
	;;#ASMSTART
	v_dot2_f32_f16 v8, v23, v11, v8
	;;#ASMEND
	;; [unrolled: 3-line block ×8, first 2 shown]
	s_wait_dscnt 0x0
	;;#ASMSTART
	v_dot2_f32_f16 v9, v26, v10, v9
	;;#ASMEND
	;;#ASMSTART
	v_dot2_f32_f16 v9, v27, v11, v9
	;;#ASMEND
	;; [unrolled: 3-line block ×8, first 2 shown]
	ds_load_b128 v[0:3], v89 offset:144
	ds_load_b128 v[10:13], v41 offset:144
	;; [unrolled: 1-line block ×6, first 2 shown]
	s_wait_dscnt 0x4
	;;#ASMSTART
	v_dot2_f32_f16 v6, v0, v10, v6
	;;#ASMEND
	;;#ASMSTART
	v_dot2_f32_f16 v6, v1, v11, v6
	;;#ASMEND
	;;#ASMSTART
	v_dot2_f32_f16 v6, v2, v12, v6
	;;#ASMEND
	;;#ASMSTART
	v_dot2_f32_f16 v6, v3, v13, v6
	;;#ASMEND
	s_wait_dscnt 0x3
	;;#ASMSTART
	v_dot2_f32_f16 v116, v0, v14, v116
	;;#ASMEND
	;;#ASMSTART
	v_dot2_f32_f16 v116, v1, v15, v116
	;;#ASMEND
	;;#ASMSTART
	v_dot2_f32_f16 v116, v2, v16, v116
	;;#ASMEND
	;;#ASMSTART
	v_dot2_f32_f16 v116, v3, v17, v116
	;;#ASMEND
	;; [unrolled: 13-line block ×3, first 2 shown]
	;;#ASMSTART
	v_dot2_f32_f16 v117, v18, v14, v117
	;;#ASMEND
	;;#ASMSTART
	v_dot2_f32_f16 v117, v19, v15, v117
	;;#ASMEND
	;; [unrolled: 3-line block ×4, first 2 shown]
	s_wait_dscnt 0x1
	;;#ASMSTART
	v_dot2_f32_f16 v8, v22, v10, v8
	;;#ASMEND
	;;#ASMSTART
	v_dot2_f32_f16 v8, v23, v11, v8
	;;#ASMEND
	;; [unrolled: 3-line block ×8, first 2 shown]
	s_wait_dscnt 0x0
	;;#ASMSTART
	v_dot2_f32_f16 v9, v26, v10, v9
	;;#ASMEND
	;;#ASMSTART
	v_dot2_f32_f16 v9, v27, v11, v9
	;;#ASMEND
	;; [unrolled: 3-line block ×8, first 2 shown]
	ds_load_b128 v[0:3], v89 offset:160
	ds_load_b128 v[10:13], v41 offset:160
	;; [unrolled: 1-line block ×6, first 2 shown]
	s_wait_dscnt 0x4
	;;#ASMSTART
	v_dot2_f32_f16 v6, v0, v10, v6
	;;#ASMEND
	;;#ASMSTART
	v_dot2_f32_f16 v6, v1, v11, v6
	;;#ASMEND
	;;#ASMSTART
	v_dot2_f32_f16 v6, v2, v12, v6
	;;#ASMEND
	;;#ASMSTART
	v_dot2_f32_f16 v6, v3, v13, v6
	;;#ASMEND
	s_wait_dscnt 0x3
	;;#ASMSTART
	v_dot2_f32_f16 v116, v0, v14, v116
	;;#ASMEND
	;;#ASMSTART
	v_dot2_f32_f16 v116, v1, v15, v116
	;;#ASMEND
	;;#ASMSTART
	v_dot2_f32_f16 v116, v2, v16, v116
	;;#ASMEND
	;;#ASMSTART
	v_dot2_f32_f16 v116, v3, v17, v116
	;;#ASMEND
	;; [unrolled: 13-line block ×3, first 2 shown]
	;;#ASMSTART
	v_dot2_f32_f16 v117, v18, v14, v117
	;;#ASMEND
	;;#ASMSTART
	v_dot2_f32_f16 v117, v19, v15, v117
	;;#ASMEND
	;; [unrolled: 3-line block ×4, first 2 shown]
	s_wait_dscnt 0x1
	;;#ASMSTART
	v_dot2_f32_f16 v8, v22, v10, v8
	;;#ASMEND
	;;#ASMSTART
	v_dot2_f32_f16 v8, v23, v11, v8
	;;#ASMEND
	;; [unrolled: 3-line block ×8, first 2 shown]
	s_wait_dscnt 0x0
	;;#ASMSTART
	v_dot2_f32_f16 v9, v26, v10, v9
	;;#ASMEND
	;;#ASMSTART
	v_dot2_f32_f16 v9, v27, v11, v9
	;;#ASMEND
	;; [unrolled: 3-line block ×8, first 2 shown]
	ds_load_b128 v[0:3], v89 offset:176
	ds_load_b128 v[10:13], v41 offset:176
	;; [unrolled: 1-line block ×6, first 2 shown]
	s_wait_dscnt 0x4
	;;#ASMSTART
	v_dot2_f32_f16 v6, v0, v10, v6
	;;#ASMEND
	;;#ASMSTART
	v_dot2_f32_f16 v6, v1, v11, v6
	;;#ASMEND
	;;#ASMSTART
	v_dot2_f32_f16 v6, v2, v12, v6
	;;#ASMEND
	;;#ASMSTART
	v_dot2_f32_f16 v6, v3, v13, v6
	;;#ASMEND
	s_wait_dscnt 0x3
	;;#ASMSTART
	v_dot2_f32_f16 v116, v0, v14, v116
	;;#ASMEND
	;;#ASMSTART
	v_dot2_f32_f16 v116, v1, v15, v116
	;;#ASMEND
	;;#ASMSTART
	v_dot2_f32_f16 v116, v2, v16, v116
	;;#ASMEND
	;;#ASMSTART
	v_dot2_f32_f16 v116, v3, v17, v116
	;;#ASMEND
	;; [unrolled: 13-line block ×3, first 2 shown]
	;;#ASMSTART
	v_dot2_f32_f16 v117, v18, v14, v117
	;;#ASMEND
	;;#ASMSTART
	v_dot2_f32_f16 v117, v19, v15, v117
	;;#ASMEND
	;; [unrolled: 3-line block ×4, first 2 shown]
	s_wait_dscnt 0x1
	;;#ASMSTART
	v_dot2_f32_f16 v8, v22, v10, v8
	;;#ASMEND
	;;#ASMSTART
	v_dot2_f32_f16 v8, v23, v11, v8
	;;#ASMEND
	;; [unrolled: 3-line block ×8, first 2 shown]
	s_wait_dscnt 0x0
	;;#ASMSTART
	v_dot2_f32_f16 v9, v26, v10, v9
	;;#ASMEND
	;;#ASMSTART
	v_dot2_f32_f16 v9, v27, v11, v9
	;;#ASMEND
	;;#ASMSTART
	v_dot2_f32_f16 v9, v28, v12, v9
	;;#ASMEND
	;;#ASMSTART
	v_dot2_f32_f16 v9, v29, v13, v9
	;;#ASMEND
	;;#ASMSTART
	v_dot2_f32_f16 v119, v26, v14, v119
	;;#ASMEND
	;;#ASMSTART
	v_dot2_f32_f16 v119, v27, v15, v119
	;;#ASMEND
	;;#ASMSTART
	v_dot2_f32_f16 v119, v28, v16, v119
	;;#ASMEND
	;;#ASMSTART
	v_dot2_f32_f16 v119, v29, v17, v119
	;;#ASMEND
	ds_load_b128 v[0:3], v89 offset:192
	ds_load_b128 v[10:13], v41 offset:192
	;; [unrolled: 1-line block ×6, first 2 shown]
	s_wait_dscnt 0x4
	;;#ASMSTART
	v_dot2_f32_f16 v6, v0, v10, v6
	;;#ASMEND
	;;#ASMSTART
	v_dot2_f32_f16 v6, v1, v11, v6
	;;#ASMEND
	;;#ASMSTART
	v_dot2_f32_f16 v6, v2, v12, v6
	;;#ASMEND
	;;#ASMSTART
	v_dot2_f32_f16 v6, v3, v13, v6
	;;#ASMEND
	s_wait_dscnt 0x3
	;;#ASMSTART
	v_dot2_f32_f16 v116, v0, v14, v116
	;;#ASMEND
	;;#ASMSTART
	v_dot2_f32_f16 v116, v1, v15, v116
	;;#ASMEND
	;;#ASMSTART
	v_dot2_f32_f16 v116, v2, v16, v116
	;;#ASMEND
	;;#ASMSTART
	v_dot2_f32_f16 v116, v3, v17, v116
	;;#ASMEND
	;; [unrolled: 13-line block ×3, first 2 shown]
	;;#ASMSTART
	v_dot2_f32_f16 v117, v18, v14, v117
	;;#ASMEND
	;;#ASMSTART
	v_dot2_f32_f16 v117, v19, v15, v117
	;;#ASMEND
	;; [unrolled: 3-line block ×4, first 2 shown]
	s_wait_dscnt 0x1
	;;#ASMSTART
	v_dot2_f32_f16 v8, v22, v10, v8
	;;#ASMEND
	;;#ASMSTART
	v_dot2_f32_f16 v8, v23, v11, v8
	;;#ASMEND
	;; [unrolled: 3-line block ×8, first 2 shown]
	s_wait_dscnt 0x0
	;;#ASMSTART
	v_dot2_f32_f16 v9, v26, v10, v9
	;;#ASMEND
	;;#ASMSTART
	v_dot2_f32_f16 v9, v27, v11, v9
	;;#ASMEND
	;; [unrolled: 3-line block ×8, first 2 shown]
	ds_load_b128 v[0:3], v89 offset:208
	ds_load_b128 v[10:13], v41 offset:208
	;; [unrolled: 1-line block ×6, first 2 shown]
	s_wait_dscnt 0x4
	;;#ASMSTART
	v_dot2_f32_f16 v6, v0, v10, v6
	;;#ASMEND
	;;#ASMSTART
	v_dot2_f32_f16 v6, v1, v11, v6
	;;#ASMEND
	;;#ASMSTART
	v_dot2_f32_f16 v6, v2, v12, v6
	;;#ASMEND
	;;#ASMSTART
	v_dot2_f32_f16 v6, v3, v13, v6
	;;#ASMEND
	s_wait_dscnt 0x3
	;;#ASMSTART
	v_dot2_f32_f16 v116, v0, v14, v116
	;;#ASMEND
	;;#ASMSTART
	v_dot2_f32_f16 v116, v1, v15, v116
	;;#ASMEND
	;;#ASMSTART
	v_dot2_f32_f16 v116, v2, v16, v116
	;;#ASMEND
	;;#ASMSTART
	v_dot2_f32_f16 v116, v3, v17, v116
	;;#ASMEND
	;; [unrolled: 13-line block ×3, first 2 shown]
	;;#ASMSTART
	v_dot2_f32_f16 v117, v18, v14, v117
	;;#ASMEND
	;;#ASMSTART
	v_dot2_f32_f16 v117, v19, v15, v117
	;;#ASMEND
	;; [unrolled: 3-line block ×4, first 2 shown]
	s_wait_dscnt 0x1
	;;#ASMSTART
	v_dot2_f32_f16 v8, v22, v10, v8
	;;#ASMEND
	;;#ASMSTART
	v_dot2_f32_f16 v8, v23, v11, v8
	;;#ASMEND
	;; [unrolled: 3-line block ×8, first 2 shown]
	s_wait_dscnt 0x0
	;;#ASMSTART
	v_dot2_f32_f16 v9, v26, v10, v9
	;;#ASMEND
	;;#ASMSTART
	v_dot2_f32_f16 v9, v27, v11, v9
	;;#ASMEND
	;; [unrolled: 3-line block ×8, first 2 shown]
	ds_load_b128 v[0:3], v89 offset:224
	ds_load_b128 v[10:13], v41 offset:224
	;; [unrolled: 1-line block ×6, first 2 shown]
	s_wait_dscnt 0x4
	;;#ASMSTART
	v_dot2_f32_f16 v6, v0, v10, v6
	;;#ASMEND
	;;#ASMSTART
	v_dot2_f32_f16 v6, v1, v11, v6
	;;#ASMEND
	;;#ASMSTART
	v_dot2_f32_f16 v6, v2, v12, v6
	;;#ASMEND
	;;#ASMSTART
	v_dot2_f32_f16 v6, v3, v13, v6
	;;#ASMEND
	s_wait_dscnt 0x3
	;;#ASMSTART
	v_dot2_f32_f16 v116, v0, v14, v116
	;;#ASMEND
	;;#ASMSTART
	v_dot2_f32_f16 v116, v1, v15, v116
	;;#ASMEND
	;;#ASMSTART
	v_dot2_f32_f16 v116, v2, v16, v116
	;;#ASMEND
	;;#ASMSTART
	v_dot2_f32_f16 v116, v3, v17, v116
	;;#ASMEND
	s_wait_dscnt 0x2
	;;#ASMSTART
	v_dot2_f32_f16 v7, v18, v10, v7
	;;#ASMEND
	;;#ASMSTART
	v_dot2_f32_f16 v7, v19, v11, v7
	;;#ASMEND
	;;#ASMSTART
	v_dot2_f32_f16 v7, v20, v12, v7
	;;#ASMEND
	;;#ASMSTART
	v_dot2_f32_f16 v7, v21, v13, v7
	;;#ASMEND
	;;#ASMSTART
	v_dot2_f32_f16 v117, v18, v14, v117
	;;#ASMEND
	;;#ASMSTART
	v_dot2_f32_f16 v117, v19, v15, v117
	;;#ASMEND
	;; [unrolled: 3-line block ×4, first 2 shown]
	s_wait_dscnt 0x1
	;;#ASMSTART
	v_dot2_f32_f16 v8, v22, v10, v8
	;;#ASMEND
	;;#ASMSTART
	v_dot2_f32_f16 v8, v23, v11, v8
	;;#ASMEND
	;; [unrolled: 3-line block ×8, first 2 shown]
	s_wait_dscnt 0x0
	;;#ASMSTART
	v_dot2_f32_f16 v9, v26, v10, v9
	;;#ASMEND
	;;#ASMSTART
	v_dot2_f32_f16 v9, v27, v11, v9
	;;#ASMEND
	;; [unrolled: 3-line block ×8, first 2 shown]
	ds_load_b128 v[0:3], v89 offset:240
	ds_load_b128 v[10:13], v41 offset:240
	;; [unrolled: 1-line block ×6, first 2 shown]
	s_wait_dscnt 0x4
	;;#ASMSTART
	v_dot2_f32_f16 v6, v0, v10, v6
	;;#ASMEND
	;;#ASMSTART
	v_dot2_f32_f16 v6, v1, v11, v6
	;;#ASMEND
	;;#ASMSTART
	v_dot2_f32_f16 v6, v2, v12, v6
	;;#ASMEND
	;;#ASMSTART
	v_dot2_f32_f16 v6, v3, v13, v6
	;;#ASMEND
	s_wait_dscnt 0x3
	;;#ASMSTART
	v_dot2_f32_f16 v116, v0, v14, v116
	;;#ASMEND
	;;#ASMSTART
	v_dot2_f32_f16 v116, v1, v15, v116
	;;#ASMEND
	;;#ASMSTART
	v_dot2_f32_f16 v116, v2, v16, v116
	;;#ASMEND
	;;#ASMSTART
	v_dot2_f32_f16 v116, v3, v17, v116
	;;#ASMEND
	;; [unrolled: 13-line block ×3, first 2 shown]
	;;#ASMSTART
	v_dot2_f32_f16 v117, v18, v14, v117
	;;#ASMEND
	;;#ASMSTART
	v_dot2_f32_f16 v117, v19, v15, v117
	;;#ASMEND
	;;#ASMSTART
	v_dot2_f32_f16 v117, v20, v16, v117
	;;#ASMEND
	;;#ASMSTART
	v_dot2_f32_f16 v117, v21, v17, v117
	;;#ASMEND
	s_wait_dscnt 0x1
	;;#ASMSTART
	v_dot2_f32_f16 v8, v22, v10, v8
	;;#ASMEND
	;;#ASMSTART
	v_dot2_f32_f16 v8, v23, v11, v8
	;;#ASMEND
	;; [unrolled: 3-line block ×8, first 2 shown]
	s_wait_dscnt 0x0
	;;#ASMSTART
	v_dot2_f32_f16 v9, v26, v10, v9
	;;#ASMEND
	v_cmp_ngt_f32_e64 s12, 0x3f200000, |v6|
	;;#ASMSTART
	v_dot2_f32_f16 v9, v27, v11, v9
	;;#ASMEND
	;;#ASMSTART
	v_dot2_f32_f16 v9, v28, v12, v9
	;;#ASMEND
	;; [unrolled: 3-line block ×7, first 2 shown]
                                        ; implicit-def: $vgpr1
	s_and_saveexec_b32 s13, s12
	s_delay_alu instid0(SALU_CYCLE_1)
	s_xor_b32 s12, exec_lo, s13
	s_cbranch_execz .LBB88_10
; %bb.9:                                ;   in Loop: Header=BB88_8 Depth=1
	v_add_f32_e64 v0, |v6|, |v6|
	s_delay_alu instid0(VALU_DEP_1) | instskip(SKIP_1) | instid1(VALU_DEP_2)
	v_mul_f32_e32 v1, 0x3fb8aa3b, v0
	v_cmp_ngt_f32_e32 vcc_lo, 0xc2ce8ed0, v0
	v_rndne_f32_e32 v2, v1
	v_fma_f32 v3, 0x3fb8aa3b, v0, -v1
	s_delay_alu instid0(VALU_DEP_2) | instskip(NEXT) | instid1(VALU_DEP_2)
	v_sub_f32_e32 v1, v1, v2
	v_fmac_f32_e32 v3, 0x32a5705f, v0
	v_cvt_i32_f32_e32 v2, v2
	s_delay_alu instid0(VALU_DEP_2) | instskip(NEXT) | instid1(VALU_DEP_1)
	v_add_f32_e32 v1, v1, v3
	v_exp_f32_e32 v1, v1
	v_nop
	s_delay_alu instid0(TRANS32_DEP_1) | instskip(NEXT) | instid1(VALU_DEP_1)
	v_ldexp_f32 v1, v1, v2
	v_cndmask_b32_e32 v1, 0, v1, vcc_lo
	v_cmp_nlt_f32_e32 vcc_lo, 0x42b17218, v0
	s_delay_alu instid0(VALU_DEP_2) | instskip(NEXT) | instid1(VALU_DEP_1)
	v_cndmask_b32_e32 v0, 0x7f800000, v1, vcc_lo
	v_add_f32_e32 v0, 1.0, v0
	s_delay_alu instid0(VALU_DEP_1) | instskip(SKIP_1) | instid1(TRANS32_DEP_1)
	v_rcp_f32_e32 v0, v0
	v_nop
	v_fma_f32 v1, v0, -2.0, 1.0
.LBB88_10:                              ;   in Loop: Header=BB88_8 Depth=1
	s_and_not1_saveexec_b32 s12, s12
	s_cbranch_execz .LBB88_12
; %bb.11:                               ;   in Loop: Header=BB88_8 Depth=1
	v_mul_f32_e32 v0, v6, v6
	s_delay_alu instid0(VALU_DEP_1) | instskip(NEXT) | instid1(VALU_DEP_1)
	v_fmaak_f32 v1, s11, v0, 0x3ca908c9
	v_fmaak_f32 v1, v0, v1, 0xbd5c1c4e
	s_delay_alu instid0(VALU_DEP_1) | instskip(NEXT) | instid1(VALU_DEP_1)
	v_fmaak_f32 v1, v0, v1, 0x3e088382
	v_fmaak_f32 v1, v0, v1, 0xbeaaaa99
	s_delay_alu instid0(VALU_DEP_1) | instskip(NEXT) | instid1(VALU_DEP_1)
	v_mul_f32_e64 v1, |v6|, v1
	v_fma_f32 v1, v0, v1, |v6|
.LBB88_12:                              ;   in Loop: Header=BB88_8 Depth=1
	s_or_b32 exec_lo, exec_lo, s12
	v_mul_lo_u32 v2, v42, s36
	v_add_nc_u32_e32 v0, s18, v112
	s_and_not1_b32 vcc_lo, exec_lo, s10
	s_delay_alu instid0(VALU_DEP_1)
	v_add_nc_u32_e32 v2, v0, v2
	s_cbranch_vccnz .LBB88_59
; %bb.13:                               ;   in Loop: Header=BB88_8 Depth=1
	global_load_u16 v3, v2, s[14:15] scale_offset
	s_wait_loadcnt 0x0
	v_cvt_f32_f16_e32 v3, v3
	s_delay_alu instid0(VALU_DEP_1) | instskip(SKIP_2) | instid1(SALU_CYCLE_1)
	v_mul_f32_e32 v36, v87, v3
	v_cmp_ngt_f32_e64 s12, 0x3f200000, |v7|
                                        ; implicit-def: $vgpr3
	s_and_saveexec_b32 s13, s12
	s_xor_b32 s12, exec_lo, s13
	s_cbranch_execz .LBB88_15
.LBB88_14:                              ;   in Loop: Header=BB88_8 Depth=1
	v_add_f32_e64 v3, |v7|, |v7|
	s_delay_alu instid0(VALU_DEP_1) | instskip(SKIP_1) | instid1(VALU_DEP_2)
	v_mul_f32_e32 v4, 0x3fb8aa3b, v3
	v_cmp_ngt_f32_e32 vcc_lo, 0xc2ce8ed0, v3
	v_rndne_f32_e32 v5, v4
	v_fma_f32 v10, 0x3fb8aa3b, v3, -v4
	s_delay_alu instid0(VALU_DEP_2) | instskip(NEXT) | instid1(VALU_DEP_2)
	v_sub_f32_e32 v4, v4, v5
	v_fmac_f32_e32 v10, 0x32a5705f, v3
	v_cvt_i32_f32_e32 v5, v5
	s_delay_alu instid0(VALU_DEP_2) | instskip(NEXT) | instid1(VALU_DEP_1)
	v_add_f32_e32 v4, v4, v10
	v_exp_f32_e32 v4, v4
	v_nop
	s_delay_alu instid0(TRANS32_DEP_1) | instskip(NEXT) | instid1(VALU_DEP_1)
	v_ldexp_f32 v4, v4, v5
	v_cndmask_b32_e32 v4, 0, v4, vcc_lo
	v_cmp_nlt_f32_e32 vcc_lo, 0x42b17218, v3
	s_delay_alu instid0(VALU_DEP_2) | instskip(NEXT) | instid1(VALU_DEP_1)
	v_cndmask_b32_e32 v3, 0x7f800000, v4, vcc_lo
	v_add_f32_e32 v3, 1.0, v3
	s_delay_alu instid0(VALU_DEP_1) | instskip(SKIP_1) | instid1(TRANS32_DEP_1)
	v_rcp_f32_e32 v3, v3
	v_nop
	v_fma_f32 v3, v3, -2.0, 1.0
.LBB88_15:                              ;   in Loop: Header=BB88_8 Depth=1
	s_and_not1_saveexec_b32 s12, s12
	s_cbranch_execz .LBB88_18
; %bb.16:                               ;   in Loop: Header=BB88_8 Depth=1
	v_mul_f32_e32 v3, v7, v7
	s_delay_alu instid0(VALU_DEP_1) | instskip(NEXT) | instid1(VALU_DEP_1)
	v_fmaak_f32 v4, s11, v3, 0x3ca908c9
	v_fmaak_f32 v4, v3, v4, 0xbd5c1c4e
	s_delay_alu instid0(VALU_DEP_1) | instskip(NEXT) | instid1(VALU_DEP_1)
	v_fmaak_f32 v4, v3, v4, 0x3e088382
	v_fmaak_f32 v4, v3, v4, 0xbeaaaa99
	s_delay_alu instid0(VALU_DEP_1) | instskip(NEXT) | instid1(VALU_DEP_1)
	v_mul_f32_e64 v4, |v7|, v4
	v_fma_f32 v3, v3, v4, |v7|
	s_or_b32 exec_lo, exec_lo, s12
	s_delay_alu instid0(SALU_CYCLE_1)
	s_and_not1_b32 vcc_lo, exec_lo, s10
	s_cbranch_vccz .LBB88_19
.LBB88_17:                              ;   in Loop: Header=BB88_8 Depth=1
	v_mov_b32_e32 v37, 0
	v_cmp_ngt_f32_e64 s12, 0x3f200000, |v8|
                                        ; implicit-def: $vgpr4
	s_and_saveexec_b32 s13, s12
	s_delay_alu instid0(SALU_CYCLE_1)
	s_xor_b32 s12, exec_lo, s13
	s_cbranch_execz .LBB88_21
	s_branch .LBB88_20
.LBB88_18:                              ;   in Loop: Header=BB88_8 Depth=1
	s_or_b32 exec_lo, exec_lo, s12
	s_delay_alu instid0(SALU_CYCLE_1)
	s_and_not1_b32 vcc_lo, exec_lo, s10
	s_cbranch_vccnz .LBB88_17
.LBB88_19:                              ;   in Loop: Header=BB88_8 Depth=1
	global_load_u16 v4, v2, s[14:15] offset:64 scale_offset
	s_wait_loadcnt 0x0
	v_cvt_f32_f16_e32 v4, v4
	s_delay_alu instid0(VALU_DEP_1) | instskip(SKIP_2) | instid1(SALU_CYCLE_1)
	v_mul_f32_e32 v37, v87, v4
	v_cmp_ngt_f32_e64 s12, 0x3f200000, |v8|
                                        ; implicit-def: $vgpr4
	s_and_saveexec_b32 s13, s12
	s_xor_b32 s12, exec_lo, s13
	s_cbranch_execz .LBB88_21
.LBB88_20:                              ;   in Loop: Header=BB88_8 Depth=1
	v_add_f32_e64 v4, |v8|, |v8|
	s_delay_alu instid0(VALU_DEP_1) | instskip(SKIP_1) | instid1(VALU_DEP_2)
	v_mul_f32_e32 v5, 0x3fb8aa3b, v4
	v_cmp_ngt_f32_e32 vcc_lo, 0xc2ce8ed0, v4
	v_rndne_f32_e32 v10, v5
	v_fma_f32 v11, 0x3fb8aa3b, v4, -v5
	s_delay_alu instid0(VALU_DEP_2) | instskip(NEXT) | instid1(VALU_DEP_2)
	v_sub_f32_e32 v5, v5, v10
	v_fmac_f32_e32 v11, 0x32a5705f, v4
	v_cvt_i32_f32_e32 v10, v10
	s_delay_alu instid0(VALU_DEP_2) | instskip(NEXT) | instid1(VALU_DEP_1)
	v_add_f32_e32 v5, v5, v11
	v_exp_f32_e32 v5, v5
	v_nop
	s_delay_alu instid0(TRANS32_DEP_1) | instskip(NEXT) | instid1(VALU_DEP_1)
	v_ldexp_f32 v5, v5, v10
	v_cndmask_b32_e32 v5, 0, v5, vcc_lo
	v_cmp_nlt_f32_e32 vcc_lo, 0x42b17218, v4
	s_delay_alu instid0(VALU_DEP_2) | instskip(NEXT) | instid1(VALU_DEP_1)
	v_cndmask_b32_e32 v4, 0x7f800000, v5, vcc_lo
	v_add_f32_e32 v4, 1.0, v4
	s_delay_alu instid0(VALU_DEP_1) | instskip(SKIP_1) | instid1(TRANS32_DEP_1)
	v_rcp_f32_e32 v4, v4
	v_nop
	v_fma_f32 v4, v4, -2.0, 1.0
.LBB88_21:                              ;   in Loop: Header=BB88_8 Depth=1
	s_and_not1_saveexec_b32 s12, s12
	s_cbranch_execz .LBB88_24
; %bb.22:                               ;   in Loop: Header=BB88_8 Depth=1
	v_mul_f32_e32 v4, v8, v8
	s_delay_alu instid0(VALU_DEP_1) | instskip(NEXT) | instid1(VALU_DEP_1)
	v_fmaak_f32 v5, s11, v4, 0x3ca908c9
	v_fmaak_f32 v5, v4, v5, 0xbd5c1c4e
	s_delay_alu instid0(VALU_DEP_1) | instskip(NEXT) | instid1(VALU_DEP_1)
	v_fmaak_f32 v5, v4, v5, 0x3e088382
	v_fmaak_f32 v5, v4, v5, 0xbeaaaa99
	s_delay_alu instid0(VALU_DEP_1) | instskip(NEXT) | instid1(VALU_DEP_1)
	v_mul_f32_e64 v5, |v8|, v5
	v_fma_f32 v4, v4, v5, |v8|
	s_or_b32 exec_lo, exec_lo, s12
	s_delay_alu instid0(SALU_CYCLE_1)
	s_and_not1_b32 vcc_lo, exec_lo, s10
	s_cbranch_vccz .LBB88_25
.LBB88_23:                              ;   in Loop: Header=BB88_8 Depth=1
	v_mov_b32_e32 v38, 0
	v_cmp_ngt_f32_e64 s12, 0x3f200000, |v9|
                                        ; implicit-def: $vgpr5
	s_and_saveexec_b32 s13, s12
	s_delay_alu instid0(SALU_CYCLE_1)
	s_xor_b32 s12, exec_lo, s13
	s_cbranch_execz .LBB88_27
	s_branch .LBB88_26
.LBB88_24:                              ;   in Loop: Header=BB88_8 Depth=1
	s_or_b32 exec_lo, exec_lo, s12
	s_delay_alu instid0(SALU_CYCLE_1)
	s_and_not1_b32 vcc_lo, exec_lo, s10
	s_cbranch_vccnz .LBB88_23
.LBB88_25:                              ;   in Loop: Header=BB88_8 Depth=1
	global_load_u16 v5, v2, s[14:15] offset:128 scale_offset
	s_wait_loadcnt 0x0
	v_cvt_f32_f16_e32 v5, v5
	s_delay_alu instid0(VALU_DEP_1) | instskip(SKIP_2) | instid1(SALU_CYCLE_1)
	v_mul_f32_e32 v38, v87, v5
	v_cmp_ngt_f32_e64 s12, 0x3f200000, |v9|
                                        ; implicit-def: $vgpr5
	s_and_saveexec_b32 s13, s12
	s_xor_b32 s12, exec_lo, s13
	s_cbranch_execz .LBB88_27
.LBB88_26:                              ;   in Loop: Header=BB88_8 Depth=1
	v_add_f32_e64 v5, |v9|, |v9|
	s_delay_alu instid0(VALU_DEP_1) | instskip(SKIP_1) | instid1(VALU_DEP_2)
	v_mul_f32_e32 v10, 0x3fb8aa3b, v5
	v_cmp_ngt_f32_e32 vcc_lo, 0xc2ce8ed0, v5
	v_rndne_f32_e32 v11, v10
	v_fma_f32 v12, 0x3fb8aa3b, v5, -v10
	s_delay_alu instid0(VALU_DEP_2) | instskip(NEXT) | instid1(VALU_DEP_2)
	v_sub_f32_e32 v10, v10, v11
	v_fmac_f32_e32 v12, 0x32a5705f, v5
	v_cvt_i32_f32_e32 v11, v11
	s_delay_alu instid0(VALU_DEP_2) | instskip(NEXT) | instid1(VALU_DEP_1)
	v_add_f32_e32 v10, v10, v12
	v_exp_f32_e32 v10, v10
	v_nop
	s_delay_alu instid0(TRANS32_DEP_1) | instskip(NEXT) | instid1(VALU_DEP_1)
	v_ldexp_f32 v10, v10, v11
	v_cndmask_b32_e32 v10, 0, v10, vcc_lo
	v_cmp_nlt_f32_e32 vcc_lo, 0x42b17218, v5
	s_delay_alu instid0(VALU_DEP_2) | instskip(NEXT) | instid1(VALU_DEP_1)
	v_cndmask_b32_e32 v5, 0x7f800000, v10, vcc_lo
	v_add_f32_e32 v5, 1.0, v5
	s_delay_alu instid0(VALU_DEP_1) | instskip(SKIP_1) | instid1(TRANS32_DEP_1)
	v_rcp_f32_e32 v5, v5
	v_nop
	v_fma_f32 v5, v5, -2.0, 1.0
.LBB88_27:                              ;   in Loop: Header=BB88_8 Depth=1
	s_and_not1_saveexec_b32 s12, s12
	s_cbranch_execz .LBB88_30
; %bb.28:                               ;   in Loop: Header=BB88_8 Depth=1
	v_mul_f32_e32 v5, v9, v9
	s_delay_alu instid0(VALU_DEP_1) | instskip(NEXT) | instid1(VALU_DEP_1)
	v_fmaak_f32 v10, s11, v5, 0x3ca908c9
	v_fmaak_f32 v10, v5, v10, 0xbd5c1c4e
	s_delay_alu instid0(VALU_DEP_1) | instskip(NEXT) | instid1(VALU_DEP_1)
	v_fmaak_f32 v10, v5, v10, 0x3e088382
	v_fmaak_f32 v10, v5, v10, 0xbeaaaa99
	s_delay_alu instid0(VALU_DEP_1) | instskip(NEXT) | instid1(VALU_DEP_1)
	v_mul_f32_e64 v10, |v9|, v10
	v_fma_f32 v5, v5, v10, |v9|
	s_or_b32 exec_lo, exec_lo, s12
	s_delay_alu instid0(SALU_CYCLE_1)
	s_and_not1_b32 vcc_lo, exec_lo, s10
	s_cbranch_vccz .LBB88_31
.LBB88_29:                              ;   in Loop: Header=BB88_8 Depth=1
	v_mov_b32_e32 v39, 0
	s_branch .LBB88_32
.LBB88_30:                              ;   in Loop: Header=BB88_8 Depth=1
	s_or_b32 exec_lo, exec_lo, s12
	s_delay_alu instid0(SALU_CYCLE_1)
	s_and_not1_b32 vcc_lo, exec_lo, s10
	s_cbranch_vccnz .LBB88_29
.LBB88_31:                              ;   in Loop: Header=BB88_8 Depth=1
	global_load_u16 v2, v2, s[14:15] offset:192 scale_offset
	s_wait_loadcnt 0x0
	v_cvt_f32_f16_e32 v2, v2
	s_delay_alu instid0(VALU_DEP_1)
	v_mul_f32_e32 v39, v87, v2
.LBB88_32:                              ;   in Loop: Header=BB88_8 Depth=1
	v_bfi_b32 v1, 0x7fffffff, v1, v6
	v_bfi_b32 v2, 0x7fffffff, v3, v7
	;; [unrolled: 1-line block ×3, first 2 shown]
	v_cmp_ngt_f32_e64 s12, 0x3f200000, |v116|
                                        ; implicit-def: $vgpr109
	s_delay_alu instid0(VALU_DEP_3) | instskip(SKIP_2) | instid1(VALU_DEP_3)
	v_dual_fmac_f32 v36, s41, v1 :: v_dual_fmac_f32 v37, s41, v2
	v_bfi_b32 v1, 0x7fffffff, v5, v9
	v_xor_b32_e32 v2, 16, v103
	v_dual_fmac_f32 v38, s41, v3 :: v_dual_add_f32 v3, 0x40051340, v36
	s_delay_alu instid0(VALU_DEP_3) | instskip(NEXT) | instid1(VALU_DEP_3)
	v_fmac_f32_e32 v39, s41, v1
	v_cmp_gt_i32_e32 vcc_lo, 32, v2
	v_dual_add_f32 v4, 0x40051340, v37 :: v_dual_cndmask_b32 v1, v103, v2
	s_delay_alu instid0(VALU_DEP_4) | instskip(NEXT) | instid1(VALU_DEP_2)
	v_add_f32_e32 v2, 0x40051340, v38
	v_max3_num_f32 v3, v35, v3, v4
	v_add_f32_e32 v4, 0x40051340, v39
	s_delay_alu instid0(VALU_DEP_4) | instskip(NEXT) | instid1(VALU_DEP_2)
	v_lshlrev_b32_e32 v82, 2, v1
	v_max3_num_f32 v1, v3, v2, v4
	v_xor_b32_e32 v3, 8, v103
	ds_bpermute_b32 v2, v82, v1
	v_cmp_gt_i32_e32 vcc_lo, 32, v3
	v_cndmask_b32_e32 v3, v103, v3, vcc_lo
	s_wait_dscnt 0x0
	s_delay_alu instid0(VALU_DEP_1) | instskip(NEXT) | instid1(VALU_DEP_1)
	v_dual_max_num_f32 v2, v2, v2 :: v_dual_lshlrev_b32 v105, 2, v3
	v_max_num_f32_e32 v1, v1, v2
	ds_bpermute_b32 v2, v105, v1
	s_wait_dscnt 0x0
	v_dual_max_num_f32 v2, v2, v2 :: v_dual_bitop2_b32 v3, 4, v103 bitop3:0x14
	s_delay_alu instid0(VALU_DEP_1) | instskip(NEXT) | instid1(VALU_DEP_2)
	v_cmp_gt_i32_e32 vcc_lo, 32, v3
	v_dual_max_num_f32 v1, v1, v2 :: v_dual_cndmask_b32 v3, v103, v3, vcc_lo
	s_delay_alu instid0(VALU_DEP_1) | instskip(SKIP_1) | instid1(VALU_DEP_1)
	v_lshlrev_b32_e32 v106, 2, v3
	v_xor_b32_e32 v3, 2, v103
	v_cmp_gt_i32_e32 vcc_lo, 32, v3
	v_cndmask_b32_e32 v3, v103, v3, vcc_lo
	ds_bpermute_b32 v2, v106, v1
	s_wait_dscnt 0x0
	v_dual_max_num_f32 v2, v2, v2 :: v_dual_lshlrev_b32 v81, 2, v3
	s_delay_alu instid0(VALU_DEP_1) | instskip(SKIP_3) | instid1(VALU_DEP_1)
	v_max_num_f32_e32 v1, v1, v2
	ds_bpermute_b32 v2, v81, v1
	s_wait_dscnt 0x0
	v_dual_max_num_f32 v2, v2, v2 :: v_dual_bitop2_b32 v3, 1, v103 bitop3:0x14
	v_cmp_gt_i32_e32 vcc_lo, 32, v3
	s_delay_alu instid0(VALU_DEP_2) | instskip(NEXT) | instid1(VALU_DEP_1)
	v_dual_max_num_f32 v107, v1, v2 :: v_dual_cndmask_b32 v3, v103, v3, vcc_lo
	v_lshlrev_b32_e32 v80, 2, v3
	ds_bpermute_b32 v108, v80, v107
	s_and_saveexec_b32 s13, s12
	s_delay_alu instid0(SALU_CYCLE_1)
	s_xor_b32 s12, exec_lo, s13
	s_cbranch_execz .LBB88_40
; %bb.33:                               ;   in Loop: Header=BB88_8 Depth=1
	v_add_f32_e64 v1, |v116|, |v116|
	s_delay_alu instid0(VALU_DEP_1) | instskip(SKIP_1) | instid1(VALU_DEP_2)
	v_mul_f32_e32 v2, 0x3fb8aa3b, v1
	v_cmp_ngt_f32_e32 vcc_lo, 0xc2ce8ed0, v1
	v_rndne_f32_e32 v3, v2
	v_fma_f32 v4, 0x3fb8aa3b, v1, -v2
	s_delay_alu instid0(VALU_DEP_2) | instskip(NEXT) | instid1(VALU_DEP_2)
	v_sub_f32_e32 v2, v2, v3
	v_fmac_f32_e32 v4, 0x32a5705f, v1
	v_cvt_i32_f32_e32 v3, v3
	s_delay_alu instid0(VALU_DEP_2) | instskip(NEXT) | instid1(VALU_DEP_1)
	v_add_f32_e32 v2, v2, v4
	v_exp_f32_e32 v2, v2
	v_nop
	s_delay_alu instid0(TRANS32_DEP_1) | instskip(NEXT) | instid1(VALU_DEP_1)
	v_ldexp_f32 v2, v2, v3
	v_cndmask_b32_e32 v2, 0, v2, vcc_lo
	v_cmp_nlt_f32_e32 vcc_lo, 0x42b17218, v1
	s_delay_alu instid0(VALU_DEP_2) | instskip(NEXT) | instid1(VALU_DEP_1)
	v_cndmask_b32_e32 v1, 0x7f800000, v2, vcc_lo
	v_add_f32_e32 v1, 1.0, v1
	s_delay_alu instid0(VALU_DEP_1) | instskip(SKIP_1) | instid1(TRANS32_DEP_1)
	v_rcp_f32_e32 v1, v1
	v_nop
	v_fma_f32 v109, v1, -2.0, 1.0
	s_and_not1_saveexec_b32 s12, s12
	s_cbranch_execnz .LBB88_41
.LBB88_34:                              ;   in Loop: Header=BB88_8 Depth=1
	s_or_b32 exec_lo, exec_lo, s12
	v_add_nc_u32_e32 v0, v0, v102
	s_and_not1_b32 vcc_lo, exec_lo, s10
	s_cbranch_vccnz .LBB88_42
.LBB88_35:                              ;   in Loop: Header=BB88_8 Depth=1
	global_load_u16 v1, v0, s[14:15] scale_offset
	s_wait_loadcnt 0x0
	v_cvt_f32_f16_e32 v1, v1
	s_delay_alu instid0(VALU_DEP_1) | instskip(SKIP_2) | instid1(SALU_CYCLE_1)
	v_mul_f32_e32 v83, v87, v1
	v_cmp_ngt_f32_e64 s12, 0x3f200000, |v117|
                                        ; implicit-def: $vgpr110
	s_and_saveexec_b32 s13, s12
	s_xor_b32 s12, exec_lo, s13
	s_cbranch_execz .LBB88_37
.LBB88_36:                              ;   in Loop: Header=BB88_8 Depth=1
	v_add_f32_e64 v1, |v117|, |v117|
	s_delay_alu instid0(VALU_DEP_1) | instskip(SKIP_1) | instid1(VALU_DEP_2)
	v_mul_f32_e32 v2, 0x3fb8aa3b, v1
	v_cmp_ngt_f32_e32 vcc_lo, 0xc2ce8ed0, v1
	v_rndne_f32_e32 v3, v2
	v_fma_f32 v4, 0x3fb8aa3b, v1, -v2
	s_delay_alu instid0(VALU_DEP_2) | instskip(NEXT) | instid1(VALU_DEP_2)
	v_sub_f32_e32 v2, v2, v3
	v_fmac_f32_e32 v4, 0x32a5705f, v1
	v_cvt_i32_f32_e32 v3, v3
	s_delay_alu instid0(VALU_DEP_2) | instskip(NEXT) | instid1(VALU_DEP_1)
	v_add_f32_e32 v2, v2, v4
	v_exp_f32_e32 v2, v2
	v_nop
	s_delay_alu instid0(TRANS32_DEP_1) | instskip(NEXT) | instid1(VALU_DEP_1)
	v_ldexp_f32 v2, v2, v3
	v_cndmask_b32_e32 v2, 0, v2, vcc_lo
	v_cmp_nlt_f32_e32 vcc_lo, 0x42b17218, v1
	s_delay_alu instid0(VALU_DEP_2) | instskip(NEXT) | instid1(VALU_DEP_1)
	v_cndmask_b32_e32 v1, 0x7f800000, v2, vcc_lo
	v_add_f32_e32 v1, 1.0, v1
	s_delay_alu instid0(VALU_DEP_1) | instskip(SKIP_1) | instid1(TRANS32_DEP_1)
	v_rcp_f32_e32 v1, v1
	v_nop
	v_fma_f32 v110, v1, -2.0, 1.0
.LBB88_37:                              ;   in Loop: Header=BB88_8 Depth=1
	s_and_not1_saveexec_b32 s12, s12
	s_cbranch_execz .LBB88_43
; %bb.38:                               ;   in Loop: Header=BB88_8 Depth=1
	v_mul_f32_e32 v1, v117, v117
	s_delay_alu instid0(VALU_DEP_1) | instskip(NEXT) | instid1(VALU_DEP_1)
	v_fmaak_f32 v2, s11, v1, 0x3ca908c9
	v_fmaak_f32 v2, v1, v2, 0xbd5c1c4e
	s_delay_alu instid0(VALU_DEP_1) | instskip(NEXT) | instid1(VALU_DEP_1)
	v_fmaak_f32 v2, v1, v2, 0x3e088382
	v_fmaak_f32 v2, v1, v2, 0xbeaaaa99
	s_delay_alu instid0(VALU_DEP_1) | instskip(NEXT) | instid1(VALU_DEP_1)
	v_mul_f32_e64 v2, |v117|, v2
	v_fma_f32 v110, v1, v2, |v117|
	s_or_b32 exec_lo, exec_lo, s12
	s_delay_alu instid0(SALU_CYCLE_1)
	s_and_not1_b32 vcc_lo, exec_lo, s10
	s_cbranch_vccz .LBB88_44
.LBB88_39:                              ;   in Loop: Header=BB88_8 Depth=1
	v_mov_b32_e32 v84, 0
	v_cmp_ngt_f32_e64 s12, 0x3f200000, |v118|
                                        ; implicit-def: $vgpr111
	s_and_saveexec_b32 s13, s12
	s_delay_alu instid0(SALU_CYCLE_1)
	s_xor_b32 s12, exec_lo, s13
	s_cbranch_execz .LBB88_46
	s_branch .LBB88_45
.LBB88_40:                              ;   in Loop: Header=BB88_8 Depth=1
	s_and_not1_saveexec_b32 s12, s12
	s_cbranch_execz .LBB88_34
.LBB88_41:                              ;   in Loop: Header=BB88_8 Depth=1
	v_mul_f32_e32 v1, v116, v116
	s_delay_alu instid0(VALU_DEP_1) | instskip(NEXT) | instid1(VALU_DEP_1)
	v_fmaak_f32 v2, s11, v1, 0x3ca908c9
	v_fmaak_f32 v2, v1, v2, 0xbd5c1c4e
	s_delay_alu instid0(VALU_DEP_1) | instskip(NEXT) | instid1(VALU_DEP_1)
	v_fmaak_f32 v2, v1, v2, 0x3e088382
	v_fmaak_f32 v2, v1, v2, 0xbeaaaa99
	s_delay_alu instid0(VALU_DEP_1) | instskip(NEXT) | instid1(VALU_DEP_1)
	v_mul_f32_e64 v2, |v116|, v2
	v_fma_f32 v109, v1, v2, |v116|
	s_or_b32 exec_lo, exec_lo, s12
	v_add_nc_u32_e32 v0, v0, v102
	s_and_not1_b32 vcc_lo, exec_lo, s10
	s_cbranch_vccz .LBB88_35
.LBB88_42:                              ;   in Loop: Header=BB88_8 Depth=1
	v_mov_b32_e32 v83, 0
	v_cmp_ngt_f32_e64 s12, 0x3f200000, |v117|
                                        ; implicit-def: $vgpr110
	s_and_saveexec_b32 s13, s12
	s_delay_alu instid0(SALU_CYCLE_1)
	s_xor_b32 s12, exec_lo, s13
	s_cbranch_execz .LBB88_37
	s_branch .LBB88_36
.LBB88_43:                              ;   in Loop: Header=BB88_8 Depth=1
	s_or_b32 exec_lo, exec_lo, s12
	s_delay_alu instid0(SALU_CYCLE_1)
	s_and_not1_b32 vcc_lo, exec_lo, s10
	s_cbranch_vccnz .LBB88_39
.LBB88_44:                              ;   in Loop: Header=BB88_8 Depth=1
	global_load_u16 v1, v0, s[14:15] offset:64 scale_offset
	s_wait_loadcnt 0x0
	v_cvt_f32_f16_e32 v1, v1
	s_delay_alu instid0(VALU_DEP_1) | instskip(SKIP_2) | instid1(SALU_CYCLE_1)
	v_mul_f32_e32 v84, v87, v1
	v_cmp_ngt_f32_e64 s12, 0x3f200000, |v118|
                                        ; implicit-def: $vgpr111
	s_and_saveexec_b32 s13, s12
	s_xor_b32 s12, exec_lo, s13
	s_cbranch_execz .LBB88_46
.LBB88_45:                              ;   in Loop: Header=BB88_8 Depth=1
	v_add_f32_e64 v1, |v118|, |v118|
	s_delay_alu instid0(VALU_DEP_1) | instskip(SKIP_1) | instid1(VALU_DEP_2)
	v_mul_f32_e32 v2, 0x3fb8aa3b, v1
	v_cmp_ngt_f32_e32 vcc_lo, 0xc2ce8ed0, v1
	v_rndne_f32_e32 v3, v2
	v_fma_f32 v4, 0x3fb8aa3b, v1, -v2
	s_delay_alu instid0(VALU_DEP_2) | instskip(NEXT) | instid1(VALU_DEP_2)
	v_sub_f32_e32 v2, v2, v3
	v_fmac_f32_e32 v4, 0x32a5705f, v1
	v_cvt_i32_f32_e32 v3, v3
	s_delay_alu instid0(VALU_DEP_2) | instskip(NEXT) | instid1(VALU_DEP_1)
	v_add_f32_e32 v2, v2, v4
	v_exp_f32_e32 v2, v2
	v_nop
	s_delay_alu instid0(TRANS32_DEP_1) | instskip(NEXT) | instid1(VALU_DEP_1)
	v_ldexp_f32 v2, v2, v3
	v_cndmask_b32_e32 v2, 0, v2, vcc_lo
	v_cmp_nlt_f32_e32 vcc_lo, 0x42b17218, v1
	s_delay_alu instid0(VALU_DEP_2) | instskip(NEXT) | instid1(VALU_DEP_1)
	v_cndmask_b32_e32 v1, 0x7f800000, v2, vcc_lo
	v_add_f32_e32 v1, 1.0, v1
	s_delay_alu instid0(VALU_DEP_1) | instskip(SKIP_1) | instid1(TRANS32_DEP_1)
	v_rcp_f32_e32 v1, v1
	v_nop
	v_fma_f32 v111, v1, -2.0, 1.0
.LBB88_46:                              ;   in Loop: Header=BB88_8 Depth=1
	s_and_not1_saveexec_b32 s12, s12
	s_cbranch_execz .LBB88_49
; %bb.47:                               ;   in Loop: Header=BB88_8 Depth=1
	v_mul_f32_e32 v1, v118, v118
	s_delay_alu instid0(VALU_DEP_1) | instskip(NEXT) | instid1(VALU_DEP_1)
	v_fmaak_f32 v2, s11, v1, 0x3ca908c9
	v_fmaak_f32 v2, v1, v2, 0xbd5c1c4e
	s_delay_alu instid0(VALU_DEP_1) | instskip(NEXT) | instid1(VALU_DEP_1)
	v_fmaak_f32 v2, v1, v2, 0x3e088382
	v_fmaak_f32 v2, v1, v2, 0xbeaaaa99
	s_delay_alu instid0(VALU_DEP_1) | instskip(NEXT) | instid1(VALU_DEP_1)
	v_mul_f32_e64 v2, |v118|, v2
	v_fma_f32 v111, v1, v2, |v118|
	s_or_b32 exec_lo, exec_lo, s12
	s_delay_alu instid0(SALU_CYCLE_1)
	s_and_not1_b32 vcc_lo, exec_lo, s10
	s_cbranch_vccz .LBB88_50
.LBB88_48:                              ;   in Loop: Header=BB88_8 Depth=1
	v_mov_b32_e32 v85, 0
	v_cmp_ngt_f32_e64 s12, 0x3f200000, |v119|
                                        ; implicit-def: $vgpr113
	s_and_saveexec_b32 s13, s12
	s_delay_alu instid0(SALU_CYCLE_1)
	s_xor_b32 s12, exec_lo, s13
	s_cbranch_execz .LBB88_52
	s_branch .LBB88_51
.LBB88_49:                              ;   in Loop: Header=BB88_8 Depth=1
	s_or_b32 exec_lo, exec_lo, s12
	s_delay_alu instid0(SALU_CYCLE_1)
	s_and_not1_b32 vcc_lo, exec_lo, s10
	s_cbranch_vccnz .LBB88_48
.LBB88_50:                              ;   in Loop: Header=BB88_8 Depth=1
	global_load_u16 v1, v0, s[14:15] offset:128 scale_offset
	s_wait_loadcnt 0x0
	v_cvt_f32_f16_e32 v1, v1
	s_delay_alu instid0(VALU_DEP_1) | instskip(SKIP_2) | instid1(SALU_CYCLE_1)
	v_mul_f32_e32 v85, v87, v1
	v_cmp_ngt_f32_e64 s12, 0x3f200000, |v119|
                                        ; implicit-def: $vgpr113
	s_and_saveexec_b32 s13, s12
	s_xor_b32 s12, exec_lo, s13
	s_cbranch_execz .LBB88_52
.LBB88_51:                              ;   in Loop: Header=BB88_8 Depth=1
	v_add_f32_e64 v1, |v119|, |v119|
	s_delay_alu instid0(VALU_DEP_1) | instskip(SKIP_1) | instid1(VALU_DEP_2)
	v_mul_f32_e32 v2, 0x3fb8aa3b, v1
	v_cmp_ngt_f32_e32 vcc_lo, 0xc2ce8ed0, v1
	v_rndne_f32_e32 v3, v2
	v_fma_f32 v4, 0x3fb8aa3b, v1, -v2
	s_delay_alu instid0(VALU_DEP_2) | instskip(NEXT) | instid1(VALU_DEP_2)
	v_sub_f32_e32 v2, v2, v3
	v_fmac_f32_e32 v4, 0x32a5705f, v1
	v_cvt_i32_f32_e32 v3, v3
	s_delay_alu instid0(VALU_DEP_2) | instskip(NEXT) | instid1(VALU_DEP_1)
	v_add_f32_e32 v2, v2, v4
	v_exp_f32_e32 v2, v2
	v_nop
	s_delay_alu instid0(TRANS32_DEP_1) | instskip(NEXT) | instid1(VALU_DEP_1)
	v_ldexp_f32 v2, v2, v3
	v_cndmask_b32_e32 v2, 0, v2, vcc_lo
	v_cmp_nlt_f32_e32 vcc_lo, 0x42b17218, v1
	s_delay_alu instid0(VALU_DEP_2) | instskip(NEXT) | instid1(VALU_DEP_1)
	v_cndmask_b32_e32 v1, 0x7f800000, v2, vcc_lo
	v_add_f32_e32 v1, 1.0, v1
	s_delay_alu instid0(VALU_DEP_1) | instskip(SKIP_1) | instid1(TRANS32_DEP_1)
	v_rcp_f32_e32 v1, v1
	v_nop
	v_fma_f32 v113, v1, -2.0, 1.0
.LBB88_52:                              ;   in Loop: Header=BB88_8 Depth=1
	s_and_not1_saveexec_b32 s12, s12
	s_cbranch_execz .LBB88_55
; %bb.53:                               ;   in Loop: Header=BB88_8 Depth=1
	v_mul_f32_e32 v1, v119, v119
	s_delay_alu instid0(VALU_DEP_1) | instskip(NEXT) | instid1(VALU_DEP_1)
	v_fmaak_f32 v2, s11, v1, 0x3ca908c9
	v_fmaak_f32 v2, v1, v2, 0xbd5c1c4e
	s_delay_alu instid0(VALU_DEP_1) | instskip(NEXT) | instid1(VALU_DEP_1)
	v_fmaak_f32 v2, v1, v2, 0x3e088382
	v_fmaak_f32 v2, v1, v2, 0xbeaaaa99
	s_delay_alu instid0(VALU_DEP_1) | instskip(NEXT) | instid1(VALU_DEP_1)
	v_mul_f32_e64 v2, |v119|, v2
	v_fma_f32 v113, v1, v2, |v119|
	s_or_b32 exec_lo, exec_lo, s12
	s_delay_alu instid0(SALU_CYCLE_1)
	s_and_not1_b32 vcc_lo, exec_lo, s10
	s_cbranch_vccz .LBB88_56
.LBB88_54:                              ;   in Loop: Header=BB88_8 Depth=1
	v_mov_b32_e32 v104, 0
	s_branch .LBB88_57
.LBB88_55:                              ;   in Loop: Header=BB88_8 Depth=1
	s_or_b32 exec_lo, exec_lo, s12
	s_delay_alu instid0(SALU_CYCLE_1)
	s_and_not1_b32 vcc_lo, exec_lo, s10
	s_cbranch_vccnz .LBB88_54
.LBB88_56:                              ;   in Loop: Header=BB88_8 Depth=1
	global_load_u16 v0, v0, s[14:15] offset:192 scale_offset
	s_wait_loadcnt 0x0
	v_cvt_f32_f16_e32 v0, v0
	s_delay_alu instid0(VALU_DEP_1)
	v_mul_f32_e32 v104, v87, v0
.LBB88_57:                              ;   in Loop: Header=BB88_8 Depth=1
	v_bfi_b32 v109, 0x7fffffff, v109, v116
	v_bfi_b32 v110, 0x7fffffff, v110, v117
	s_mul_u64 s[12:13], s[18:19], s[22:23]
	v_bfi_b32 v111, 0x7fffffff, v111, v118
	s_lshl_b64 s[12:13], s[12:13], 2
	v_bfi_b32 v113, 0x7fffffff, v113, v119
	v_dual_fmac_f32 v83, s41, v109 :: v_dual_fmac_f32 v84, s41, v110
	s_add_nc_u64 s[12:13], s[26:27], s[12:13]
	s_delay_alu instid0(VALU_DEP_2) | instskip(SKIP_4) | instid1(VALU_DEP_4)
	v_dual_fmac_f32 v85, s41, v111 :: v_dual_fmac_f32 v104, s41, v113
	v_lshl_add_u64 v[0:1], v[50:51], 2, s[12:13]
	v_lshl_add_u64 v[2:3], v[54:55], 2, s[12:13]
	;; [unrolled: 1-line block ×3, first 2 shown]
	v_dual_add_f32 v109, 0x40051340, v83 :: v_dual_add_f32 v110, 0x40051340, v84
	v_add_nc_u64_e32 v[128:129], v[0:1], v[46:47]
	v_lshl_add_u64 v[0:1], v[62:63], 2, s[12:13]
	v_add_nc_u64_e32 v[130:131], v[2:3], v[46:47]
	v_lshl_add_u64 v[2:3], v[66:67], 2, s[12:13]
	;; [unrolled: 2-line block ×3, first 2 shown]
	v_add_f32_e32 v111, 0x40051340, v85
	v_add_f32_e32 v113, 0x40051340, v104
	v_max3_num_f32 v109, v34, v109, v110
	v_lshl_add_u64 v[6:7], v[74:75], 2, s[12:13]
	v_lshl_add_u64 v[8:9], v[78:79], 2, s[12:13]
	v_add_nc_u64_e32 v[134:135], v[0:1], v[46:47]
	v_add_nc_u64_e32 v[136:137], v[2:3], v[46:47]
	;; [unrolled: 1-line block ×3, first 2 shown]
	v_max3_num_f32 v109, v109, v111, v113
	v_add_nc_u64_e32 v[140:141], v[6:7], v[46:47]
	s_wait_dscnt 0x0
	s_barrier_signal -1
	s_barrier_wait -1
	v_add_nc_u64_e32 v[142:143], v[8:9], v[46:47]
	s_clause 0x7
	global_load_b128 v[0:3], v[128:129], off
	global_load_b128 v[4:7], v[130:131], off
	global_load_b128 v[8:11], v[132:133], off
	global_load_b128 v[12:15], v[134:135], off
	global_load_b128 v[16:19], v[136:137], off
	global_load_b128 v[20:23], v[138:139], off
	global_load_b128 v[24:27], v[140:141], off
	global_load_b128 v[28:31], v[142:143], off
	ds_bpermute_b32 v82, v82, v109
	s_wait_dscnt 0x0
	v_dual_max_num_f32 v107, v107, v107 :: v_dual_max_num_f32 v82, v82, v82
	s_delay_alu instid0(VALU_DEP_1) | instskip(SKIP_3) | instid1(VALU_DEP_1)
	v_max_num_f32_e32 v82, v109, v82
	ds_bpermute_b32 v105, v105, v82
	s_wait_dscnt 0x0
	v_max_num_f32_e32 v105, v105, v105
	v_max_num_f32_e32 v82, v82, v105
	ds_bpermute_b32 v105, v106, v82
	v_max_num_f32_e32 v106, v108, v108
	s_delay_alu instid0(VALU_DEP_1) | instskip(NEXT) | instid1(VALU_DEP_1)
	v_dual_add_nc_u32 v108, v88, v123 :: v_dual_max_num_f32 v116, v107, v106
	v_dual_sub_f32 v37, v37, v116 :: v_dual_add_nc_u32 v110, 0x800, v43
	v_dual_sub_f32 v39, v39, v116 :: v_dual_sub_f32 v36, v36, v116
	s_delay_alu instid0(VALU_DEP_2) | instskip(SKIP_1) | instid1(VALU_DEP_2)
	v_dual_sub_f32 v106, v38, v116 :: v_dual_mul_f32 v107, 0x3fb8aa3b, v37
	s_wait_dscnt 0x0
	v_dual_mul_f32 v38, 0x3fb8aa3b, v36 :: v_dual_max_num_f32 v105, v105, v105
	v_sub_f32_e32 v35, v35, v116
	s_delay_alu instid0(VALU_DEP_3) | instskip(NEXT) | instid1(VALU_DEP_3)
	v_rndne_f32_e32 v119, v107
	v_rndne_f32_e32 v118, v38
	s_delay_alu instid0(VALU_DEP_4) | instskip(NEXT) | instid1(VALU_DEP_4)
	v_dual_mul_f32 v111, 0x3fb8aa3b, v39 :: v_dual_max_num_f32 v82, v82, v105
	v_cmp_ngt_f32_e32 vcc_lo, 0xc2ce8ed0, v35
	v_mul_f32_e32 v113, 0x3fb8aa3b, v35
	v_fma_f32 v117, 0x3fb8aa3b, v36, -v38
	v_fma_f32 v105, 0x3fb8aa3b, v37, -v107
	ds_bpermute_b32 v81, v81, v82
	v_sub_f32_e32 v38, v38, v118
	s_wait_xcnt 0x6
	v_rndne_f32_e32 v130, v111
	v_fma_f32 v131, 0x3fb8aa3b, v35, -v113
	s_wait_xcnt 0x5
	v_rndne_f32_e32 v132, v113
	v_fma_f32 v129, 0x3fb8aa3b, v39, -v111
	v_fmac_f32_e32 v105, 0x32a5705f, v37
	v_sub_f32_e32 v107, v107, v119
	s_delay_alu instid0(VALU_DEP_4) | instskip(SKIP_2) | instid1(VALU_DEP_4)
	v_dual_sub_f32 v111, v111, v130 :: v_dual_sub_f32 v113, v113, v132
	v_fmac_f32_e32 v131, 0x32a5705f, v35
	v_cvt_i32_f32_e32 v132, v132
	v_add_f32_e32 v105, v107, v105
	v_cvt_i32_f32_e32 v118, v118
	v_fmac_f32_e32 v129, 0x32a5705f, v39
	v_add_f32_e32 v107, v113, v131
	v_cvt_i32_f32_e32 v119, v119
	v_exp_f32_e32 v105, v105
	v_cvt_i32_f32_e32 v113, v130
	v_add_f32_e32 v111, v111, v129
	s_wait_dscnt 0x0
	v_max_num_f32_e32 v81, v81, v81
	s_delay_alu instid0(TRANS32_DEP_1) | instskip(NEXT) | instid1(VALU_DEP_2)
	v_ldexp_f32 v105, v105, v119
	v_max_num_f32_e32 v81, v82, v81
	v_exp_f32_e32 v82, v107
	v_nop
	s_delay_alu instid0(TRANS32_DEP_1) | instskip(NEXT) | instid1(VALU_DEP_1)
	v_ldexp_f32 v82, v82, v132
	v_cndmask_b32_e32 v82, 0, v82, vcc_lo
	v_cmp_ngt_f32_e32 vcc_lo, 0xc2ce8ed0, v36
	v_fmac_f32_e32 v117, 0x32a5705f, v36
	s_delay_alu instid0(VALU_DEP_1) | instskip(NEXT) | instid1(VALU_DEP_1)
	v_dual_mul_f32 v109, 0x3fb8aa3b, v106 :: v_dual_add_f32 v38, v38, v117
	v_fma_f32 v127, 0x3fb8aa3b, v106, -v109
	v_rndne_f32_e32 v128, v109
	s_delay_alu instid0(VALU_DEP_3) | instskip(NEXT) | instid1(VALU_DEP_2)
	v_exp_f32_e32 v38, v38
	v_fmac_f32_e32 v127, 0x32a5705f, v106
	s_delay_alu instid0(VALU_DEP_2) | instskip(NEXT) | instid1(VALU_DEP_1)
	v_sub_f32_e32 v109, v109, v128
	v_add_f32_e32 v109, v109, v127
	s_delay_alu instid0(TRANS32_DEP_1) | instskip(NEXT) | instid1(VALU_DEP_2)
	v_ldexp_f32 v38, v38, v118
	v_exp_f32_e32 v107, v109
	v_exp_f32_e32 v109, v111
	ds_bpermute_b32 v111, v80, v81
	v_cvt_i32_f32_e32 v80, v128
	v_cndmask_b32_e32 v38, 0, v38, vcc_lo
	v_cmp_ngt_f32_e32 vcc_lo, 0xc2ce8ed0, v37
	s_delay_alu instid0(VALU_DEP_3) | instskip(SKIP_3) | instid1(VALU_DEP_4)
	v_ldexp_f32 v80, v107, v80
	v_ldexp_f32 v107, v109, v113
	v_cndmask_b32_e32 v105, 0, v105, vcc_lo
	v_cmp_ngt_f32_e32 vcc_lo, 0xc2ce8ed0, v106
	v_cndmask_b32_e32 v109, 0, v80, vcc_lo
	v_cmp_ngt_f32_e32 vcc_lo, 0xc2ce8ed0, v39
	v_cndmask_b32_e32 v107, 0, v107, vcc_lo
	v_cmp_nlt_f32_e32 vcc_lo, 0x42b17218, v35
	s_wait_dscnt 0x0
	v_dual_max_num_f32 v35, v111, v111 :: v_dual_cndmask_b32 v80, 0x7f800000, v82
	s_delay_alu instid0(VALU_DEP_1) | instskip(SKIP_1) | instid1(VALU_DEP_2)
	v_max_num_f32_e32 v117, v81, v35
	v_cmp_nlt_f32_e32 vcc_lo, 0x42b17218, v36
	v_sub_f32_e32 v34, v34, v117
	v_cndmask_b32_e32 v36, 0x7f800000, v38, vcc_lo
	v_cmp_nlt_f32_e32 vcc_lo, 0x42b17218, v37
	v_cvt_f16_f32_e32 v37, v80
	s_delay_alu instid0(VALU_DEP_1) | instskip(SKIP_1) | instid1(VALU_DEP_2)
	v_and_b32_e32 v35, 0xffff, v37
	v_sub_f32_e32 v37, v83, v117
	v_mul_u32_u24_e32 v35, 0x10001, v35
	s_delay_alu instid0(VALU_DEP_2) | instskip(NEXT) | instid1(VALU_DEP_1)
	v_mul_f32_e32 v81, 0x3fb8aa3b, v37
	v_rndne_f32_e32 v111, v81
	v_cndmask_b32_e32 v38, 0x7f800000, v105, vcc_lo
	v_cmp_nlt_f32_e32 vcc_lo, 0x42b17218, v106
	v_cndmask_b32_e32 v106, 0x7f800000, v109, vcc_lo
	v_cmp_nlt_f32_e32 vcc_lo, 0x42b17218, v39
	v_sub_f32_e32 v39, v84, v117
	v_sub_f32_e32 v84, v104, v117
	v_cndmask_b32_e32 v82, 0x7f800000, v107, vcc_lo
	v_mul_f32_e32 v107, 0x3fb8aa3b, v34
	v_cmp_ngt_f32_e32 vcc_lo, 0xc2ce8ed0, v37
	s_delay_alu instid0(VALU_DEP_2) | instskip(SKIP_2) | instid1(VALU_DEP_3)
	v_fma_f32 v130, 0x3fb8aa3b, v34, -v107
	v_sub_f32_e32 v83, v85, v117
	v_rndne_f32_e32 v131, v107
	v_fmac_f32_e32 v130, 0x32a5705f, v34
	s_delay_alu instid0(VALU_DEP_3)
	v_mul_f32_e32 v104, 0x3fb8aa3b, v83
	v_fma_f32 v109, 0x3fb8aa3b, v37, -v81
	v_sub_f32_e32 v81, v81, v111
	v_sub_f32_e32 v107, v107, v131
	v_cvt_i32_f32_e32 v111, v111
	v_fma_f32 v119, 0x3fb8aa3b, v83, -v104
	v_rndne_f32_e32 v127, v104
	v_fmac_f32_e32 v109, 0x32a5705f, v37
	v_add_f32_e32 v107, v107, v130
	s_delay_alu instid0(VALU_DEP_4) | instskip(NEXT) | instid1(VALU_DEP_4)
	v_fmac_f32_e32 v119, 0x32a5705f, v83
	v_dual_sub_f32 v104, v104, v127 :: v_dual_mul_f32 v105, 0x3fb8aa3b, v84
	v_cvt_i32_f32_e32 v127, v127
	v_add_f32_e32 v81, v81, v109
	v_exp_f32_e32 v107, v107
	s_delay_alu instid0(VALU_DEP_3) | instskip(SKIP_3) | instid1(VALU_DEP_3)
	v_add_f32_e32 v104, v104, v119
	v_rndne_f32_e32 v129, v105
	v_fma_f32 v128, 0x3fb8aa3b, v84, -v105
	v_exp_f32_e32 v81, v81
	v_exp_f32_e32 v104, v104
	s_delay_alu instid0(VALU_DEP_1) | instskip(SKIP_1) | instid1(TRANS32_DEP_2)
	v_dual_sub_f32 v105, v105, v129 :: v_dual_fmac_f32 v128, 0x32a5705f, v84
	v_cvt_i32_f32_e32 v109, v129
	v_ldexp_f32 v81, v81, v111
	v_add_nc_u32_e32 v111, 0x1000, v43
	s_delay_alu instid0(TRANS32_DEP_1) | instskip(SKIP_2) | instid1(VALU_DEP_2)
	v_ldexp_f32 v104, v104, v127
	v_mul_f32_e32 v85, 0x3fb8aa3b, v39
	v_add_f32_e32 v105, v105, v128
	v_fma_f32 v113, 0x3fb8aa3b, v39, -v85
	v_rndne_f32_e32 v118, v85
	s_delay_alu instid0(VALU_DEP_3) | instskip(NEXT) | instid1(VALU_DEP_2)
	v_exp_f32_e32 v105, v105
	v_fmac_f32_e32 v113, 0x32a5705f, v39
	s_delay_alu instid0(VALU_DEP_2) | instskip(SKIP_1) | instid1(TRANS32_DEP_1)
	v_sub_f32_e32 v85, v85, v118
	v_cvt_i32_f32_e32 v118, v118
	v_ldexp_f32 v105, v105, v109
	v_cndmask_b32_e32 v109, 0, v81, vcc_lo
	s_delay_alu instid0(VALU_DEP_4) | instskip(SKIP_2) | instid1(VALU_DEP_3)
	v_add_f32_e32 v85, v85, v113
	v_cvt_i32_f32_e32 v113, v131
	v_cmp_ngt_f32_e32 vcc_lo, 0xc2ce8ed0, v39
	v_exp_f32_e32 v85, v85
	s_delay_alu instid0(VALU_DEP_2) | instskip(NEXT) | instid1(TRANS32_DEP_1)
	v_ldexp_f32 v107, v107, v113
	v_ldexp_f32 v85, v85, v118
	s_delay_alu instid0(VALU_DEP_1) | instskip(SKIP_1) | instid1(VALU_DEP_4)
	v_cndmask_b32_e32 v85, 0, v85, vcc_lo
	v_cmp_ngt_f32_e32 vcc_lo, 0xc2ce8ed0, v34
	v_cndmask_b32_e32 v81, 0, v107, vcc_lo
	v_cmp_ngt_f32_e32 vcc_lo, 0xc2ce8ed0, v83
	;; [unrolled: 2-line block ×3, first 2 shown]
	v_cndmask_b32_e32 v105, 0, v105, vcc_lo
	v_cmp_nlt_f32_e32 vcc_lo, 0x42b17218, v34
	v_cndmask_b32_e32 v81, 0x7f800000, v81, vcc_lo
	v_cmp_nlt_f32_e32 vcc_lo, 0x42b17218, v37
	s_delay_alu instid0(VALU_DEP_2) | instskip(SKIP_2) | instid1(VALU_DEP_3)
	v_cvt_f16_f32_e32 v34, v81
	v_cndmask_b32_e32 v37, 0x7f800000, v109, vcc_lo
	v_cmp_nlt_f32_e32 vcc_lo, 0x42b17218, v39
	v_and_b32_e32 v34, 0xffff, v34
	v_cndmask_b32_e32 v39, 0x7f800000, v85, vcc_lo
	v_cmp_nlt_f32_e32 vcc_lo, 0x42b17218, v83
	s_delay_alu instid0(VALU_DEP_3) | instskip(NEXT) | instid1(VALU_DEP_3)
	v_mul_u32_u24_e32 v34, 0x10001, v34
	v_cvt_pk_f16_f32 v85, v38, v39
	v_cndmask_b32_e32 v107, 0x7f800000, v104, vcc_lo
	v_cmp_nlt_f32_e32 vcc_lo, 0x42b17218, v84
	v_cvt_pk_f16_f32 v84, v36, v37
	s_delay_alu instid0(VALU_DEP_3) | instskip(SKIP_1) | instid1(VALU_DEP_1)
	v_cvt_pk_f16_f32 v104, v106, v107
	v_cndmask_b32_e32 v83, 0x7f800000, v105, vcc_lo
	v_cvt_pk_f16_f32 v105, v82, v83
	ds_store_2addr_b32 v108, v84, v85 offset1:32
	ds_store_2addr_b32 v108, v104, v105 offset0:64 offset1:96
	s_wait_loadcnt 0x7
	ds_store_b128 v92, v[0:3]
	s_wait_loadcnt 0x6
	ds_store_b128 v95, v[4:7]
	;; [unrolled: 2-line block ×8, first 2 shown]
	s_wait_dscnt 0x0
	s_barrier_signal -1
	s_barrier_wait -1
	ds_load_b128 v[24:27], v88
	v_pk_add_f32 v[0:1], v[36:37], v[38:39]
	v_pk_mul_f16 v28, v33, v35
	v_pk_mul_f16 v29, v32, v34
	v_add_nc_u32_e32 v105, 0x1800, v43
	v_add_nc_u32_e32 v104, 0x2000, v43
	v_pk_add_f32 v[84:85], v[106:107], v[0:1]
	ds_load_2addr_b64 v[30:33], v43 offset1:32
	ds_load_2addr_b64 v[106:109], v43 offset0:64 offset1:96
	ds_load_2addr_b64 v[128:131], v43 offset0:128 offset1:160
	ds_load_b128 v[132:135], v88 offset:16
	ds_load_2addr_b64 v[136:139], v43 offset0:192 offset1:224
	ds_load_2addr_b64 v[20:23], v110 offset1:32
	ds_load_2addr_b64 v[16:19], v110 offset0:64 offset1:96
	ds_load_2addr_b64 v[8:11], v110 offset0:128 offset1:160
	ds_load_b128 v[36:39], v88 offset:32
	ds_load_b128 v[12:15], v88 offset:48
	ds_load_2addr_b64 v[4:7], v110 offset0:192 offset1:224
	ds_load_2addr_b64 v[0:3], v111 offset1:32
	s_wait_dscnt 0xc
	v_and_b32_e32 v110, 0xffff, v24
	v_dual_lshrrev_b32 v24, 16, v24 :: v_dual_lshrrev_b32 v113, 16, v25
	v_and_b32_e32 v25, 0xffff, v25
	v_lshrrev_b32_e32 v118, 16, v26
	s_delay_alu instid0(VALU_DEP_4) | instskip(NEXT) | instid1(VALU_DEP_4)
	v_mul_u32_u24_e32 v110, 0x10001, v110
	v_mul_u32_u24_e32 v24, 0x10001, v24
	v_and_b32_e32 v119, 0xffff, v26
	v_lshrrev_b32_e32 v127, 16, v27
	v_and_b32_e32 v140, 0xffff, v27
	s_wait_dscnt 0xb
	v_pk_mul_f16 v26, v30, v110
	v_pk_mul_f16 v27, v30, v24
	v_pk_fma_f16 v110, v31, v110, v28
	v_pk_fma_f16 v141, v31, v24, v29
	v_mul_u32_u24_e32 v142, 0x10001, v25
	v_pk_fma_f16 v35, v86, v35, v26
	v_pk_fma_f16 v34, v45, v34, v27
	v_mul_u32_u24_e32 v45, 0x10001, v113
	v_mul_u32_u24_e32 v113, 0x10001, v119
	v_pk_fma_f16 v86, v33, v142, v110
	v_pk_fma_f16 v35, v32, v142, v35
	v_mul_u32_u24_e32 v118, 0x10001, v118
	v_pk_fma_f16 v33, v33, v45, v141
	v_pk_fma_f16 v32, v32, v45, v34
	s_wait_dscnt 0x8
	v_and_b32_e32 v34, 0xffff, v132
	v_mul_u32_u24_e32 v45, 0x10001, v140
	v_mul_u32_u24_e32 v119, 0x10001, v127
	v_pk_fma_f16 v86, v107, v113, v86
	v_pk_fma_f16 v33, v107, v118, v33
	;; [unrolled: 1-line block ×4, first 2 shown]
	ds_load_2addr_b64 v[28:31], v111 offset0:64 offset1:96
	ds_load_2addr_b64 v[24:27], v111 offset0:128 offset1:160
	v_lshrrev_b32_e32 v110, 16, v132
	v_mul_u32_u24_e32 v113, 0x10001, v34
	v_pk_fma_f16 v86, v109, v45, v86
	v_pk_fma_f16 v118, v109, v119, v33
	;; [unrolled: 1-line block ×4, first 2 shown]
	ds_load_b128 v[106:109], v88 offset:64
	ds_load_b128 v[140:143], v88 offset:80
	ds_load_2addr_b64 v[32:35], v111 offset0:192 offset1:224
	v_and_b32_e32 v111, 0xffff, v133
	v_mul_u32_u24_e32 v110, 0x10001, v110
	v_pk_fma_f16 v86, v129, v113, v86
	v_pk_fma_f16 v45, v128, v113, v45
	v_lshrrev_b32_e32 v113, 16, v133
	v_mul_u32_u24_e32 v111, 0x10001, v111
	v_pk_fma_f16 v118, v129, v110, v118
	v_pk_fma_f16 v110, v128, v110, v119
	v_and_b32_e32 v119, 0xffff, v134
	v_mul_u32_u24_e32 v113, 0x10001, v113
	v_pk_fma_f16 v86, v131, v111, v86
	v_pk_fma_f16 v45, v130, v111, v45
	v_lshrrev_b32_e32 v111, 16, v134
	v_mul_u32_u24_e32 v119, 0x10001, v119
	v_pk_fma_f16 v118, v131, v113, v118
	v_pk_fma_f16 v110, v130, v113, v110
	v_lshrrev_b32_e32 v113, 16, v135
	v_and_b32_e32 v127, 0xffff, v135
	v_mul_u32_u24_e32 v111, 0x10001, v111
	s_wait_dscnt 0xc
	v_pk_fma_f16 v86, v137, v119, v86
	v_pk_fma_f16 v45, v136, v119, v45
	s_wait_dscnt 0x8
	v_lshrrev_b32_e32 v144, 16, v39
	v_mul_u32_u24_e32 v119, 0x10001, v127
	v_pk_fma_f16 v118, v137, v111, v118
	v_pk_fma_f16 v110, v136, v111, v110
	v_lshrrev_b32_e32 v111, 16, v36
	v_and_b32_e32 v36, 0xffff, v36
	v_lshrrev_b32_e32 v127, 16, v38
	v_mul_u32_u24_e32 v113, 0x10001, v113
	v_pk_fma_f16 v86, v139, v119, v86
	v_pk_fma_f16 v45, v138, v119, v45
	v_and_b32_e32 v119, 0xffff, v37
	v_mul_u32_u24_e32 v36, 0x10001, v36
	v_pk_fma_f16 v118, v139, v113, v118
	v_pk_fma_f16 v110, v138, v113, v110
	v_lshrrev_b32_e32 v113, 16, v37
	v_mul_u32_u24_e32 v111, 0x10001, v111
	v_and_b32_e32 v136, 0xffff, v38
	v_pk_fma_f16 v86, v21, v36, v86
	v_pk_fma_f16 v45, v20, v36, v45
	v_mul_u32_u24_e32 v119, 0x10001, v119
	v_mul_u32_u24_e32 v113, 0x10001, v113
	v_pk_fma_f16 v21, v21, v111, v118
	v_pk_fma_f16 v20, v20, v111, v110
	v_and_b32_e32 v145, 0xffff, v39
	v_mul_u32_u24_e32 v136, 0x10001, v136
	v_pk_fma_f16 v86, v23, v119, v86
	v_pk_fma_f16 v45, v22, v119, v45
	v_mul_u32_u24_e32 v110, 0x10001, v127
	v_pk_fma_f16 v111, v23, v113, v21
	v_pk_fma_f16 v113, v22, v113, v20
	;; [unrolled: 1-line block ×4, first 2 shown]
	v_mul_u32_u24_e32 v118, 0x10001, v145
	v_mul_u32_u24_e32 v119, 0x10001, v144
	v_pk_fma_f16 v17, v17, v110, v111
	v_pk_fma_f16 v16, v16, v110, v113
	s_wait_dscnt 0x7
	v_lshrrev_b32_e32 v110, 16, v12
	v_and_b32_e32 v12, 0xffff, v12
	ds_load_2addr_b64 v[128:131], v105 offset1:32
	ds_load_2addr_b64 v[132:135], v105 offset0:64 offset1:96
	ds_load_2addr_b64 v[36:39], v105 offset0:128 offset1:160
	ds_load_b128 v[20:23], v88 offset:96
	ds_load_b128 v[136:139], v88 offset:112
	v_pk_fma_f16 v86, v19, v118, v86
	v_pk_fma_f16 v45, v18, v118, v45
	;; [unrolled: 1-line block ×4, first 2 shown]
	v_lshrrev_b32_e32 v18, 16, v13
	v_and_b32_e32 v19, 0xffff, v13
	v_lshrrev_b32_e32 v111, 16, v14
	v_and_b32_e32 v113, 0xffff, v14
	v_mul_u32_u24_e32 v118, 0x10001, v12
	v_lshrrev_b32_e32 v119, 16, v15
	v_and_b32_e32 v127, 0xffff, v15
	ds_load_2addr_b64 v[12:15], v105 offset0:192 offset1:224
	v_mul_u32_u24_e32 v105, 0x10001, v110
	v_pk_fma_f16 v86, v9, v118, v86
	v_pk_fma_f16 v45, v8, v118, v45
	v_mul_u32_u24_e32 v19, 0x10001, v19
	v_mul_u32_u24_e32 v18, 0x10001, v18
	v_pk_fma_f16 v9, v9, v105, v17
	v_pk_fma_f16 v8, v8, v105, v16
	s_wait_dscnt 0x8
	v_lshrrev_b32_e32 v110, 16, v106
	v_and_b32_e32 v16, 0xffff, v106
	v_pk_fma_f16 v17, v11, v19, v86
	v_pk_fma_f16 v19, v10, v19, v45
	v_lshrrev_b32_e32 v45, 16, v107
	v_pk_fma_f16 v86, v11, v18, v9
	v_pk_fma_f16 v18, v10, v18, v8
	v_and_b32_e32 v105, 0xffff, v107
	v_lshrrev_b32_e32 v106, 16, v108
	v_and_b32_e32 v107, 0xffff, v108
	v_mul_u32_u24_e32 v108, 0x10001, v113
	v_mul_u32_u24_e32 v111, 0x10001, v111
	v_lshrrev_b32_e32 v113, 16, v109
	v_mul_u32_u24_e32 v118, 0x10001, v127
	v_mul_u32_u24_e32 v119, 0x10001, v119
	v_pk_fma_f16 v17, v5, v108, v17
	v_pk_fma_f16 v19, v4, v108, v19
	;; [unrolled: 1-line block ×4, first 2 shown]
	v_mul_u32_u24_e32 v16, 0x10001, v16
	v_pk_fma_f16 v17, v7, v118, v17
	v_pk_fma_f16 v19, v6, v118, v19
	;; [unrolled: 1-line block ×4, first 2 shown]
	v_mul_u32_u24_e32 v110, 0x10001, v110
	s_wait_dscnt 0x7
	v_lshrrev_b32_e32 v86, 16, v141
	v_pk_fma_f16 v17, v1, v16, v17
	v_pk_fma_f16 v16, v0, v16, v19
	v_mul_u32_u24_e32 v19, 0x10001, v105
	v_mul_u32_u24_e32 v45, 0x10001, v45
	v_pk_fma_f16 v1, v1, v110, v111
	v_pk_fma_f16 v0, v0, v110, v118
	v_and_b32_e32 v109, 0xffff, v109
	v_pk_fma_f16 v17, v3, v19, v17
	v_pk_fma_f16 v16, v2, v19, v16
	;; [unrolled: 1-line block ×4, first 2 shown]
	v_mul_u32_u24_e32 v107, 0x10001, v107
	v_mul_u32_u24_e32 v106, 0x10001, v106
	v_lshrrev_b32_e32 v108, 16, v140
	v_and_b32_e32 v18, 0xffff, v140
	v_mul_u32_u24_e32 v109, 0x10001, v109
	v_pk_fma_f16 v17, v29, v107, v17
	v_pk_fma_f16 v16, v28, v107, v16
	v_mul_u32_u24_e32 v113, 0x10001, v113
	v_pk_fma_f16 v19, v29, v106, v19
	v_pk_fma_f16 v28, v28, v106, v45
	v_and_b32_e32 v119, 0xffff, v141
	s_wait_dscnt 0x1
	v_lshrrev_b32_e32 v107, 16, v136
	v_and_b32_e32 v29, 0xffff, v136
	v_pk_fma_f16 v45, v31, v109, v17
	v_pk_fma_f16 v106, v30, v109, v16
	v_pk_fma_f16 v31, v31, v113, v19
	v_pk_fma_f16 v28, v30, v113, v28
	v_mul_u32_u24_e32 v136, 0x10001, v18
	v_mul_u32_u24_e32 v108, 0x10001, v108
	v_dual_lshrrev_b32 v127, 16, v142 :: v_dual_lshrrev_b32 v141, 16, v143
	v_and_b32_e32 v140, 0xffff, v142
	s_delay_alu instid0(VALU_DEP_4)
	v_pk_fma_f16 v45, v25, v136, v45
	v_pk_fma_f16 v106, v24, v136, v106
	v_mul_u32_u24_e32 v119, 0x10001, v119
	v_mul_u32_u24_e32 v86, 0x10001, v86
	v_pk_fma_f16 v25, v25, v108, v31
	v_pk_fma_f16 v24, v24, v108, v28
	v_and_b32_e32 v142, 0xffff, v143
	v_pk_fma_f16 v28, v27, v119, v45
	v_pk_fma_f16 v31, v26, v119, v106
	;; [unrolled: 1-line block ×4, first 2 shown]
	v_mul_u32_u24_e32 v27, 0x10001, v140
	v_mul_u32_u24_e32 v86, 0x10001, v127
	v_dual_lshrrev_b32 v143, 16, v20 :: v_dual_lshrrev_b32 v105, 16, v21
	v_and_b32_e32 v20, 0xffff, v20
	v_mul_u32_u24_e32 v106, 0x10001, v142
	v_mul_u32_u24_e32 v108, 0x10001, v141
	v_pk_fma_f16 v28, v33, v27, v28
	v_pk_fma_f16 v27, v32, v27, v31
	;; [unrolled: 1-line block ×4, first 2 shown]
	v_and_b32_e32 v21, 0xffff, v21
	v_mul_u32_u24_e32 v20, 0x10001, v20
	v_mul_u32_u24_e32 v119, 0x10001, v143
	v_pk_fma_f16 v28, v35, v106, v28
	v_pk_fma_f16 v27, v34, v106, v27
	;; [unrolled: 1-line block ×4, first 2 shown]
	v_dual_lshrrev_b32 v110, 16, v22 :: v_dual_lshrrev_b32 v111, 16, v23
	v_and_b32_e32 v22, 0xffff, v22
	v_mul_u32_u24_e32 v21, 0x10001, v21
	v_mul_u32_u24_e32 v105, 0x10001, v105
	v_pk_fma_f16 v28, v129, v20, v28
	v_pk_fma_f16 v20, v128, v20, v27
	;; [unrolled: 1-line block ×4, first 2 shown]
	v_and_b32_e32 v23, 0xffff, v23
	v_mul_u32_u24_e32 v22, 0x10001, v22
	v_mul_u32_u24_e32 v110, 0x10001, v110
	v_pk_fma_f16 v28, v131, v21, v28
	v_pk_fma_f16 v20, v130, v21, v20
	;; [unrolled: 1-line block ×4, first 2 shown]
	ds_load_b128 v[4:7], v88 offset:128
	ds_load_b128 v[16:19], v88 offset:144
	v_mul_u32_u24_e32 v23, 0x10001, v23
	v_mul_u32_u24_e32 v111, 0x10001, v111
	v_pk_fma_f16 v28, v133, v22, v28
	v_pk_fma_f16 v20, v132, v22, v20
	;; [unrolled: 1-line block ×4, first 2 shown]
	v_lshrrev_b32_e32 v109, 16, v137
	v_and_b32_e32 v30, 0xffff, v137
	v_mul_u32_u24_e32 v29, 0x10001, v29
	v_mul_u32_u24_e32 v107, 0x10001, v107
	v_pk_fma_f16 v28, v135, v23, v28
	v_pk_fma_f16 v20, v134, v23, v20
	;; [unrolled: 1-line block ×4, first 2 shown]
	ds_load_2addr_b64 v[8:11], v104 offset1:32
	v_dual_lshrrev_b32 v113, 16, v138 :: v_dual_lshrrev_b32 v137, 16, v139
	v_and_b32_e32 v118, 0xffff, v138
	v_mul_u32_u24_e32 v30, 0x10001, v30
	v_mul_u32_u24_e32 v31, 0x10001, v109
	v_pk_fma_f16 v28, v37, v29, v28
	v_pk_fma_f16 v20, v36, v29, v20
	;; [unrolled: 1-line block ×4, first 2 shown]
	v_and_b32_e32 v138, 0xffff, v139
	v_mul_u32_u24_e32 v27, 0x10001, v118
	v_mul_u32_u24_e32 v25, 0x10001, v113
	v_pk_fma_f16 v28, v39, v30, v28
	v_pk_fma_f16 v20, v38, v30, v20
	;; [unrolled: 1-line block ×4, first 2 shown]
	ds_load_2addr_b64 v[0:3], v104 offset0:64 offset1:96
	s_wait_dscnt 0x3
	v_dual_lshrrev_b32 v136, 16, v4 :: v_dual_lshrrev_b32 v45, 16, v5
	v_and_b32_e32 v4, 0xffff, v4
	v_mul_u32_u24_e32 v24, 0x10001, v138
	v_mul_u32_u24_e32 v23, 0x10001, v137
	v_pk_fma_f16 v28, v13, v27, v28
	v_pk_fma_f16 v20, v12, v27, v20
	;; [unrolled: 1-line block ×4, first 2 shown]
	v_and_b32_e32 v5, 0xffff, v5
	v_mul_u32_u24_e32 v4, 0x10001, v4
	v_mul_u32_u24_e32 v29, 0x10001, v136
	v_pk_fma_f16 v21, v15, v24, v28
	v_pk_fma_f16 v20, v14, v24, v20
	v_pk_fma_f16 v12, v14, v23, v12
	v_pk_fma_f16 v13, v15, v23, v13
	v_lshrrev_b32_e32 v26, 16, v6
	v_mul_u32_u24_e32 v5, 0x10001, v5
	v_mul_u32_u24_e32 v14, 0x10001, v45
	s_wait_dscnt 0x1
	v_pk_fma_f16 v15, v9, v4, v21
	v_pk_fma_f16 v4, v8, v4, v20
	;; [unrolled: 1-line block ×4, first 2 shown]
	v_and_b32_e32 v6, 0xffff, v6
	v_pk_fma_f16 v12, v11, v5, v15
	v_pk_fma_f16 v4, v10, v5, v4
	;; [unrolled: 1-line block ×4, first 2 shown]
	v_mul_u32_u24_e32 v6, 0x10001, v6
	ds_load_2addr_b64 v[8:11], v104 offset0:128 offset1:160
	v_and_b32_e32 v15, 0xffff, v7
	v_lshrrev_b32_e32 v7, 16, v7
	v_mul_u32_u24_e32 v14, 0x10001, v26
	s_wait_dscnt 0x1
	v_pk_fma_f16 v4, v0, v6, v4
	v_and_b32_e32 v20, 0xffff, v18
	s_delay_alu instid0(VALU_DEP_3)
	v_pk_fma_f16 v0, v0, v14, v5
	v_pk_fma_f16 v5, v1, v6, v12
	v_mul_u32_u24_e32 v6, 0x10001, v15
	v_mul_u32_u24_e32 v12, 0x10001, v7
	v_and_b32_e32 v7, 0xffff, v16
	v_pk_fma_f16 v1, v1, v14, v13
	v_lshrrev_b32_e32 v13, 16, v16
	v_pk_fma_f16 v14, v2, v6, v4
	v_pk_fma_f16 v0, v2, v12, v0
	;; [unrolled: 1-line block ×3, first 2 shown]
	v_mul_u32_u24_e32 v15, 0x10001, v7
	ds_load_2addr_b64 v[4:7], v104 offset0:192 offset1:224
	v_pk_fma_f16 v12, v3, v12, v1
	v_and_b32_e32 v1, 0xffff, v17
	v_lshrrev_b32_e32 v3, 16, v17
	v_mul_u32_u24_e32 v13, 0x10001, v13
	s_wait_dscnt 0x1
	v_pk_fma_f16 v14, v8, v15, v14
	v_pk_fma_f16 v15, v9, v15, v2
	v_mul_u32_u24_e32 v16, 0x10001, v1
	v_mul_u32_u24_e32 v17, 0x10001, v3
	v_pk_fma_f16 v8, v8, v13, v0
	ds_load_b128 v[0:3], v88 offset:160
	v_pk_fma_f16 v9, v9, v13, v12
	v_pk_fma_f16 v12, v10, v16, v14
	v_mul_u32_u24_e32 v14, 0x10001, v20
	v_pk_fma_f16 v13, v10, v17, v8
	v_lshrrev_b32_e32 v8, 16, v18
	v_add_nc_u32_e32 v20, 0x2800, v43
	v_pk_fma_f16 v15, v11, v16, v15
	v_pk_fma_f16 v16, v11, v17, v9
	s_wait_dscnt 0x1
	v_pk_fma_f16 v18, v4, v14, v12
	v_and_b32_e32 v12, 0xffff, v19
	v_lshrrev_b32_e32 v19, 16, v19
	v_mul_u32_u24_e32 v17, 0x10001, v8
	ds_load_2addr_b64 v[8:11], v20 offset1:32
	v_pk_fma_f16 v21, v5, v14, v15
	v_mul_u32_u24_e32 v22, 0x10001, v19
	v_pk_fma_f16 v4, v4, v17, v13
	v_pk_fma_f16 v5, v5, v17, v16
	v_mul_u32_u24_e32 v16, 0x10001, v12
	ds_load_b128 v[12:15], v88 offset:176
	s_wait_dscnt 0x2
	v_and_b32_e32 v17, 0xffff, v0
	v_lshrrev_b32_e32 v0, 16, v0
	v_pk_fma_f16 v4, v6, v22, v4
	v_pk_fma_f16 v23, v6, v16, v18
	;; [unrolled: 1-line block ×3, first 2 shown]
	v_mul_u32_u24_e32 v21, 0x10001, v17
	v_and_b32_e32 v24, 0xffff, v1
	ds_load_2addr_b64 v[16:19], v20 offset0:64 offset1:96
	v_pk_fma_f16 v5, v7, v22, v5
	v_lshrrev_b32_e32 v1, 16, v1
	v_mul_u32_u24_e32 v0, 0x10001, v0
	v_mul_u32_u24_e32 v22, 0x10001, v24
	s_wait_dscnt 0x2
	v_pk_fma_f16 v7, v8, v21, v23
	v_pk_fma_f16 v6, v9, v21, v6
	v_mul_u32_u24_e32 v1, 0x10001, v1
	v_pk_fma_f16 v4, v8, v0, v4
	v_pk_fma_f16 v0, v9, v0, v5
	v_and_b32_e32 v5, 0xffff, v2
	v_pk_fma_f16 v8, v10, v22, v7
	v_lshrrev_b32_e32 v2, 16, v2
	v_pk_fma_f16 v9, v10, v1, v4
	v_pk_fma_f16 v10, v11, v22, v6
	;; [unrolled: 1-line block ×3, first 2 shown]
	v_mul_u32_u24_e32 v1, 0x10001, v5
	ds_load_2addr_b64 v[4:7], v20 offset0:128 offset1:160
	v_and_b32_e32 v11, 0xffff, v3
	v_lshrrev_b32_e32 v3, 16, v3
	v_mul_u32_u24_e32 v2, 0x10001, v2
	s_wait_dscnt 0x1
	v_pk_fma_f16 v8, v16, v1, v8
	v_pk_fma_f16 v1, v17, v1, v10
	v_mul_u32_u24_e32 v10, 0x10001, v11
	v_mul_u32_u24_e32 v11, 0x10001, v3
	v_pk_fma_f16 v9, v16, v2, v9
	v_pk_fma_f16 v16, v17, v2, v0
	v_and_b32_e32 v0, 0xffff, v12
	v_lshrrev_b32_e32 v2, 16, v12
	v_pk_fma_f16 v8, v18, v10, v8
	v_pk_fma_f16 v9, v18, v11, v9
	;; [unrolled: 1-line block ×3, first 2 shown]
	v_mul_u32_u24_e32 v12, 0x10001, v0
	v_pk_fma_f16 v16, v19, v11, v16
	v_and_b32_e32 v11, 0xffff, v13
	v_lshrrev_b32_e32 v13, 16, v13
	v_mul_u32_u24_e32 v17, 0x10001, v2
	ds_load_2addr_b64 v[0:3], v20 offset0:192 offset1:224
	s_wait_dscnt 0x1
	v_pk_fma_f16 v18, v4, v12, v8
	v_pk_fma_f16 v12, v5, v12, v10
	v_mul_u32_u24_e32 v19, 0x10001, v11
	v_pk_fma_f16 v4, v4, v17, v9
	ds_load_b128 v[8:11], v88 offset:192
	v_mul_u32_u24_e32 v13, 0x10001, v13
	v_and_b32_e32 v20, 0xffff, v14
	v_pk_fma_f16 v5, v5, v17, v16
	v_pk_fma_f16 v16, v6, v19, v18
	;; [unrolled: 1-line block ×4, first 2 shown]
	v_lshrrev_b32_e32 v4, 16, v14
	v_mul_u32_u24_e32 v14, 0x10001, v20
	v_add_nc_u32_e32 v20, 0x3000, v43
	v_pk_fma_f16 v13, v7, v13, v5
	v_and_b32_e32 v19, 0xffff, v15
	v_lshrrev_b32_e32 v15, 16, v15
	v_mul_u32_u24_e32 v18, 0x10001, v4
	ds_load_2addr_b64 v[4:7], v20 offset1:32
	s_wait_dscnt 0x2
	v_pk_fma_f16 v16, v0, v14, v16
	v_mul_u32_u24_e32 v21, 0x10001, v15
	v_pk_fma_f16 v0, v0, v18, v17
	v_pk_fma_f16 v17, v1, v14, v12
	;; [unrolled: 1-line block ×3, first 2 shown]
	v_mul_u32_u24_e32 v18, 0x10001, v19
	ds_load_b128 v[12:15], v88 offset:208
	s_wait_dscnt 0x2
	v_and_b32_e32 v19, 0xffff, v8
	v_lshrrev_b32_e32 v8, 16, v8
	v_pk_fma_f16 v0, v2, v21, v0
	v_pk_fma_f16 v22, v2, v18, v16
	;; [unrolled: 1-line block ×3, first 2 shown]
	v_mul_u32_u24_e32 v23, 0x10001, v19
	ds_load_2addr_b64 v[16:19], v20 offset0:64 offset1:96
	v_and_b32_e32 v24, 0xffff, v9
	v_pk_fma_f16 v1, v3, v21, v1
	v_lshrrev_b32_e32 v3, 16, v9
	v_mul_u32_u24_e32 v8, 0x10001, v8
	s_wait_dscnt 0x2
	v_pk_fma_f16 v9, v4, v23, v22
	v_mul_u32_u24_e32 v21, 0x10001, v24
	v_pk_fma_f16 v2, v5, v23, v2
	v_mul_u32_u24_e32 v3, 0x10001, v3
	v_pk_fma_f16 v0, v4, v8, v0
	v_pk_fma_f16 v1, v5, v8, v1
	v_and_b32_e32 v5, 0xffff, v10
	v_lshrrev_b32_e32 v8, 16, v10
	v_pk_fma_f16 v4, v6, v21, v9
	v_pk_fma_f16 v6, v6, v3, v0
	;; [unrolled: 1-line block ×4, first 2 shown]
	v_mul_u32_u24_e32 v5, 0x10001, v5
	ds_load_2addr_b64 v[0:3], v20 offset0:128 offset1:160
	v_and_b32_e32 v10, 0xffff, v11
	v_lshrrev_b32_e32 v11, 16, v11
	v_mul_u32_u24_e32 v8, 0x10001, v8
	s_wait_dscnt 0x1
	v_pk_fma_f16 v4, v16, v5, v4
	v_pk_fma_f16 v5, v17, v5, v9
	v_mul_u32_u24_e32 v9, 0x10001, v10
	v_mul_u32_u24_e32 v10, 0x10001, v11
	v_pk_fma_f16 v6, v16, v8, v6
	v_pk_fma_f16 v8, v17, v8, v7
	v_and_b32_e32 v7, 0xffff, v12
	v_lshrrev_b32_e32 v11, 16, v12
	v_pk_fma_f16 v12, v18, v9, v4
	v_pk_fma_f16 v16, v18, v10, v6
	;; [unrolled: 1-line block ×3, first 2 shown]
	v_mul_u32_u24_e32 v17, 0x10001, v7
	ds_load_2addr_b64 v[4:7], v20 offset0:192 offset1:224
	v_pk_fma_f16 v19, v19, v10, v8
	v_and_b32_e32 v8, 0xffff, v13
	v_lshrrev_b32_e32 v10, 16, v13
	v_mul_u32_u24_e32 v18, 0x10001, v11
	s_wait_dscnt 0x1
	v_pk_fma_f16 v12, v0, v17, v12
	v_pk_fma_f16 v13, v1, v17, v9
	v_and_b32_e32 v20, 0xffff, v14
	v_mul_u32_u24_e32 v17, 0x10001, v10
	v_pk_fma_f16 v0, v0, v18, v16
	v_mul_u32_u24_e32 v16, 0x10001, v8
	ds_load_b128 v[8:11], v88 offset:224
	v_pk_fma_f16 v1, v1, v18, v19
	v_pk_fma_f16 v18, v2, v17, v0
	v_pk_fma_f16 v12, v2, v16, v12
	v_lshrrev_b32_e32 v0, 16, v14
	v_mul_u32_u24_e32 v14, 0x10001, v20
	v_add_nc_u32_e32 v20, 0x3800, v43
	v_pk_fma_f16 v13, v3, v16, v13
	v_pk_fma_f16 v16, v3, v17, v1
	s_wait_dscnt 0x1
	v_pk_fma_f16 v19, v4, v14, v12
	v_and_b32_e32 v12, 0xffff, v15
	v_lshrrev_b32_e32 v15, 16, v15
	v_mul_u32_u24_e32 v17, 0x10001, v0
	ds_load_2addr_b64 v[0:3], v20 offset1:32
	v_mul_u32_u24_e32 v21, 0x10001, v15
	v_pk_fma_f16 v4, v4, v17, v18
	v_pk_fma_f16 v18, v5, v14, v13
	v_pk_fma_f16 v5, v5, v17, v16
	v_mul_u32_u24_e32 v16, 0x10001, v12
	ds_load_b128 v[12:15], v88 offset:240
	s_wait_dscnt 0x2
	v_and_b32_e32 v17, 0xffff, v8
	v_lshrrev_b32_e32 v8, 16, v8
	v_pk_fma_f16 v4, v6, v21, v4
	v_pk_fma_f16 v22, v6, v16, v19
	;; [unrolled: 1-line block ×3, first 2 shown]
	v_mul_u32_u24_e32 v23, 0x10001, v17
	v_and_b32_e32 v24, 0xffff, v9
	ds_load_2addr_b64 v[16:19], v20 offset0:64 offset1:96
	v_pk_fma_f16 v5, v7, v21, v5
	v_lshrrev_b32_e32 v7, 16, v9
	v_mul_u32_u24_e32 v8, 0x10001, v8
	s_wait_dscnt 0x2
	v_pk_fma_f16 v9, v0, v23, v22
	v_mul_u32_u24_e32 v21, 0x10001, v24
	s_delay_alu instid0(VALU_DEP_3)
	v_pk_fma_f16 v0, v0, v8, v4
	v_pk_fma_f16 v4, v1, v23, v6
	v_mul_u32_u24_e32 v6, 0x10001, v7
	v_pk_fma_f16 v1, v1, v8, v5
	v_pk_fma_f16 v5, v2, v21, v9
	v_and_b32_e32 v7, 0xffff, v10
	v_lshrrev_b32_e32 v8, 16, v10
	v_pk_fma_f16 v9, v2, v6, v0
	v_pk_fma_f16 v4, v3, v21, v4
	;; [unrolled: 1-line block ×3, first 2 shown]
	ds_load_2addr_b64 v[0:3], v20 offset0:128 offset1:160
	v_mul_u32_u24_e32 v7, 0x10001, v7
	v_and_b32_e32 v10, 0xffff, v11
	v_lshrrev_b32_e32 v11, 16, v11
	v_mul_u32_u24_e32 v8, 0x10001, v8
	s_wait_dscnt 0x1
	v_pk_fma_f16 v5, v16, v7, v5
	v_pk_fma_f16 v4, v17, v7, v4
	v_mul_u32_u24_e32 v7, 0x10001, v10
	v_pk_fma_f16 v9, v16, v8, v9
	v_mul_u32_u24_e32 v10, 0x10001, v11
	v_pk_fma_f16 v8, v17, v8, v6
	v_and_b32_e32 v6, 0xffff, v12
	v_lshrrev_b32_e32 v11, 16, v12
	v_pk_fma_f16 v12, v18, v7, v5
	v_pk_fma_f16 v9, v18, v10, v9
	v_pk_fma_f16 v16, v19, v7, v4
	v_mul_u32_u24_e32 v17, 0x10001, v6
	ds_load_2addr_b64 v[4:7], v20 offset0:192 offset1:224
	v_pk_fma_f16 v19, v19, v10, v8
	v_and_b32_e32 v8, 0xffff, v13
	v_lshrrev_b32_e32 v10, 16, v13
	v_mul_u32_u24_e32 v18, 0x10001, v11
	s_wait_dscnt 0x1
	v_pk_fma_f16 v12, v0, v17, v12
	v_pk_fma_f16 v13, v1, v17, v16
	v_mul_u32_u24_e32 v16, 0x10001, v8
	v_mul_u32_u24_e32 v17, 0x10001, v10
	v_pk_fma_f16 v0, v0, v18, v9
	ds_load_b128 v[8:11], v88 offset:256
	v_and_b32_e32 v20, 0xffff, v14
	v_pk_fma_f16 v1, v1, v18, v19
	v_pk_fma_f16 v12, v2, v16, v12
	;; [unrolled: 1-line block ×3, first 2 shown]
	v_lshrrev_b32_e32 v0, 16, v14
	v_mul_u32_u24_e32 v14, 0x10001, v20
	v_add_nc_u32_e32 v20, 0x4000, v43
	v_pk_fma_f16 v13, v3, v16, v13
	v_pk_fma_f16 v16, v3, v17, v1
	s_wait_dscnt 0x1
	v_pk_fma_f16 v19, v4, v14, v12
	v_and_b32_e32 v12, 0xffff, v15
	v_lshrrev_b32_e32 v15, 16, v15
	v_mul_u32_u24_e32 v17, 0x10001, v0
	ds_load_2addr_b64 v[0:3], v20 offset1:32
	v_mul_u32_u24_e32 v21, 0x10001, v15
	v_pk_fma_f16 v4, v4, v17, v18
	v_pk_fma_f16 v18, v5, v14, v13
	v_pk_fma_f16 v5, v5, v17, v16
	v_mul_u32_u24_e32 v16, 0x10001, v12
	ds_load_b128 v[12:15], v88 offset:272
	s_wait_dscnt 0x2
	v_and_b32_e32 v17, 0xffff, v8
	v_lshrrev_b32_e32 v8, 16, v8
	v_pk_fma_f16 v4, v6, v21, v4
	v_pk_fma_f16 v22, v6, v16, v19
	;; [unrolled: 1-line block ×3, first 2 shown]
	v_mul_u32_u24_e32 v23, 0x10001, v17
	ds_load_2addr_b64 v[16:19], v20 offset0:64 offset1:96
	v_and_b32_e32 v24, 0xffff, v9
	v_pk_fma_f16 v5, v7, v21, v5
	v_lshrrev_b32_e32 v7, 16, v9
	v_mul_u32_u24_e32 v8, 0x10001, v8
	s_wait_dscnt 0x2
	v_pk_fma_f16 v9, v0, v23, v22
	v_mul_u32_u24_e32 v21, 0x10001, v24
	s_delay_alu instid0(VALU_DEP_3)
	v_pk_fma_f16 v0, v0, v8, v4
	v_pk_fma_f16 v4, v1, v23, v6
	v_mul_u32_u24_e32 v6, 0x10001, v7
	v_pk_fma_f16 v1, v1, v8, v5
	v_and_b32_e32 v7, 0xffff, v10
	v_lshrrev_b32_e32 v8, 16, v10
	v_pk_fma_f16 v5, v2, v21, v9
	v_pk_fma_f16 v9, v2, v6, v0
	;; [unrolled: 1-line block ×4, first 2 shown]
	v_mul_u32_u24_e32 v7, 0x10001, v7
	ds_load_2addr_b64 v[0:3], v20 offset0:128 offset1:160
	v_and_b32_e32 v10, 0xffff, v11
	v_lshrrev_b32_e32 v11, 16, v11
	v_mul_u32_u24_e32 v8, 0x10001, v8
	s_wait_dscnt 0x1
	v_pk_fma_f16 v5, v16, v7, v5
	v_pk_fma_f16 v4, v17, v7, v4
	v_mul_u32_u24_e32 v7, 0x10001, v10
	v_mul_u32_u24_e32 v10, 0x10001, v11
	v_pk_fma_f16 v9, v16, v8, v9
	v_pk_fma_f16 v8, v17, v8, v6
	v_and_b32_e32 v6, 0xffff, v12
	v_lshrrev_b32_e32 v11, 16, v12
	v_pk_fma_f16 v12, v18, v7, v5
	v_pk_fma_f16 v16, v19, v7, v4
	;; [unrolled: 1-line block ×3, first 2 shown]
	v_mul_u32_u24_e32 v17, 0x10001, v6
	ds_load_2addr_b64 v[4:7], v20 offset0:192 offset1:224
	v_pk_fma_f16 v19, v19, v10, v8
	v_and_b32_e32 v8, 0xffff, v13
	v_lshrrev_b32_e32 v10, 16, v13
	v_mul_u32_u24_e32 v18, 0x10001, v11
	s_wait_dscnt 0x1
	v_pk_fma_f16 v12, v0, v17, v12
	v_pk_fma_f16 v13, v1, v17, v16
	v_mul_u32_u24_e32 v16, 0x10001, v8
	v_mul_u32_u24_e32 v17, 0x10001, v10
	v_pk_fma_f16 v0, v0, v18, v9
	v_and_b32_e32 v20, 0xffff, v14
	ds_load_b128 v[8:11], v88 offset:288
	v_pk_fma_f16 v1, v1, v18, v19
	v_pk_fma_f16 v12, v2, v16, v12
	;; [unrolled: 1-line block ×3, first 2 shown]
	v_lshrrev_b32_e32 v0, 16, v14
	v_mul_u32_u24_e32 v14, 0x10001, v20
	v_add_nc_u32_e32 v20, 0x4800, v43
	v_pk_fma_f16 v13, v3, v16, v13
	v_pk_fma_f16 v16, v3, v17, v1
	s_wait_dscnt 0x1
	v_pk_fma_f16 v19, v4, v14, v12
	v_and_b32_e32 v12, 0xffff, v15
	v_lshrrev_b32_e32 v15, 16, v15
	v_mul_u32_u24_e32 v17, 0x10001, v0
	ds_load_2addr_b64 v[0:3], v20 offset1:32
	v_mul_u32_u24_e32 v21, 0x10001, v15
	v_pk_fma_f16 v4, v4, v17, v18
	v_pk_fma_f16 v18, v5, v14, v13
	v_pk_fma_f16 v5, v5, v17, v16
	v_mul_u32_u24_e32 v16, 0x10001, v12
	ds_load_b128 v[12:15], v88 offset:304
	s_wait_dscnt 0x2
	v_and_b32_e32 v17, 0xffff, v8
	v_lshrrev_b32_e32 v8, 16, v8
	v_pk_fma_f16 v4, v6, v21, v4
	v_pk_fma_f16 v22, v6, v16, v19
	v_pk_fma_f16 v6, v7, v16, v18
	v_mul_u32_u24_e32 v23, 0x10001, v17
	v_and_b32_e32 v24, 0xffff, v9
	ds_load_2addr_b64 v[16:19], v20 offset0:64 offset1:96
	v_pk_fma_f16 v5, v7, v21, v5
	v_lshrrev_b32_e32 v7, 16, v9
	v_mul_u32_u24_e32 v8, 0x10001, v8
	s_wait_dscnt 0x2
	v_pk_fma_f16 v9, v0, v23, v22
	v_mul_u32_u24_e32 v21, 0x10001, v24
	s_delay_alu instid0(VALU_DEP_3)
	v_pk_fma_f16 v0, v0, v8, v4
	v_pk_fma_f16 v4, v1, v23, v6
	v_mul_u32_u24_e32 v6, 0x10001, v7
	v_pk_fma_f16 v1, v1, v8, v5
	v_pk_fma_f16 v5, v2, v21, v9
	v_and_b32_e32 v7, 0xffff, v10
	v_lshrrev_b32_e32 v8, 16, v10
	v_pk_fma_f16 v9, v2, v6, v0
	v_pk_fma_f16 v4, v3, v21, v4
	;; [unrolled: 1-line block ×3, first 2 shown]
	ds_load_2addr_b64 v[0:3], v20 offset0:128 offset1:160
	v_mul_u32_u24_e32 v7, 0x10001, v7
	v_and_b32_e32 v10, 0xffff, v11
	v_lshrrev_b32_e32 v11, 16, v11
	v_mul_u32_u24_e32 v8, 0x10001, v8
	s_wait_dscnt 0x1
	v_pk_fma_f16 v5, v16, v7, v5
	v_pk_fma_f16 v4, v17, v7, v4
	v_mul_u32_u24_e32 v7, 0x10001, v10
	v_pk_fma_f16 v9, v16, v8, v9
	v_mul_u32_u24_e32 v10, 0x10001, v11
	v_pk_fma_f16 v8, v17, v8, v6
	v_and_b32_e32 v6, 0xffff, v12
	v_lshrrev_b32_e32 v11, 16, v12
	v_pk_fma_f16 v12, v18, v7, v5
	v_pk_fma_f16 v9, v18, v10, v9
	;; [unrolled: 1-line block ×3, first 2 shown]
	v_mul_u32_u24_e32 v17, 0x10001, v6
	ds_load_2addr_b64 v[4:7], v20 offset0:192 offset1:224
	v_pk_fma_f16 v19, v19, v10, v8
	v_and_b32_e32 v8, 0xffff, v13
	v_lshrrev_b32_e32 v10, 16, v13
	v_mul_u32_u24_e32 v18, 0x10001, v11
	s_wait_dscnt 0x1
	v_pk_fma_f16 v12, v0, v17, v12
	v_pk_fma_f16 v13, v1, v17, v16
	v_mul_u32_u24_e32 v16, 0x10001, v8
	v_mul_u32_u24_e32 v17, 0x10001, v10
	v_pk_fma_f16 v0, v0, v18, v9
	ds_load_b128 v[8:11], v88 offset:320
	v_and_b32_e32 v20, 0xffff, v14
	v_pk_fma_f16 v1, v1, v18, v19
	v_pk_fma_f16 v12, v2, v16, v12
	;; [unrolled: 1-line block ×3, first 2 shown]
	v_lshrrev_b32_e32 v0, 16, v14
	v_mul_u32_u24_e32 v14, 0x10001, v20
	v_add_nc_u32_e32 v20, 0x5000, v43
	v_pk_fma_f16 v13, v3, v16, v13
	v_pk_fma_f16 v16, v3, v17, v1
	s_wait_dscnt 0x1
	v_pk_fma_f16 v19, v4, v14, v12
	v_and_b32_e32 v12, 0xffff, v15
	v_lshrrev_b32_e32 v15, 16, v15
	v_mul_u32_u24_e32 v17, 0x10001, v0
	ds_load_2addr_b64 v[0:3], v20 offset1:32
	v_mul_u32_u24_e32 v21, 0x10001, v15
	v_pk_fma_f16 v4, v4, v17, v18
	v_pk_fma_f16 v18, v5, v14, v13
	;; [unrolled: 1-line block ×3, first 2 shown]
	v_mul_u32_u24_e32 v16, 0x10001, v12
	ds_load_b128 v[12:15], v88 offset:336
	s_wait_dscnt 0x2
	v_and_b32_e32 v17, 0xffff, v8
	v_lshrrev_b32_e32 v8, 16, v8
	v_pk_fma_f16 v4, v6, v21, v4
	v_pk_fma_f16 v22, v6, v16, v19
	;; [unrolled: 1-line block ×3, first 2 shown]
	v_mul_u32_u24_e32 v23, 0x10001, v17
	ds_load_2addr_b64 v[16:19], v20 offset0:64 offset1:96
	v_and_b32_e32 v24, 0xffff, v9
	v_pk_fma_f16 v5, v7, v21, v5
	v_lshrrev_b32_e32 v7, 16, v9
	v_mul_u32_u24_e32 v8, 0x10001, v8
	s_wait_dscnt 0x2
	v_pk_fma_f16 v9, v0, v23, v22
	v_mul_u32_u24_e32 v21, 0x10001, v24
	s_delay_alu instid0(VALU_DEP_3)
	v_pk_fma_f16 v0, v0, v8, v4
	v_pk_fma_f16 v4, v1, v23, v6
	v_mul_u32_u24_e32 v6, 0x10001, v7
	v_pk_fma_f16 v1, v1, v8, v5
	v_and_b32_e32 v7, 0xffff, v10
	v_lshrrev_b32_e32 v8, 16, v10
	v_pk_fma_f16 v5, v2, v21, v9
	v_pk_fma_f16 v9, v2, v6, v0
	;; [unrolled: 1-line block ×4, first 2 shown]
	v_mul_u32_u24_e32 v7, 0x10001, v7
	ds_load_2addr_b64 v[0:3], v20 offset0:128 offset1:160
	v_and_b32_e32 v10, 0xffff, v11
	v_lshrrev_b32_e32 v11, 16, v11
	v_mul_u32_u24_e32 v8, 0x10001, v8
	s_wait_dscnt 0x1
	v_pk_fma_f16 v5, v16, v7, v5
	v_pk_fma_f16 v4, v17, v7, v4
	v_mul_u32_u24_e32 v7, 0x10001, v10
	v_mul_u32_u24_e32 v10, 0x10001, v11
	v_pk_fma_f16 v9, v16, v8, v9
	v_pk_fma_f16 v8, v17, v8, v6
	v_and_b32_e32 v6, 0xffff, v12
	v_lshrrev_b32_e32 v11, 16, v12
	v_pk_fma_f16 v12, v18, v7, v5
	v_pk_fma_f16 v16, v19, v7, v4
	;; [unrolled: 1-line block ×3, first 2 shown]
	v_mul_u32_u24_e32 v17, 0x10001, v6
	ds_load_2addr_b64 v[4:7], v20 offset0:192 offset1:224
	v_pk_fma_f16 v19, v19, v10, v8
	v_and_b32_e32 v8, 0xffff, v13
	v_lshrrev_b32_e32 v10, 16, v13
	v_mul_u32_u24_e32 v18, 0x10001, v11
	s_wait_dscnt 0x1
	v_pk_fma_f16 v12, v0, v17, v12
	v_pk_fma_f16 v13, v1, v17, v16
	v_mul_u32_u24_e32 v16, 0x10001, v8
	v_mul_u32_u24_e32 v17, 0x10001, v10
	v_pk_fma_f16 v0, v0, v18, v9
	v_and_b32_e32 v20, 0xffff, v14
	ds_load_b128 v[8:11], v88 offset:352
	v_pk_fma_f16 v1, v1, v18, v19
	v_pk_fma_f16 v12, v2, v16, v12
	v_pk_fma_f16 v18, v2, v17, v0
	v_lshrrev_b32_e32 v0, 16, v14
	v_mul_u32_u24_e32 v14, 0x10001, v20
	v_add_nc_u32_e32 v20, 0x5800, v43
	v_pk_fma_f16 v13, v3, v16, v13
	v_pk_fma_f16 v16, v3, v17, v1
	s_wait_dscnt 0x1
	v_pk_fma_f16 v19, v4, v14, v12
	v_and_b32_e32 v12, 0xffff, v15
	v_lshrrev_b32_e32 v15, 16, v15
	v_mul_u32_u24_e32 v17, 0x10001, v0
	ds_load_2addr_b64 v[0:3], v20 offset1:32
	v_mul_u32_u24_e32 v21, 0x10001, v15
	v_pk_fma_f16 v4, v4, v17, v18
	v_pk_fma_f16 v18, v5, v14, v13
	;; [unrolled: 1-line block ×3, first 2 shown]
	v_mul_u32_u24_e32 v16, 0x10001, v12
	ds_load_b128 v[12:15], v88 offset:368
	s_wait_dscnt 0x2
	v_and_b32_e32 v17, 0xffff, v8
	v_lshrrev_b32_e32 v8, 16, v8
	v_pk_fma_f16 v4, v6, v21, v4
	v_pk_fma_f16 v22, v6, v16, v19
	;; [unrolled: 1-line block ×3, first 2 shown]
	v_mul_u32_u24_e32 v23, 0x10001, v17
	v_and_b32_e32 v24, 0xffff, v9
	ds_load_2addr_b64 v[16:19], v20 offset0:64 offset1:96
	v_pk_fma_f16 v5, v7, v21, v5
	v_lshrrev_b32_e32 v7, 16, v9
	v_mul_u32_u24_e32 v8, 0x10001, v8
	s_wait_dscnt 0x2
	v_pk_fma_f16 v9, v0, v23, v22
	v_mul_u32_u24_e32 v21, 0x10001, v24
	s_delay_alu instid0(VALU_DEP_3)
	v_pk_fma_f16 v0, v0, v8, v4
	v_pk_fma_f16 v4, v1, v23, v6
	v_mul_u32_u24_e32 v6, 0x10001, v7
	v_pk_fma_f16 v1, v1, v8, v5
	v_pk_fma_f16 v5, v2, v21, v9
	v_and_b32_e32 v7, 0xffff, v10
	v_lshrrev_b32_e32 v8, 16, v10
	v_pk_fma_f16 v9, v2, v6, v0
	v_pk_fma_f16 v4, v3, v21, v4
	;; [unrolled: 1-line block ×3, first 2 shown]
	ds_load_2addr_b64 v[0:3], v20 offset0:128 offset1:160
	v_mul_u32_u24_e32 v7, 0x10001, v7
	v_and_b32_e32 v10, 0xffff, v11
	v_lshrrev_b32_e32 v11, 16, v11
	v_mul_u32_u24_e32 v8, 0x10001, v8
	s_wait_dscnt 0x1
	v_pk_fma_f16 v5, v16, v7, v5
	v_pk_fma_f16 v4, v17, v7, v4
	v_mul_u32_u24_e32 v7, 0x10001, v10
	v_pk_fma_f16 v9, v16, v8, v9
	v_mul_u32_u24_e32 v10, 0x10001, v11
	v_pk_fma_f16 v8, v17, v8, v6
	v_and_b32_e32 v6, 0xffff, v12
	v_lshrrev_b32_e32 v11, 16, v12
	v_pk_fma_f16 v12, v18, v7, v5
	v_pk_fma_f16 v9, v18, v10, v9
	;; [unrolled: 1-line block ×3, first 2 shown]
	v_mul_u32_u24_e32 v17, 0x10001, v6
	ds_load_2addr_b64 v[4:7], v20 offset0:192 offset1:224
	v_pk_fma_f16 v19, v19, v10, v8
	v_and_b32_e32 v8, 0xffff, v13
	v_lshrrev_b32_e32 v10, 16, v13
	v_mul_u32_u24_e32 v18, 0x10001, v11
	s_wait_dscnt 0x1
	v_pk_fma_f16 v12, v0, v17, v12
	v_pk_fma_f16 v13, v1, v17, v16
	v_mul_u32_u24_e32 v16, 0x10001, v8
	v_mul_u32_u24_e32 v17, 0x10001, v10
	v_pk_fma_f16 v0, v0, v18, v9
	ds_load_b128 v[8:11], v88 offset:384
	v_and_b32_e32 v20, 0xffff, v14
	v_pk_fma_f16 v1, v1, v18, v19
	v_pk_fma_f16 v12, v2, v16, v12
	;; [unrolled: 1-line block ×3, first 2 shown]
	v_lshrrev_b32_e32 v0, 16, v14
	v_mul_u32_u24_e32 v14, 0x10001, v20
	v_add_nc_u32_e32 v20, 0x6000, v43
	v_pk_fma_f16 v13, v3, v16, v13
	v_pk_fma_f16 v16, v3, v17, v1
	s_wait_dscnt 0x1
	v_pk_fma_f16 v19, v4, v14, v12
	v_and_b32_e32 v12, 0xffff, v15
	v_lshrrev_b32_e32 v15, 16, v15
	v_mul_u32_u24_e32 v17, 0x10001, v0
	ds_load_2addr_b64 v[0:3], v20 offset1:32
	v_mul_u32_u24_e32 v21, 0x10001, v15
	v_pk_fma_f16 v4, v4, v17, v18
	v_pk_fma_f16 v18, v5, v14, v13
	;; [unrolled: 1-line block ×3, first 2 shown]
	v_mul_u32_u24_e32 v16, 0x10001, v12
	ds_load_b128 v[12:15], v88 offset:400
	s_wait_dscnt 0x2
	v_and_b32_e32 v17, 0xffff, v8
	v_lshrrev_b32_e32 v8, 16, v8
	v_pk_fma_f16 v4, v6, v21, v4
	v_pk_fma_f16 v22, v6, v16, v19
	;; [unrolled: 1-line block ×3, first 2 shown]
	v_mul_u32_u24_e32 v23, 0x10001, v17
	ds_load_2addr_b64 v[16:19], v20 offset0:64 offset1:96
	v_and_b32_e32 v24, 0xffff, v9
	v_pk_fma_f16 v5, v7, v21, v5
	v_lshrrev_b32_e32 v7, 16, v9
	v_mul_u32_u24_e32 v8, 0x10001, v8
	s_wait_dscnt 0x2
	v_pk_fma_f16 v9, v0, v23, v22
	v_mul_u32_u24_e32 v21, 0x10001, v24
	s_delay_alu instid0(VALU_DEP_3)
	v_pk_fma_f16 v0, v0, v8, v4
	v_pk_fma_f16 v4, v1, v23, v6
	v_mul_u32_u24_e32 v6, 0x10001, v7
	v_pk_fma_f16 v1, v1, v8, v5
	v_and_b32_e32 v7, 0xffff, v10
	v_lshrrev_b32_e32 v8, 16, v10
	v_pk_fma_f16 v5, v2, v21, v9
	v_pk_fma_f16 v9, v2, v6, v0
	;; [unrolled: 1-line block ×4, first 2 shown]
	v_mul_u32_u24_e32 v7, 0x10001, v7
	ds_load_2addr_b64 v[0:3], v20 offset0:128 offset1:160
	v_and_b32_e32 v10, 0xffff, v11
	v_lshrrev_b32_e32 v11, 16, v11
	v_mul_u32_u24_e32 v8, 0x10001, v8
	s_wait_dscnt 0x1
	v_pk_fma_f16 v5, v16, v7, v5
	v_pk_fma_f16 v4, v17, v7, v4
	v_mul_u32_u24_e32 v7, 0x10001, v10
	v_mul_u32_u24_e32 v10, 0x10001, v11
	v_pk_fma_f16 v9, v16, v8, v9
	v_pk_fma_f16 v8, v17, v8, v6
	v_and_b32_e32 v6, 0xffff, v12
	v_lshrrev_b32_e32 v11, 16, v12
	v_pk_fma_f16 v12, v18, v7, v5
	v_pk_fma_f16 v16, v19, v7, v4
	;; [unrolled: 1-line block ×3, first 2 shown]
	v_mul_u32_u24_e32 v17, 0x10001, v6
	ds_load_2addr_b64 v[4:7], v20 offset0:192 offset1:224
	v_pk_fma_f16 v19, v19, v10, v8
	v_and_b32_e32 v8, 0xffff, v13
	v_lshrrev_b32_e32 v10, 16, v13
	v_mul_u32_u24_e32 v18, 0x10001, v11
	s_wait_dscnt 0x1
	v_pk_fma_f16 v12, v0, v17, v12
	v_pk_fma_f16 v13, v1, v17, v16
	v_mul_u32_u24_e32 v16, 0x10001, v8
	v_mul_u32_u24_e32 v17, 0x10001, v10
	v_pk_fma_f16 v0, v0, v18, v9
	v_and_b32_e32 v20, 0xffff, v14
	ds_load_b128 v[8:11], v88 offset:416
	v_pk_fma_f16 v1, v1, v18, v19
	v_pk_fma_f16 v12, v2, v16, v12
	;; [unrolled: 1-line block ×3, first 2 shown]
	v_lshrrev_b32_e32 v0, 16, v14
	v_mul_u32_u24_e32 v14, 0x10001, v20
	v_add_nc_u32_e32 v20, 0x6800, v43
	v_pk_fma_f16 v13, v3, v16, v13
	v_pk_fma_f16 v16, v3, v17, v1
	s_wait_dscnt 0x1
	v_pk_fma_f16 v19, v4, v14, v12
	v_and_b32_e32 v12, 0xffff, v15
	v_lshrrev_b32_e32 v15, 16, v15
	v_mul_u32_u24_e32 v17, 0x10001, v0
	ds_load_2addr_b64 v[0:3], v20 offset1:32
	v_mul_u32_u24_e32 v21, 0x10001, v15
	v_pk_fma_f16 v4, v4, v17, v18
	v_pk_fma_f16 v18, v5, v14, v13
	;; [unrolled: 1-line block ×3, first 2 shown]
	v_mul_u32_u24_e32 v16, 0x10001, v12
	ds_load_b128 v[12:15], v88 offset:432
	s_wait_dscnt 0x2
	v_and_b32_e32 v17, 0xffff, v8
	v_lshrrev_b32_e32 v8, 16, v8
	v_pk_fma_f16 v4, v6, v21, v4
	v_pk_fma_f16 v22, v6, v16, v19
	;; [unrolled: 1-line block ×3, first 2 shown]
	v_mul_u32_u24_e32 v23, 0x10001, v17
	v_and_b32_e32 v24, 0xffff, v9
	ds_load_2addr_b64 v[16:19], v20 offset0:64 offset1:96
	v_pk_fma_f16 v5, v7, v21, v5
	v_lshrrev_b32_e32 v7, 16, v9
	v_mul_u32_u24_e32 v8, 0x10001, v8
	s_wait_dscnt 0x2
	v_pk_fma_f16 v9, v0, v23, v22
	v_mul_u32_u24_e32 v21, 0x10001, v24
	s_delay_alu instid0(VALU_DEP_3)
	v_pk_fma_f16 v0, v0, v8, v4
	v_pk_fma_f16 v4, v1, v23, v6
	v_mul_u32_u24_e32 v6, 0x10001, v7
	v_pk_fma_f16 v1, v1, v8, v5
	v_pk_fma_f16 v5, v2, v21, v9
	v_and_b32_e32 v7, 0xffff, v10
	v_lshrrev_b32_e32 v8, 16, v10
	v_pk_fma_f16 v9, v2, v6, v0
	v_pk_fma_f16 v4, v3, v21, v4
	;; [unrolled: 1-line block ×3, first 2 shown]
	ds_load_2addr_b64 v[0:3], v20 offset0:128 offset1:160
	v_mul_u32_u24_e32 v7, 0x10001, v7
	v_and_b32_e32 v10, 0xffff, v11
	v_lshrrev_b32_e32 v11, 16, v11
	v_mul_u32_u24_e32 v8, 0x10001, v8
	s_wait_dscnt 0x1
	v_pk_fma_f16 v5, v16, v7, v5
	v_pk_fma_f16 v4, v17, v7, v4
	v_mul_u32_u24_e32 v7, 0x10001, v10
	v_pk_fma_f16 v9, v16, v8, v9
	v_mul_u32_u24_e32 v10, 0x10001, v11
	v_pk_fma_f16 v8, v17, v8, v6
	v_and_b32_e32 v6, 0xffff, v12
	v_lshrrev_b32_e32 v11, 16, v12
	v_pk_fma_f16 v12, v18, v7, v5
	v_pk_fma_f16 v9, v18, v10, v9
	;; [unrolled: 1-line block ×3, first 2 shown]
	v_mul_u32_u24_e32 v17, 0x10001, v6
	ds_load_2addr_b64 v[4:7], v20 offset0:192 offset1:224
	v_pk_fma_f16 v19, v19, v10, v8
	v_and_b32_e32 v8, 0xffff, v13
	v_lshrrev_b32_e32 v10, 16, v13
	v_mul_u32_u24_e32 v18, 0x10001, v11
	s_wait_dscnt 0x1
	v_pk_fma_f16 v12, v0, v17, v12
	v_pk_fma_f16 v13, v1, v17, v16
	v_mul_u32_u24_e32 v16, 0x10001, v8
	v_mul_u32_u24_e32 v17, 0x10001, v10
	v_pk_fma_f16 v0, v0, v18, v9
	ds_load_b128 v[8:11], v88 offset:448
	v_and_b32_e32 v20, 0xffff, v14
	v_pk_fma_f16 v1, v1, v18, v19
	v_pk_fma_f16 v12, v2, v16, v12
	;; [unrolled: 1-line block ×3, first 2 shown]
	v_lshrrev_b32_e32 v0, 16, v14
	v_mul_u32_u24_e32 v14, 0x10001, v20
	v_add_nc_u32_e32 v20, 0x7000, v43
	v_pk_fma_f16 v13, v3, v16, v13
	v_pk_fma_f16 v16, v3, v17, v1
	s_wait_dscnt 0x1
	v_pk_fma_f16 v19, v4, v14, v12
	v_and_b32_e32 v12, 0xffff, v15
	v_lshrrev_b32_e32 v15, 16, v15
	v_mul_u32_u24_e32 v17, 0x10001, v0
	ds_load_2addr_b64 v[0:3], v20 offset1:32
	v_mul_u32_u24_e32 v21, 0x10001, v15
	v_pk_fma_f16 v4, v4, v17, v18
	v_pk_fma_f16 v18, v5, v14, v13
	;; [unrolled: 1-line block ×3, first 2 shown]
	v_mul_u32_u24_e32 v16, 0x10001, v12
	ds_load_b128 v[12:15], v88 offset:464
	s_wait_dscnt 0x2
	v_and_b32_e32 v17, 0xffff, v8
	v_lshrrev_b32_e32 v8, 16, v8
	v_pk_fma_f16 v4, v6, v21, v4
	v_pk_fma_f16 v22, v6, v16, v19
	;; [unrolled: 1-line block ×3, first 2 shown]
	v_mul_u32_u24_e32 v23, 0x10001, v17
	ds_load_2addr_b64 v[16:19], v20 offset0:64 offset1:96
	v_and_b32_e32 v24, 0xffff, v9
	v_pk_fma_f16 v5, v7, v21, v5
	v_lshrrev_b32_e32 v7, 16, v9
	v_mul_u32_u24_e32 v8, 0x10001, v8
	s_wait_dscnt 0x2
	v_pk_fma_f16 v9, v0, v23, v22
	v_mul_u32_u24_e32 v21, 0x10001, v24
	s_delay_alu instid0(VALU_DEP_3)
	v_pk_fma_f16 v0, v0, v8, v4
	v_pk_fma_f16 v4, v1, v23, v6
	v_mul_u32_u24_e32 v6, 0x10001, v7
	v_pk_fma_f16 v1, v1, v8, v5
	v_and_b32_e32 v7, 0xffff, v10
	v_lshrrev_b32_e32 v8, 16, v10
	v_pk_fma_f16 v5, v2, v21, v9
	v_pk_fma_f16 v9, v2, v6, v0
	;; [unrolled: 1-line block ×4, first 2 shown]
	v_mul_u32_u24_e32 v7, 0x10001, v7
	ds_load_2addr_b64 v[0:3], v20 offset0:128 offset1:160
	v_and_b32_e32 v10, 0xffff, v11
	v_lshrrev_b32_e32 v11, 16, v11
	v_mul_u32_u24_e32 v8, 0x10001, v8
	s_wait_dscnt 0x1
	v_pk_fma_f16 v5, v16, v7, v5
	v_pk_fma_f16 v4, v17, v7, v4
	v_mul_u32_u24_e32 v7, 0x10001, v10
	v_mul_u32_u24_e32 v10, 0x10001, v11
	v_pk_fma_f16 v9, v16, v8, v9
	v_pk_fma_f16 v8, v17, v8, v6
	v_and_b32_e32 v6, 0xffff, v12
	v_lshrrev_b32_e32 v11, 16, v12
	v_pk_fma_f16 v12, v18, v7, v5
	v_pk_fma_f16 v16, v19, v7, v4
	;; [unrolled: 1-line block ×3, first 2 shown]
	v_mul_u32_u24_e32 v17, 0x10001, v6
	ds_load_2addr_b64 v[4:7], v20 offset0:192 offset1:224
	v_pk_fma_f16 v19, v19, v10, v8
	v_and_b32_e32 v8, 0xffff, v13
	v_lshrrev_b32_e32 v10, 16, v13
	v_mul_u32_u24_e32 v18, 0x10001, v11
	s_wait_dscnt 0x1
	v_pk_fma_f16 v12, v0, v17, v12
	v_pk_fma_f16 v13, v1, v17, v16
	v_mul_u32_u24_e32 v16, 0x10001, v8
	v_mul_u32_u24_e32 v17, 0x10001, v10
	v_pk_fma_f16 v0, v0, v18, v9
	v_and_b32_e32 v20, 0xffff, v14
	ds_load_b128 v[8:11], v88 offset:480
	v_pk_fma_f16 v1, v1, v18, v19
	v_pk_fma_f16 v12, v2, v16, v12
	;; [unrolled: 1-line block ×3, first 2 shown]
	v_lshrrev_b32_e32 v0, 16, v14
	v_mul_u32_u24_e32 v14, 0x10001, v20
	v_add_nc_u32_e32 v20, 0x7800, v43
	v_pk_fma_f16 v13, v3, v16, v13
	v_pk_fma_f16 v16, v3, v17, v1
	s_wait_dscnt 0x1
	v_pk_fma_f16 v19, v4, v14, v12
	v_and_b32_e32 v12, 0xffff, v15
	v_lshrrev_b32_e32 v15, 16, v15
	v_mul_u32_u24_e32 v17, 0x10001, v0
	ds_load_2addr_b64 v[0:3], v20 offset1:32
	v_mul_u32_u24_e32 v21, 0x10001, v15
	v_pk_fma_f16 v4, v4, v17, v18
	v_pk_fma_f16 v18, v5, v14, v13
	;; [unrolled: 1-line block ×3, first 2 shown]
	v_mul_u32_u24_e32 v16, 0x10001, v12
	ds_load_b128 v[12:15], v88 offset:496
	s_wait_dscnt 0x2
	v_and_b32_e32 v17, 0xffff, v8
	v_lshrrev_b32_e32 v8, 16, v8
	v_pk_fma_f16 v4, v6, v21, v4
	v_pk_fma_f16 v22, v6, v16, v19
	;; [unrolled: 1-line block ×3, first 2 shown]
	v_mul_u32_u24_e32 v23, 0x10001, v17
	v_and_b32_e32 v24, 0xffff, v9
	ds_load_2addr_b64 v[16:19], v20 offset0:64 offset1:96
	v_pk_fma_f16 v5, v7, v21, v5
	v_lshrrev_b32_e32 v7, 16, v9
	v_mul_u32_u24_e32 v8, 0x10001, v8
	s_wait_dscnt 0x2
	v_pk_fma_f16 v9, v0, v23, v22
	v_pk_fma_f16 v6, v1, v23, v6
	v_mul_u32_u24_e32 v21, 0x10001, v7
	v_pk_fma_f16 v0, v0, v8, v4
	v_mul_u32_u24_e32 v4, 0x10001, v24
	v_pk_fma_f16 v1, v1, v8, v5
	v_and_b32_e32 v5, 0xffff, v10
	s_delay_alu instid0(VALU_DEP_4) | instskip(NEXT) | instid1(VALU_DEP_4)
	v_pk_fma_f16 v0, v2, v21, v0
	v_pk_fma_f16 v8, v2, v4, v9
	v_lshrrev_b32_e32 v9, 16, v10
	v_pk_fma_f16 v2, v3, v4, v6
	v_mul_u32_u24_e32 v10, 0x10001, v5
	ds_load_2addr_b64 v[4:7], v20 offset0:128 offset1:160
	v_pk_fma_f16 v1, v3, v21, v1
	v_and_b32_e32 v3, 0xffff, v11
	v_lshrrev_b32_e32 v11, 16, v11
	v_mul_u32_u24_e32 v9, 0x10001, v9
	s_wait_dscnt 0x1
	v_pk_fma_f16 v8, v16, v10, v8
	v_pk_fma_f16 v2, v17, v10, v2
	v_mul_u32_u24_e32 v3, 0x10001, v3
	v_mul_u32_u24_e32 v10, 0x10001, v11
	v_pk_fma_f16 v0, v16, v9, v0
	v_and_b32_e32 v11, 0xffff, v12
	v_lshrrev_b32_e32 v12, 16, v12
	v_pk_fma_f16 v1, v17, v9, v1
	v_pk_fma_f16 v16, v18, v3, v8
	;; [unrolled: 1-line block ×3, first 2 shown]
	v_mul_u32_u24_e32 v11, 0x10001, v11
	v_and_b32_e32 v18, 0xffff, v13
	v_lshrrev_b32_e32 v13, 16, v13
	v_mul_u32_u24_e32 v12, 0x10001, v12
	v_pk_fma_f16 v17, v19, v3, v2
	v_pk_fma_f16 v10, v19, v10, v1
	s_wait_dscnt 0x0
	v_pk_fma_f16 v16, v4, v11, v16
	v_pk_add_f32 v[8:9], v[82:83], v[84:85]
	v_pk_fma_f16 v4, v4, v12, v0
	ds_load_2addr_b64 v[0:3], v20 offset0:192 offset1:224
	s_wait_dscnt 0x0
	s_barrier_signal -1
	s_barrier_wait -1
	s_load_b32 s12, s[6:7], 0x4
	v_pk_fma_f16 v11, v5, v11, v17
	v_pk_fma_f16 v5, v5, v12, v10
	v_mul_u32_u24_e32 v10, 0x10001, v18
	v_mul_u32_u24_e32 v12, 0x10001, v13
	v_and_b32_e32 v13, 0xffff, v14
	v_lshrrev_b32_e32 v14, 16, v14
	v_pk_fma_f32 v[114:115], v[114:115], v[80:81], v[8:9]
	v_pk_fma_f16 v16, v6, v10, v16
	v_pk_fma_f16 v4, v6, v12, v4
	;; [unrolled: 1-line block ×3, first 2 shown]
	v_mul_u32_u24_e32 v10, 0x10001, v13
	v_mul_u32_u24_e32 v11, 0x10001, v14
	v_and_b32_e32 v13, 0xffff, v15
	v_lshrrev_b32_e32 v14, 16, v15
	v_pk_fma_f16 v5, v7, v12, v5
	v_pk_fma_f16 v7, v0, v10, v16
	;; [unrolled: 1-line block ×3, first 2 shown]
	v_mul_u32_u24_e32 v4, 0x10001, v13
	v_mul_u32_u24_e32 v12, 0x10001, v14
	v_pk_fma_f16 v6, v1, v10, v6
	v_pk_fma_f16 v1, v1, v11, v5
	s_wait_kmcnt 0x0
	s_lshl_b32 s12, s12, 7
	v_pk_fma_f16 v86, v2, v4, v7
	v_pk_fma_f16 v45, v2, v12, v0
	;; [unrolled: 1-line block ×4, first 2 shown]
	s_add_co_i32 s18, s12, s18
	s_delay_alu instid0(SALU_CYCLE_1)
	s_cmp_lt_i32 s18, s3
	s_cbranch_scc0 .LBB88_61
; %bb.58:                               ;   in Loop: Header=BB88_8 Depth=1
	v_dual_mov_b32 v35, v116 :: v_dual_mov_b32 v34, v117
	s_branch .LBB88_8
.LBB88_59:                              ;   in Loop: Header=BB88_8 Depth=1
	v_mov_b32_e32 v36, 0
	v_cmp_ngt_f32_e64 s12, 0x3f200000, |v7|
                                        ; implicit-def: $vgpr3
	s_and_saveexec_b32 s13, s12
	s_delay_alu instid0(SALU_CYCLE_1)
	s_xor_b32 s12, exec_lo, s13
	s_cbranch_execz .LBB88_15
	s_branch .LBB88_14
.LBB88_60:
	v_mov_b64_e32 v[116:117], 0xfefffffffeffffff
	v_dual_mov_b32 v86, 0 :: v_dual_mov_b32 v114, 0
	v_dual_mov_b32 v33, 0 :: v_dual_mov_b32 v45, 0
	v_mov_b32_e32 v32, 0
.LBB88_61:
	s_cmp_gt_i32 s2, s18
	s_cbranch_scc1 .LBB88_64
; %bb.62:
	v_mbcnt_lo_u32_b32 v0, -1, 0
	v_mov_b32_e32 v129, 32
	s_delay_alu instid0(VALU_DEP_2)
	v_xor_b32_e32 v127, 16, v0
	v_xor_b32_e32 v128, 8, v0
	;; [unrolled: 1-line block ×5, first 2 shown]
	s_cbranch_execz .LBB88_65
; %bb.63:
	v_mov_b32_e32 v125, v0
	s_branch .LBB88_137
.LBB88_64:
                                        ; implicit-def: $vgpr0
                                        ; implicit-def: $vgpr129
                                        ; implicit-def: $vgpr127
                                        ; implicit-def: $vgpr128
                                        ; implicit-def: $vgpr130
                                        ; implicit-def: $vgpr131
                                        ; implicit-def: $vgpr132
.LBB88_65:
	v_dual_add_nc_u32 v18, v90, v122 :: v_dual_lshlrev_b32 v1, 20, v125
	s_ashr_i32 s19, s18, 31
	s_ashr_i32 s9, s8, 31
	v_dual_mov_b32 v13, 0 :: v_dual_lshlrev_b32 v12, 2, v44
	s_delay_alu instid0(VALU_DEP_2)
	v_mul_lo_u32 v8, s8, v18
	s_mul_u64 s[6:7], s[18:19], s[8:9]
	v_mov_b32_e32 v0, 0
	s_lshl_b64 s[6:7], s[6:7], 2
	s_sub_co_i32 s20, s2, s18
	s_add_nc_u64 s[10:11], s[4:5], s[6:7]
	v_cmp_gt_i32_e64 s2, s20, v18
	s_mov_b32 s4, 0
	s_lshl_b32 s9, s8, 4
	s_mov_b32 s5, s4
	s_mov_b32 s6, s4
	v_ashrrev_i32_e32 v9, 31, v8
	v_add_nc_u64_e32 v[10:11], src_flat_scratch_base_lo, v[0:1]
	v_dual_mov_b32 v4, s4 :: v_dual_mov_b32 v5, s5
	v_mad_u32_u24 v7, 0x110, v18, v12
	s_delay_alu instid0(VALU_DEP_4)
	v_lshl_add_u64 v[2:3], v[8:9], 2, s[10:11]
	v_add_nc_u32_e32 v24, 0x50, v18
	v_add_nc_u32_e32 v25, 0x60, v18
	;; [unrolled: 1-line block ×4, first 2 shown]
	v_add_nc_u64_e32 v[0:1], v[2:3], v[12:13]
	v_mov_b32_e32 v6, s6
	v_cmp_gt_i32_e64 s7, s20, v24
	v_cmp_gt_i32_e64 s8, s20, v25
	;; [unrolled: 1-line block ×3, first 2 shown]
	v_dual_add_nc_u32 v8, s9, v8 :: v_dual_add_nc_u32 v21, 32, v18
	v_dual_cndmask_b32 v1, v11, v1, s2 :: v_dual_cndmask_b32 v0, v10, v0, s2
	s_clause 0x1
	scratch_store_b32 off, v13, off
	scratch_store_b96 off, v[4:6], off offset:4
	v_ashrrev_i32_e32 v9, 31, v8
	v_cmp_gt_i32_e64 s4, s20, v21
	v_add_nc_u32_e32 v22, 48, v18
	flat_load_b128 v[0:3], v[0:1]
	s_clause 0x1
	scratch_store_b32 off, v13, off
	scratch_store_b96 off, v[4:6], off offset:4
	v_lshl_add_u64 v[14:15], v[8:9], 2, s[10:11]
	v_add_nc_u32_e32 v23, 64, v18
	v_cmp_gt_i32_e64 s5, s20, v22
	s_delay_alu instid0(VALU_DEP_3) | instskip(NEXT) | instid1(VALU_DEP_3)
	v_add_nc_u64_e32 v[14:15], v[14:15], v[12:13]
	v_cmp_gt_i32_e64 s6, s20, v23
	s_delay_alu instid0(VALU_DEP_2) | instskip(SKIP_1) | instid1(VALU_DEP_1)
	v_dual_cndmask_b32 v15, v11, v15, s3 :: v_dual_cndmask_b32 v14, v10, v14, s3
	v_add_nc_u32_e32 v8, s9, v8
	v_ashrrev_i32_e32 v9, 31, v8
	s_wait_loadcnt_dscnt 0x0
	ds_store_b128 v7, v[0:3]
	flat_load_b128 v[0:3], v[14:15]
	s_wait_xcnt 0x0
	v_lshl_add_u64 v[14:15], v[8:9], 2, s[10:11]
	s_clause 0x1
	scratch_store_b32 off, v13, off
	scratch_store_b96 off, v[4:6], off offset:4
	v_add_nc_u32_e32 v8, s9, v8
	v_add_nc_u64_e32 v[14:15], v[14:15], v[12:13]
	s_delay_alu instid0(VALU_DEP_1) | instskip(NEXT) | instid1(VALU_DEP_2)
	v_dual_ashrrev_i32 v9, 31, v8 :: v_dual_cndmask_b32 v15, v11, v15, s4
	v_cndmask_b32_e64 v14, v10, v14, s4
	s_wait_loadcnt_dscnt 0x0
	ds_store_b128 v7, v[0:3] offset:4352
	flat_load_b128 v[0:3], v[14:15]
	s_wait_xcnt 0x0
	v_lshl_add_u64 v[14:15], v[8:9], 2, s[10:11]
	s_clause 0x1
	scratch_store_b32 off, v13, off
	scratch_store_b96 off, v[4:6], off offset:4
	v_add_nc_u32_e32 v8, s9, v8
	v_add_nc_u64_e32 v[14:15], v[14:15], v[12:13]
	s_delay_alu instid0(VALU_DEP_1) | instskip(NEXT) | instid1(VALU_DEP_2)
	v_dual_ashrrev_i32 v9, 31, v8 :: v_dual_cndmask_b32 v15, v11, v15, s5
	v_cndmask_b32_e64 v14, v10, v14, s5
	s_wait_loadcnt_dscnt 0x0
	ds_store_b128 v7, v[0:3] offset:8704
	;; [unrolled: 13-line block ×4, first 2 shown]
	flat_load_b128 v[0:3], v[14:15]
	s_wait_xcnt 0x0
	v_lshl_add_u64 v[14:15], v[8:9], 2, s[10:11]
	s_clause 0x1
	scratch_store_b32 off, v13, off
	scratch_store_b96 off, v[4:6], off offset:4
	v_add_nc_u32_e32 v8, s9, v8
	v_add_nc_u64_e32 v[14:15], v[14:15], v[12:13]
	s_delay_alu instid0(VALU_DEP_1)
	v_dual_cndmask_b32 v15, v11, v15, s8 :: v_dual_cndmask_b32 v14, v10, v14, s8
	s_wait_loadcnt_dscnt 0x0
	ds_store_b128 v7, v[0:3] offset:21760
	flat_load_b128 v[0:3], v[14:15]
	s_clause 0x1
	scratch_store_b32 off, v13, off
	scratch_store_b96 off, v[4:6], off offset:4
	s_wait_xcnt 0x0
	v_mov_b32_e32 v4, v13
	v_cmp_gt_i32_e64 s9, s20, v19
	v_dual_mov_b32 v6, v13 :: v_dual_ashrrev_i32 v9, 31, v8
	v_mov_b32_e32 v5, v13
	s_delay_alu instid0(VALU_DEP_2) | instskip(NEXT) | instid1(VALU_DEP_1)
	v_lshl_add_u64 v[8:9], v[8:9], 2, s[10:11]
	v_add_nc_u64_e32 v[8:9], v[8:9], v[12:13]
	s_delay_alu instid0(VALU_DEP_1) | instskip(NEXT) | instid1(VALU_DEP_2)
	v_dual_cndmask_b32 v9, v11, v9, s9 :: v_dual_mov_b32 v11, v13
	v_cndmask_b32_e64 v8, v10, v8, s9
	s_wait_loadcnt_dscnt 0x0
	ds_store_b128 v7, v[0:3] offset:26112
	flat_load_b128 v[0:3], v[8:9]
	s_wait_loadcnt_dscnt 0x0
	ds_store_b128 v7, v[0:3] offset:30464
	s_wait_storecnt_dscnt 0x0
	s_barrier_signal -1
	s_barrier_wait -1
	ds_load_b128 v[14:17], v89
	ds_load_b128 v[26:29], v126 offset:38912
	ds_load_b128 v[34:37], v126 offset:39168
	;; [unrolled: 1-line block ×3, first 2 shown]
	v_mov_b32_e32 v2, v13
	ds_load_b128 v[50:53], v89 offset:17408
	ds_load_b128 v[54:57], v89 offset:26112
	v_dual_mov_b32 v1, v13 :: v_dual_mov_b32 v3, v13
                                        ; implicit-def: $vgpr0
	s_wait_dscnt 0x4
	;;#ASMSTART
	v_dot2_f32_f16 v2, v14, v26, v2
	;;#ASMEND
	;;#ASMSTART
	v_dot2_f32_f16 v2, v15, v27, v2
	;;#ASMEND
	;;#ASMSTART
	v_dot2_f32_f16 v2, v16, v28, v2
	;;#ASMEND
	;;#ASMSTART
	v_dot2_f32_f16 v2, v17, v29, v2
	;;#ASMEND
	s_wait_dscnt 0x3
	;;#ASMSTART
	v_dot2_f32_f16 v1, v14, v34, v1
	;;#ASMEND
	;;#ASMSTART
	v_dot2_f32_f16 v1, v15, v35, v1
	;;#ASMEND
	;;#ASMSTART
	v_dot2_f32_f16 v1, v16, v36, v1
	;;#ASMEND
	;;#ASMSTART
	v_dot2_f32_f16 v1, v17, v37, v1
	;;#ASMEND
	;; [unrolled: 13-line block ×3, first 2 shown]
	;;#ASMSTART
	v_dot2_f32_f16 v3, v46, v34, v3
	;;#ASMEND
	;;#ASMSTART
	v_dot2_f32_f16 v3, v47, v35, v3
	;;#ASMEND
	;; [unrolled: 3-line block ×4, first 2 shown]
	s_wait_dscnt 0x1
	;;#ASMSTART
	v_dot2_f32_f16 v4, v50, v26, v4
	;;#ASMEND
	;;#ASMSTART
	v_dot2_f32_f16 v4, v51, v27, v4
	;;#ASMEND
	;; [unrolled: 3-line block ×8, first 2 shown]
	s_wait_dscnt 0x0
	;;#ASMSTART
	v_dot2_f32_f16 v6, v54, v26, v6
	;;#ASMEND
	;;#ASMSTART
	v_dot2_f32_f16 v6, v55, v27, v6
	;;#ASMEND
	;; [unrolled: 3-line block ×8, first 2 shown]
	ds_load_b128 v[14:17], v89 offset:16
	ds_load_b128 v[26:29], v126 offset:38928
	;; [unrolled: 1-line block ×6, first 2 shown]
	s_wait_dscnt 0x4
	;;#ASMSTART
	v_dot2_f32_f16 v2, v14, v26, v2
	;;#ASMEND
	;;#ASMSTART
	v_dot2_f32_f16 v2, v15, v27, v2
	;;#ASMEND
	;;#ASMSTART
	v_dot2_f32_f16 v2, v16, v28, v2
	;;#ASMEND
	;;#ASMSTART
	v_dot2_f32_f16 v2, v17, v29, v2
	;;#ASMEND
	s_wait_dscnt 0x3
	;;#ASMSTART
	v_dot2_f32_f16 v1, v14, v34, v1
	;;#ASMEND
	;;#ASMSTART
	v_dot2_f32_f16 v1, v15, v35, v1
	;;#ASMEND
	;;#ASMSTART
	v_dot2_f32_f16 v1, v16, v36, v1
	;;#ASMEND
	;;#ASMSTART
	v_dot2_f32_f16 v1, v17, v37, v1
	;;#ASMEND
	;; [unrolled: 13-line block ×3, first 2 shown]
	;;#ASMSTART
	v_dot2_f32_f16 v3, v46, v34, v3
	;;#ASMEND
	;;#ASMSTART
	v_dot2_f32_f16 v3, v47, v35, v3
	;;#ASMEND
	;; [unrolled: 3-line block ×4, first 2 shown]
	s_wait_dscnt 0x1
	;;#ASMSTART
	v_dot2_f32_f16 v4, v50, v26, v4
	;;#ASMEND
	;;#ASMSTART
	v_dot2_f32_f16 v4, v51, v27, v4
	;;#ASMEND
	;; [unrolled: 3-line block ×8, first 2 shown]
	s_wait_dscnt 0x0
	;;#ASMSTART
	v_dot2_f32_f16 v6, v54, v26, v6
	;;#ASMEND
	;;#ASMSTART
	v_dot2_f32_f16 v6, v55, v27, v6
	;;#ASMEND
	;;#ASMSTART
	v_dot2_f32_f16 v6, v56, v28, v6
	;;#ASMEND
	;;#ASMSTART
	v_dot2_f32_f16 v6, v57, v29, v6
	;;#ASMEND
	;;#ASMSTART
	v_dot2_f32_f16 v13, v54, v34, v13
	;;#ASMEND
	;;#ASMSTART
	v_dot2_f32_f16 v13, v55, v35, v13
	;;#ASMEND
	;;#ASMSTART
	v_dot2_f32_f16 v13, v56, v36, v13
	;;#ASMEND
	;;#ASMSTART
	v_dot2_f32_f16 v13, v57, v37, v13
	;;#ASMEND
	ds_load_b128 v[14:17], v89 offset:32
	ds_load_b128 v[26:29], v126 offset:38944
	;; [unrolled: 1-line block ×6, first 2 shown]
	s_wait_dscnt 0x4
	;;#ASMSTART
	v_dot2_f32_f16 v2, v14, v26, v2
	;;#ASMEND
	;;#ASMSTART
	v_dot2_f32_f16 v2, v15, v27, v2
	;;#ASMEND
	;;#ASMSTART
	v_dot2_f32_f16 v2, v16, v28, v2
	;;#ASMEND
	;;#ASMSTART
	v_dot2_f32_f16 v2, v17, v29, v2
	;;#ASMEND
	s_wait_dscnt 0x3
	;;#ASMSTART
	v_dot2_f32_f16 v1, v14, v34, v1
	;;#ASMEND
	;;#ASMSTART
	v_dot2_f32_f16 v1, v15, v35, v1
	;;#ASMEND
	;;#ASMSTART
	v_dot2_f32_f16 v1, v16, v36, v1
	;;#ASMEND
	;;#ASMSTART
	v_dot2_f32_f16 v1, v17, v37, v1
	;;#ASMEND
	;; [unrolled: 13-line block ×3, first 2 shown]
	;;#ASMSTART
	v_dot2_f32_f16 v3, v46, v34, v3
	;;#ASMEND
	;;#ASMSTART
	v_dot2_f32_f16 v3, v47, v35, v3
	;;#ASMEND
	;; [unrolled: 3-line block ×4, first 2 shown]
	s_wait_dscnt 0x1
	;;#ASMSTART
	v_dot2_f32_f16 v4, v50, v26, v4
	;;#ASMEND
	;;#ASMSTART
	v_dot2_f32_f16 v4, v51, v27, v4
	;;#ASMEND
	;;#ASMSTART
	v_dot2_f32_f16 v4, v52, v28, v4
	;;#ASMEND
	;;#ASMSTART
	v_dot2_f32_f16 v4, v53, v29, v4
	;;#ASMEND
	;;#ASMSTART
	v_dot2_f32_f16 v5, v50, v34, v5
	;;#ASMEND
	;;#ASMSTART
	v_dot2_f32_f16 v5, v51, v35, v5
	;;#ASMEND
	;;#ASMSTART
	v_dot2_f32_f16 v5, v52, v36, v5
	;;#ASMEND
	;;#ASMSTART
	v_dot2_f32_f16 v5, v53, v37, v5
	;;#ASMEND
	s_wait_dscnt 0x0
	;;#ASMSTART
	v_dot2_f32_f16 v6, v54, v26, v6
	;;#ASMEND
	;;#ASMSTART
	v_dot2_f32_f16 v6, v55, v27, v6
	;;#ASMEND
	;; [unrolled: 3-line block ×8, first 2 shown]
	ds_load_b128 v[14:17], v89 offset:48
	ds_load_b128 v[26:29], v126 offset:38960
	;; [unrolled: 1-line block ×6, first 2 shown]
	s_wait_dscnt 0x4
	;;#ASMSTART
	v_dot2_f32_f16 v2, v14, v26, v2
	;;#ASMEND
	;;#ASMSTART
	v_dot2_f32_f16 v2, v15, v27, v2
	;;#ASMEND
	;;#ASMSTART
	v_dot2_f32_f16 v2, v16, v28, v2
	;;#ASMEND
	;;#ASMSTART
	v_dot2_f32_f16 v2, v17, v29, v2
	;;#ASMEND
	s_wait_dscnt 0x3
	;;#ASMSTART
	v_dot2_f32_f16 v1, v14, v34, v1
	;;#ASMEND
	;;#ASMSTART
	v_dot2_f32_f16 v1, v15, v35, v1
	;;#ASMEND
	;;#ASMSTART
	v_dot2_f32_f16 v1, v16, v36, v1
	;;#ASMEND
	;;#ASMSTART
	v_dot2_f32_f16 v1, v17, v37, v1
	;;#ASMEND
	;; [unrolled: 13-line block ×3, first 2 shown]
	;;#ASMSTART
	v_dot2_f32_f16 v3, v46, v34, v3
	;;#ASMEND
	;;#ASMSTART
	v_dot2_f32_f16 v3, v47, v35, v3
	;;#ASMEND
	;; [unrolled: 3-line block ×4, first 2 shown]
	s_wait_dscnt 0x1
	;;#ASMSTART
	v_dot2_f32_f16 v4, v50, v26, v4
	;;#ASMEND
	;;#ASMSTART
	v_dot2_f32_f16 v4, v51, v27, v4
	;;#ASMEND
	;;#ASMSTART
	v_dot2_f32_f16 v4, v52, v28, v4
	;;#ASMEND
	;;#ASMSTART
	v_dot2_f32_f16 v4, v53, v29, v4
	;;#ASMEND
	;;#ASMSTART
	v_dot2_f32_f16 v5, v50, v34, v5
	;;#ASMEND
	;;#ASMSTART
	v_dot2_f32_f16 v5, v51, v35, v5
	;;#ASMEND
	;;#ASMSTART
	v_dot2_f32_f16 v5, v52, v36, v5
	;;#ASMEND
	;;#ASMSTART
	v_dot2_f32_f16 v5, v53, v37, v5
	;;#ASMEND
	s_wait_dscnt 0x0
	;;#ASMSTART
	v_dot2_f32_f16 v6, v54, v26, v6
	;;#ASMEND
	;;#ASMSTART
	v_dot2_f32_f16 v6, v55, v27, v6
	;;#ASMEND
	;; [unrolled: 3-line block ×8, first 2 shown]
	ds_load_b128 v[14:17], v89 offset:64
	ds_load_b128 v[26:29], v126 offset:38976
	;; [unrolled: 1-line block ×6, first 2 shown]
	s_wait_dscnt 0x4
	;;#ASMSTART
	v_dot2_f32_f16 v2, v14, v26, v2
	;;#ASMEND
	;;#ASMSTART
	v_dot2_f32_f16 v2, v15, v27, v2
	;;#ASMEND
	;;#ASMSTART
	v_dot2_f32_f16 v2, v16, v28, v2
	;;#ASMEND
	;;#ASMSTART
	v_dot2_f32_f16 v2, v17, v29, v2
	;;#ASMEND
	s_wait_dscnt 0x3
	;;#ASMSTART
	v_dot2_f32_f16 v1, v14, v34, v1
	;;#ASMEND
	;;#ASMSTART
	v_dot2_f32_f16 v1, v15, v35, v1
	;;#ASMEND
	;;#ASMSTART
	v_dot2_f32_f16 v1, v16, v36, v1
	;;#ASMEND
	;;#ASMSTART
	v_dot2_f32_f16 v1, v17, v37, v1
	;;#ASMEND
	s_wait_dscnt 0x2
	;;#ASMSTART
	v_dot2_f32_f16 v11, v46, v26, v11
	;;#ASMEND
	;;#ASMSTART
	v_dot2_f32_f16 v11, v47, v27, v11
	;;#ASMEND
	;;#ASMSTART
	v_dot2_f32_f16 v11, v48, v28, v11
	;;#ASMEND
	;;#ASMSTART
	v_dot2_f32_f16 v11, v49, v29, v11
	;;#ASMEND
	;;#ASMSTART
	v_dot2_f32_f16 v3, v46, v34, v3
	;;#ASMEND
	;;#ASMSTART
	v_dot2_f32_f16 v3, v47, v35, v3
	;;#ASMEND
	;; [unrolled: 3-line block ×4, first 2 shown]
	s_wait_dscnt 0x1
	;;#ASMSTART
	v_dot2_f32_f16 v4, v50, v26, v4
	;;#ASMEND
	;;#ASMSTART
	v_dot2_f32_f16 v4, v51, v27, v4
	;;#ASMEND
	;;#ASMSTART
	v_dot2_f32_f16 v4, v52, v28, v4
	;;#ASMEND
	;;#ASMSTART
	v_dot2_f32_f16 v4, v53, v29, v4
	;;#ASMEND
	;;#ASMSTART
	v_dot2_f32_f16 v5, v50, v34, v5
	;;#ASMEND
	;;#ASMSTART
	v_dot2_f32_f16 v5, v51, v35, v5
	;;#ASMEND
	;;#ASMSTART
	v_dot2_f32_f16 v5, v52, v36, v5
	;;#ASMEND
	;;#ASMSTART
	v_dot2_f32_f16 v5, v53, v37, v5
	;;#ASMEND
	s_wait_dscnt 0x0
	;;#ASMSTART
	v_dot2_f32_f16 v6, v54, v26, v6
	;;#ASMEND
	;;#ASMSTART
	v_dot2_f32_f16 v6, v55, v27, v6
	;;#ASMEND
	;; [unrolled: 3-line block ×8, first 2 shown]
	ds_load_b128 v[14:17], v89 offset:80
	ds_load_b128 v[26:29], v126 offset:38992
	ds_load_b128 v[34:37], v126 offset:39248
	ds_load_b128 v[46:49], v89 offset:8784
	ds_load_b128 v[50:53], v89 offset:17488
	ds_load_b128 v[54:57], v89 offset:26192
	s_wait_dscnt 0x4
	;;#ASMSTART
	v_dot2_f32_f16 v2, v14, v26, v2
	;;#ASMEND
	;;#ASMSTART
	v_dot2_f32_f16 v2, v15, v27, v2
	;;#ASMEND
	;;#ASMSTART
	v_dot2_f32_f16 v2, v16, v28, v2
	;;#ASMEND
	;;#ASMSTART
	v_dot2_f32_f16 v2, v17, v29, v2
	;;#ASMEND
	s_wait_dscnt 0x3
	;;#ASMSTART
	v_dot2_f32_f16 v1, v14, v34, v1
	;;#ASMEND
	;;#ASMSTART
	v_dot2_f32_f16 v1, v15, v35, v1
	;;#ASMEND
	;;#ASMSTART
	v_dot2_f32_f16 v1, v16, v36, v1
	;;#ASMEND
	;;#ASMSTART
	v_dot2_f32_f16 v1, v17, v37, v1
	;;#ASMEND
	s_wait_dscnt 0x2
	;;#ASMSTART
	v_dot2_f32_f16 v11, v46, v26, v11
	;;#ASMEND
	;;#ASMSTART
	v_dot2_f32_f16 v11, v47, v27, v11
	;;#ASMEND
	;;#ASMSTART
	v_dot2_f32_f16 v11, v48, v28, v11
	;;#ASMEND
	;;#ASMSTART
	v_dot2_f32_f16 v11, v49, v29, v11
	;;#ASMEND
	;;#ASMSTART
	v_dot2_f32_f16 v3, v46, v34, v3
	;;#ASMEND
	;;#ASMSTART
	v_dot2_f32_f16 v3, v47, v35, v3
	;;#ASMEND
	;; [unrolled: 3-line block ×4, first 2 shown]
	s_wait_dscnt 0x1
	;;#ASMSTART
	v_dot2_f32_f16 v4, v50, v26, v4
	;;#ASMEND
	;;#ASMSTART
	v_dot2_f32_f16 v4, v51, v27, v4
	;;#ASMEND
	;; [unrolled: 3-line block ×8, first 2 shown]
	s_wait_dscnt 0x0
	;;#ASMSTART
	v_dot2_f32_f16 v6, v54, v26, v6
	;;#ASMEND
	;;#ASMSTART
	v_dot2_f32_f16 v6, v55, v27, v6
	;;#ASMEND
	;; [unrolled: 3-line block ×8, first 2 shown]
	ds_load_b128 v[14:17], v89 offset:96
	ds_load_b128 v[26:29], v126 offset:39008
	;; [unrolled: 1-line block ×6, first 2 shown]
	s_wait_dscnt 0x4
	;;#ASMSTART
	v_dot2_f32_f16 v2, v14, v26, v2
	;;#ASMEND
	;;#ASMSTART
	v_dot2_f32_f16 v2, v15, v27, v2
	;;#ASMEND
	;;#ASMSTART
	v_dot2_f32_f16 v2, v16, v28, v2
	;;#ASMEND
	;;#ASMSTART
	v_dot2_f32_f16 v2, v17, v29, v2
	;;#ASMEND
	s_wait_dscnt 0x3
	;;#ASMSTART
	v_dot2_f32_f16 v1, v14, v34, v1
	;;#ASMEND
	;;#ASMSTART
	v_dot2_f32_f16 v1, v15, v35, v1
	;;#ASMEND
	;;#ASMSTART
	v_dot2_f32_f16 v1, v16, v36, v1
	;;#ASMEND
	;;#ASMSTART
	v_dot2_f32_f16 v1, v17, v37, v1
	;;#ASMEND
	s_wait_dscnt 0x2
	;;#ASMSTART
	v_dot2_f32_f16 v11, v46, v26, v11
	;;#ASMEND
	;;#ASMSTART
	v_dot2_f32_f16 v11, v47, v27, v11
	;;#ASMEND
	;;#ASMSTART
	v_dot2_f32_f16 v11, v48, v28, v11
	;;#ASMEND
	;;#ASMSTART
	v_dot2_f32_f16 v11, v49, v29, v11
	;;#ASMEND
	;;#ASMSTART
	v_dot2_f32_f16 v3, v46, v34, v3
	;;#ASMEND
	;;#ASMSTART
	v_dot2_f32_f16 v3, v47, v35, v3
	;;#ASMEND
	;; [unrolled: 3-line block ×4, first 2 shown]
	s_wait_dscnt 0x1
	;;#ASMSTART
	v_dot2_f32_f16 v4, v50, v26, v4
	;;#ASMEND
	;;#ASMSTART
	v_dot2_f32_f16 v4, v51, v27, v4
	;;#ASMEND
	;; [unrolled: 3-line block ×8, first 2 shown]
	s_wait_dscnt 0x0
	;;#ASMSTART
	v_dot2_f32_f16 v6, v54, v26, v6
	;;#ASMEND
	;;#ASMSTART
	v_dot2_f32_f16 v6, v55, v27, v6
	;;#ASMEND
	;; [unrolled: 3-line block ×8, first 2 shown]
	ds_load_b128 v[14:17], v89 offset:112
	ds_load_b128 v[26:29], v126 offset:39024
	;; [unrolled: 1-line block ×6, first 2 shown]
	s_wait_dscnt 0x4
	;;#ASMSTART
	v_dot2_f32_f16 v2, v14, v26, v2
	;;#ASMEND
	;;#ASMSTART
	v_dot2_f32_f16 v2, v15, v27, v2
	;;#ASMEND
	;;#ASMSTART
	v_dot2_f32_f16 v2, v16, v28, v2
	;;#ASMEND
	;;#ASMSTART
	v_dot2_f32_f16 v2, v17, v29, v2
	;;#ASMEND
	s_wait_dscnt 0x3
	;;#ASMSTART
	v_dot2_f32_f16 v1, v14, v34, v1
	;;#ASMEND
	;;#ASMSTART
	v_dot2_f32_f16 v1, v15, v35, v1
	;;#ASMEND
	;;#ASMSTART
	v_dot2_f32_f16 v1, v16, v36, v1
	;;#ASMEND
	;;#ASMSTART
	v_dot2_f32_f16 v1, v17, v37, v1
	;;#ASMEND
	;; [unrolled: 13-line block ×3, first 2 shown]
	;;#ASMSTART
	v_dot2_f32_f16 v3, v46, v34, v3
	;;#ASMEND
	;;#ASMSTART
	v_dot2_f32_f16 v3, v47, v35, v3
	;;#ASMEND
	;; [unrolled: 3-line block ×4, first 2 shown]
	s_wait_dscnt 0x1
	;;#ASMSTART
	v_dot2_f32_f16 v4, v50, v26, v4
	;;#ASMEND
	;;#ASMSTART
	v_dot2_f32_f16 v4, v51, v27, v4
	;;#ASMEND
	;; [unrolled: 3-line block ×8, first 2 shown]
	s_wait_dscnt 0x0
	;;#ASMSTART
	v_dot2_f32_f16 v6, v54, v26, v6
	;;#ASMEND
	;;#ASMSTART
	v_dot2_f32_f16 v6, v55, v27, v6
	;;#ASMEND
	;; [unrolled: 3-line block ×8, first 2 shown]
	ds_load_b128 v[14:17], v89 offset:128
	ds_load_b128 v[26:29], v126 offset:39040
	;; [unrolled: 1-line block ×6, first 2 shown]
	s_wait_dscnt 0x4
	;;#ASMSTART
	v_dot2_f32_f16 v2, v14, v26, v2
	;;#ASMEND
	;;#ASMSTART
	v_dot2_f32_f16 v2, v15, v27, v2
	;;#ASMEND
	;;#ASMSTART
	v_dot2_f32_f16 v2, v16, v28, v2
	;;#ASMEND
	;;#ASMSTART
	v_dot2_f32_f16 v2, v17, v29, v2
	;;#ASMEND
	s_wait_dscnt 0x3
	;;#ASMSTART
	v_dot2_f32_f16 v1, v14, v34, v1
	;;#ASMEND
	;;#ASMSTART
	v_dot2_f32_f16 v1, v15, v35, v1
	;;#ASMEND
	;;#ASMSTART
	v_dot2_f32_f16 v1, v16, v36, v1
	;;#ASMEND
	;;#ASMSTART
	v_dot2_f32_f16 v1, v17, v37, v1
	;;#ASMEND
	;; [unrolled: 13-line block ×3, first 2 shown]
	;;#ASMSTART
	v_dot2_f32_f16 v3, v46, v34, v3
	;;#ASMEND
	;;#ASMSTART
	v_dot2_f32_f16 v3, v47, v35, v3
	;;#ASMEND
	;; [unrolled: 3-line block ×4, first 2 shown]
	s_wait_dscnt 0x1
	;;#ASMSTART
	v_dot2_f32_f16 v4, v50, v26, v4
	;;#ASMEND
	;;#ASMSTART
	v_dot2_f32_f16 v4, v51, v27, v4
	;;#ASMEND
	;; [unrolled: 3-line block ×8, first 2 shown]
	s_wait_dscnt 0x0
	;;#ASMSTART
	v_dot2_f32_f16 v6, v54, v26, v6
	;;#ASMEND
	;;#ASMSTART
	v_dot2_f32_f16 v6, v55, v27, v6
	;;#ASMEND
	;; [unrolled: 3-line block ×8, first 2 shown]
	ds_load_b128 v[14:17], v89 offset:144
	ds_load_b128 v[26:29], v126 offset:39056
	;; [unrolled: 1-line block ×6, first 2 shown]
	s_wait_dscnt 0x4
	;;#ASMSTART
	v_dot2_f32_f16 v2, v14, v26, v2
	;;#ASMEND
	;;#ASMSTART
	v_dot2_f32_f16 v2, v15, v27, v2
	;;#ASMEND
	;;#ASMSTART
	v_dot2_f32_f16 v2, v16, v28, v2
	;;#ASMEND
	;;#ASMSTART
	v_dot2_f32_f16 v2, v17, v29, v2
	;;#ASMEND
	s_wait_dscnt 0x3
	;;#ASMSTART
	v_dot2_f32_f16 v1, v14, v34, v1
	;;#ASMEND
	;;#ASMSTART
	v_dot2_f32_f16 v1, v15, v35, v1
	;;#ASMEND
	;;#ASMSTART
	v_dot2_f32_f16 v1, v16, v36, v1
	;;#ASMEND
	;;#ASMSTART
	v_dot2_f32_f16 v1, v17, v37, v1
	;;#ASMEND
	;; [unrolled: 13-line block ×3, first 2 shown]
	;;#ASMSTART
	v_dot2_f32_f16 v3, v46, v34, v3
	;;#ASMEND
	;;#ASMSTART
	v_dot2_f32_f16 v3, v47, v35, v3
	;;#ASMEND
	;; [unrolled: 3-line block ×4, first 2 shown]
	s_wait_dscnt 0x1
	;;#ASMSTART
	v_dot2_f32_f16 v4, v50, v26, v4
	;;#ASMEND
	;;#ASMSTART
	v_dot2_f32_f16 v4, v51, v27, v4
	;;#ASMEND
	;; [unrolled: 3-line block ×8, first 2 shown]
	s_wait_dscnt 0x0
	;;#ASMSTART
	v_dot2_f32_f16 v6, v54, v26, v6
	;;#ASMEND
	;;#ASMSTART
	v_dot2_f32_f16 v6, v55, v27, v6
	;;#ASMEND
	;; [unrolled: 3-line block ×8, first 2 shown]
	ds_load_b128 v[14:17], v89 offset:160
	ds_load_b128 v[26:29], v126 offset:39072
	ds_load_b128 v[34:37], v126 offset:39328
	ds_load_b128 v[46:49], v89 offset:8864
	ds_load_b128 v[50:53], v89 offset:17568
	ds_load_b128 v[54:57], v89 offset:26272
	s_wait_dscnt 0x4
	;;#ASMSTART
	v_dot2_f32_f16 v2, v14, v26, v2
	;;#ASMEND
	;;#ASMSTART
	v_dot2_f32_f16 v2, v15, v27, v2
	;;#ASMEND
	;;#ASMSTART
	v_dot2_f32_f16 v2, v16, v28, v2
	;;#ASMEND
	;;#ASMSTART
	v_dot2_f32_f16 v2, v17, v29, v2
	;;#ASMEND
	s_wait_dscnt 0x3
	;;#ASMSTART
	v_dot2_f32_f16 v1, v14, v34, v1
	;;#ASMEND
	;;#ASMSTART
	v_dot2_f32_f16 v1, v15, v35, v1
	;;#ASMEND
	;;#ASMSTART
	v_dot2_f32_f16 v1, v16, v36, v1
	;;#ASMEND
	;;#ASMSTART
	v_dot2_f32_f16 v1, v17, v37, v1
	;;#ASMEND
	s_wait_dscnt 0x2
	;;#ASMSTART
	v_dot2_f32_f16 v11, v46, v26, v11
	;;#ASMEND
	;;#ASMSTART
	v_dot2_f32_f16 v11, v47, v27, v11
	;;#ASMEND
	;;#ASMSTART
	v_dot2_f32_f16 v11, v48, v28, v11
	;;#ASMEND
	;;#ASMSTART
	v_dot2_f32_f16 v11, v49, v29, v11
	;;#ASMEND
	;;#ASMSTART
	v_dot2_f32_f16 v3, v46, v34, v3
	;;#ASMEND
	;;#ASMSTART
	v_dot2_f32_f16 v3, v47, v35, v3
	;;#ASMEND
	;; [unrolled: 3-line block ×4, first 2 shown]
	s_wait_dscnt 0x1
	;;#ASMSTART
	v_dot2_f32_f16 v4, v50, v26, v4
	;;#ASMEND
	;;#ASMSTART
	v_dot2_f32_f16 v4, v51, v27, v4
	;;#ASMEND
	;; [unrolled: 3-line block ×8, first 2 shown]
	s_wait_dscnt 0x0
	;;#ASMSTART
	v_dot2_f32_f16 v6, v54, v26, v6
	;;#ASMEND
	;;#ASMSTART
	v_dot2_f32_f16 v6, v55, v27, v6
	;;#ASMEND
	;; [unrolled: 3-line block ×8, first 2 shown]
	ds_load_b128 v[14:17], v89 offset:176
	ds_load_b128 v[26:29], v126 offset:39088
	ds_load_b128 v[34:37], v126 offset:39344
	ds_load_b128 v[46:49], v89 offset:8880
	ds_load_b128 v[50:53], v89 offset:17584
	ds_load_b128 v[54:57], v89 offset:26288
	s_wait_dscnt 0x4
	;;#ASMSTART
	v_dot2_f32_f16 v2, v14, v26, v2
	;;#ASMEND
	;;#ASMSTART
	v_dot2_f32_f16 v2, v15, v27, v2
	;;#ASMEND
	;;#ASMSTART
	v_dot2_f32_f16 v2, v16, v28, v2
	;;#ASMEND
	;;#ASMSTART
	v_dot2_f32_f16 v2, v17, v29, v2
	;;#ASMEND
	s_wait_dscnt 0x3
	;;#ASMSTART
	v_dot2_f32_f16 v1, v14, v34, v1
	;;#ASMEND
	;;#ASMSTART
	v_dot2_f32_f16 v1, v15, v35, v1
	;;#ASMEND
	;;#ASMSTART
	v_dot2_f32_f16 v1, v16, v36, v1
	;;#ASMEND
	;;#ASMSTART
	v_dot2_f32_f16 v1, v17, v37, v1
	;;#ASMEND
	;; [unrolled: 13-line block ×3, first 2 shown]
	;;#ASMSTART
	v_dot2_f32_f16 v3, v46, v34, v3
	;;#ASMEND
	;;#ASMSTART
	v_dot2_f32_f16 v3, v47, v35, v3
	;;#ASMEND
	;; [unrolled: 3-line block ×4, first 2 shown]
	s_wait_dscnt 0x1
	;;#ASMSTART
	v_dot2_f32_f16 v4, v50, v26, v4
	;;#ASMEND
	;;#ASMSTART
	v_dot2_f32_f16 v4, v51, v27, v4
	;;#ASMEND
	;; [unrolled: 3-line block ×8, first 2 shown]
	s_wait_dscnt 0x0
	;;#ASMSTART
	v_dot2_f32_f16 v6, v54, v26, v6
	;;#ASMEND
	;;#ASMSTART
	v_dot2_f32_f16 v6, v55, v27, v6
	;;#ASMEND
	;;#ASMSTART
	v_dot2_f32_f16 v6, v56, v28, v6
	;;#ASMEND
	;;#ASMSTART
	v_dot2_f32_f16 v6, v57, v29, v6
	;;#ASMEND
	;;#ASMSTART
	v_dot2_f32_f16 v13, v54, v34, v13
	;;#ASMEND
	;;#ASMSTART
	v_dot2_f32_f16 v13, v55, v35, v13
	;;#ASMEND
	;;#ASMSTART
	v_dot2_f32_f16 v13, v56, v36, v13
	;;#ASMEND
	;;#ASMSTART
	v_dot2_f32_f16 v13, v57, v37, v13
	;;#ASMEND
	ds_load_b128 v[14:17], v89 offset:192
	ds_load_b128 v[26:29], v126 offset:39104
	;; [unrolled: 1-line block ×6, first 2 shown]
	s_wait_dscnt 0x4
	;;#ASMSTART
	v_dot2_f32_f16 v2, v14, v26, v2
	;;#ASMEND
	;;#ASMSTART
	v_dot2_f32_f16 v2, v15, v27, v2
	;;#ASMEND
	;;#ASMSTART
	v_dot2_f32_f16 v2, v16, v28, v2
	;;#ASMEND
	;;#ASMSTART
	v_dot2_f32_f16 v2, v17, v29, v2
	;;#ASMEND
	s_wait_dscnt 0x3
	;;#ASMSTART
	v_dot2_f32_f16 v1, v14, v34, v1
	;;#ASMEND
	;;#ASMSTART
	v_dot2_f32_f16 v1, v15, v35, v1
	;;#ASMEND
	;;#ASMSTART
	v_dot2_f32_f16 v1, v16, v36, v1
	;;#ASMEND
	;;#ASMSTART
	v_dot2_f32_f16 v1, v17, v37, v1
	;;#ASMEND
	;; [unrolled: 13-line block ×3, first 2 shown]
	;;#ASMSTART
	v_dot2_f32_f16 v3, v46, v34, v3
	;;#ASMEND
	;;#ASMSTART
	v_dot2_f32_f16 v3, v47, v35, v3
	;;#ASMEND
	;; [unrolled: 3-line block ×4, first 2 shown]
	s_wait_dscnt 0x1
	;;#ASMSTART
	v_dot2_f32_f16 v4, v50, v26, v4
	;;#ASMEND
	;;#ASMSTART
	v_dot2_f32_f16 v4, v51, v27, v4
	;;#ASMEND
	;; [unrolled: 3-line block ×8, first 2 shown]
	s_wait_dscnt 0x0
	;;#ASMSTART
	v_dot2_f32_f16 v6, v54, v26, v6
	;;#ASMEND
	;;#ASMSTART
	v_dot2_f32_f16 v6, v55, v27, v6
	;;#ASMEND
	;;#ASMSTART
	v_dot2_f32_f16 v6, v56, v28, v6
	;;#ASMEND
	;;#ASMSTART
	v_dot2_f32_f16 v6, v57, v29, v6
	;;#ASMEND
	;;#ASMSTART
	v_dot2_f32_f16 v13, v54, v34, v13
	;;#ASMEND
	;;#ASMSTART
	v_dot2_f32_f16 v13, v55, v35, v13
	;;#ASMEND
	;;#ASMSTART
	v_dot2_f32_f16 v13, v56, v36, v13
	;;#ASMEND
	;;#ASMSTART
	v_dot2_f32_f16 v13, v57, v37, v13
	;;#ASMEND
	ds_load_b128 v[14:17], v89 offset:208
	ds_load_b128 v[26:29], v126 offset:39120
	;; [unrolled: 1-line block ×6, first 2 shown]
	s_wait_dscnt 0x4
	;;#ASMSTART
	v_dot2_f32_f16 v2, v14, v26, v2
	;;#ASMEND
	;;#ASMSTART
	v_dot2_f32_f16 v2, v15, v27, v2
	;;#ASMEND
	;;#ASMSTART
	v_dot2_f32_f16 v2, v16, v28, v2
	;;#ASMEND
	;;#ASMSTART
	v_dot2_f32_f16 v2, v17, v29, v2
	;;#ASMEND
	s_wait_dscnt 0x3
	;;#ASMSTART
	v_dot2_f32_f16 v1, v14, v34, v1
	;;#ASMEND
	;;#ASMSTART
	v_dot2_f32_f16 v1, v15, v35, v1
	;;#ASMEND
	;;#ASMSTART
	v_dot2_f32_f16 v1, v16, v36, v1
	;;#ASMEND
	;;#ASMSTART
	v_dot2_f32_f16 v1, v17, v37, v1
	;;#ASMEND
	;; [unrolled: 13-line block ×3, first 2 shown]
	;;#ASMSTART
	v_dot2_f32_f16 v3, v46, v34, v3
	;;#ASMEND
	;;#ASMSTART
	v_dot2_f32_f16 v3, v47, v35, v3
	;;#ASMEND
	;; [unrolled: 3-line block ×4, first 2 shown]
	s_wait_dscnt 0x1
	;;#ASMSTART
	v_dot2_f32_f16 v4, v50, v26, v4
	;;#ASMEND
	;;#ASMSTART
	v_dot2_f32_f16 v4, v51, v27, v4
	;;#ASMEND
	;; [unrolled: 3-line block ×8, first 2 shown]
	s_wait_dscnt 0x0
	;;#ASMSTART
	v_dot2_f32_f16 v6, v54, v26, v6
	;;#ASMEND
	;;#ASMSTART
	v_dot2_f32_f16 v6, v55, v27, v6
	;;#ASMEND
	;; [unrolled: 3-line block ×8, first 2 shown]
	ds_load_b128 v[14:17], v89 offset:224
	ds_load_b128 v[26:29], v126 offset:39136
	;; [unrolled: 1-line block ×6, first 2 shown]
	s_wait_dscnt 0x4
	;;#ASMSTART
	v_dot2_f32_f16 v2, v14, v26, v2
	;;#ASMEND
	;;#ASMSTART
	v_dot2_f32_f16 v2, v15, v27, v2
	;;#ASMEND
	;;#ASMSTART
	v_dot2_f32_f16 v2, v16, v28, v2
	;;#ASMEND
	;;#ASMSTART
	v_dot2_f32_f16 v2, v17, v29, v2
	;;#ASMEND
	s_wait_dscnt 0x3
	;;#ASMSTART
	v_dot2_f32_f16 v1, v14, v34, v1
	;;#ASMEND
	;;#ASMSTART
	v_dot2_f32_f16 v1, v15, v35, v1
	;;#ASMEND
	;;#ASMSTART
	v_dot2_f32_f16 v1, v16, v36, v1
	;;#ASMEND
	;;#ASMSTART
	v_dot2_f32_f16 v1, v17, v37, v1
	;;#ASMEND
	;; [unrolled: 13-line block ×3, first 2 shown]
	;;#ASMSTART
	v_dot2_f32_f16 v3, v46, v34, v3
	;;#ASMEND
	;;#ASMSTART
	v_dot2_f32_f16 v3, v47, v35, v3
	;;#ASMEND
	;; [unrolled: 3-line block ×4, first 2 shown]
	s_wait_dscnt 0x1
	;;#ASMSTART
	v_dot2_f32_f16 v4, v50, v26, v4
	;;#ASMEND
	;;#ASMSTART
	v_dot2_f32_f16 v4, v51, v27, v4
	;;#ASMEND
	;; [unrolled: 3-line block ×8, first 2 shown]
	s_wait_dscnt 0x0
	;;#ASMSTART
	v_dot2_f32_f16 v6, v54, v26, v6
	;;#ASMEND
	;;#ASMSTART
	v_dot2_f32_f16 v6, v55, v27, v6
	;;#ASMEND
	;; [unrolled: 3-line block ×8, first 2 shown]
	ds_load_b128 v[14:17], v89 offset:240
	ds_load_b128 v[26:29], v126 offset:39152
	;; [unrolled: 1-line block ×6, first 2 shown]
	s_wait_dscnt 0x4
	;;#ASMSTART
	v_dot2_f32_f16 v2, v14, v26, v2
	;;#ASMEND
	;;#ASMSTART
	v_dot2_f32_f16 v2, v15, v27, v2
	;;#ASMEND
	;;#ASMSTART
	v_dot2_f32_f16 v2, v16, v28, v2
	;;#ASMEND
	;;#ASMSTART
	v_dot2_f32_f16 v2, v17, v29, v2
	;;#ASMEND
	s_wait_dscnt 0x3
	;;#ASMSTART
	v_dot2_f32_f16 v1, v14, v34, v1
	;;#ASMEND
	;;#ASMSTART
	v_dot2_f32_f16 v1, v15, v35, v1
	;;#ASMEND
	;;#ASMSTART
	v_dot2_f32_f16 v1, v16, v36, v1
	;;#ASMEND
	;;#ASMSTART
	v_dot2_f32_f16 v1, v17, v37, v1
	;;#ASMEND
	s_wait_dscnt 0x2
	;;#ASMSTART
	v_dot2_f32_f16 v11, v46, v26, v11
	;;#ASMEND
	;;#ASMSTART
	v_dot2_f32_f16 v11, v47, v27, v11
	;;#ASMEND
	;;#ASMSTART
	v_dot2_f32_f16 v11, v48, v28, v11
	;;#ASMEND
	;;#ASMSTART
	v_dot2_f32_f16 v11, v49, v29, v11
	;;#ASMEND
	;;#ASMSTART
	v_dot2_f32_f16 v3, v46, v34, v3
	;;#ASMEND
	;;#ASMSTART
	v_dot2_f32_f16 v3, v47, v35, v3
	;;#ASMEND
	;; [unrolled: 3-line block ×4, first 2 shown]
	s_wait_dscnt 0x1
	;;#ASMSTART
	v_dot2_f32_f16 v4, v50, v26, v4
	;;#ASMEND
	;;#ASMSTART
	v_dot2_f32_f16 v4, v51, v27, v4
	;;#ASMEND
	;; [unrolled: 3-line block ×8, first 2 shown]
	s_wait_dscnt 0x0
	;;#ASMSTART
	v_dot2_f32_f16 v6, v54, v26, v6
	;;#ASMEND
	;;#ASMSTART
	v_dot2_f32_f16 v6, v55, v27, v6
	;;#ASMEND
	v_cmp_ngt_f32_e64 s10, 0x3f200000, |v2|
	;;#ASMSTART
	v_dot2_f32_f16 v6, v56, v28, v6
	;;#ASMEND
	;;#ASMSTART
	v_dot2_f32_f16 v6, v57, v29, v6
	;;#ASMEND
	;; [unrolled: 3-line block ×5, first 2 shown]
	v_mov_b32_e32 v7, v13
	;;#ASMSTART
	v_dot2_f32_f16 v7, v57, v37, v7
	;;#ASMEND
	s_wait_xcnt 0x0
	s_and_saveexec_b32 s11, s10
	s_delay_alu instid0(SALU_CYCLE_1)
	s_xor_b32 s10, exec_lo, s11
	s_cbranch_execz .LBB88_67
; %bb.66:
	v_add_f32_e64 v0, |v2|, |v2|
	s_delay_alu instid0(VALU_DEP_1) | instskip(SKIP_1) | instid1(VALU_DEP_2)
	v_mul_f32_e32 v8, 0x3fb8aa3b, v0
	v_cmp_ngt_f32_e32 vcc_lo, 0xc2ce8ed0, v0
	v_rndne_f32_e32 v9, v8
	v_fma_f32 v10, 0x3fb8aa3b, v0, -v8
	s_delay_alu instid0(VALU_DEP_2) | instskip(NEXT) | instid1(VALU_DEP_2)
	v_sub_f32_e32 v8, v8, v9
	v_fmamk_f32 v10, v0, 0x32a5705f, v10
	v_cvt_i32_f32_e32 v9, v9
	s_delay_alu instid0(VALU_DEP_2) | instskip(NEXT) | instid1(VALU_DEP_1)
	v_add_f32_e32 v8, v8, v10
	v_exp_f32_e32 v8, v8
	v_nop
	s_delay_alu instid0(TRANS32_DEP_1) | instskip(NEXT) | instid1(VALU_DEP_1)
	v_ldexp_f32 v8, v8, v9
	v_cndmask_b32_e32 v8, 0, v8, vcc_lo
	v_cmp_nlt_f32_e32 vcc_lo, 0x42b17218, v0
	s_delay_alu instid0(VALU_DEP_2) | instskip(NEXT) | instid1(VALU_DEP_1)
	v_cndmask_b32_e32 v0, 0x7f800000, v8, vcc_lo
	v_add_f32_e32 v0, 1.0, v0
	s_delay_alu instid0(VALU_DEP_1) | instskip(SKIP_1) | instid1(TRANS32_DEP_1)
	v_rcp_f32_e32 v0, v0
	v_nop
	v_fma_f32 v0, v0, -2.0, 1.0
.LBB88_67:
	s_and_not1_saveexec_b32 s10, s10
	s_cbranch_execz .LBB88_69
; %bb.68:
	v_mul_f32_e32 v0, v2, v2
	s_mov_b32 s11, 0xbbbac73d
	s_delay_alu instid0(VALU_DEP_1) | instid1(SALU_CYCLE_1)
	v_fmaak_f32 v8, s11, v0, 0x3ca908c9
	s_delay_alu instid0(VALU_DEP_1) | instskip(NEXT) | instid1(VALU_DEP_1)
	v_fmaak_f32 v8, v0, v8, 0xbd5c1c4e
	v_fmaak_f32 v8, v0, v8, 0x3e088382
	s_delay_alu instid0(VALU_DEP_1) | instskip(NEXT) | instid1(VALU_DEP_1)
	v_fmaak_f32 v8, v0, v8, 0xbeaaaa99
	v_mul_f32_e64 v8, |v2|, v8
	s_delay_alu instid0(VALU_DEP_1)
	v_fma_f32 v0, v0, v8, |v2|
.LBB88_69:
	s_or_b32 exec_lo, exec_lo, s10
	v_mad_u32 v10, v42, s36, s18
	s_delay_alu instid0(VALU_DEP_2)
	v_bfi_b32 v0, 0x7fffffff, v0, v2
	s_cmp_lg_u64 s[14:15], 0
	v_mov_b64_e32 v[8:9], v[116:117]
	s_cselect_b32 s12, -1, 0
	v_cmp_gt_i32_e64 s10, s20, v112
	v_mul_f32_e32 v0, s41, v0
	v_cndmask_b32_e64 v13, 0, 1, s12
	s_and_saveexec_b32 s11, s10
	s_cbranch_execz .LBB88_74
; %bb.70:
	s_and_not1_b32 vcc_lo, exec_lo, s12
	s_cbranch_vccnz .LBB88_72
; %bb.71:
	v_add_nc_u32_e32 v2, v10, v112
	global_load_u16 v2, v2, s[14:15] scale_offset
	s_wait_loadcnt 0x0
	v_cvt_f32_f16_e32 v2, v2
	s_delay_alu instid0(VALU_DEP_1)
	v_mul_f32_e32 v2, v87, v2
	s_branch .LBB88_73
.LBB88_72:
	v_mov_b32_e32 v2, 0
.LBB88_73:
	s_delay_alu instid0(VALU_DEP_1) | instskip(SKIP_1) | instid1(VALU_DEP_2)
	v_add_f32_e32 v0, v0, v2
	v_dual_max_num_f32 v2, v116, v116 :: v_dual_mov_b32 v9, v117
	v_add_f32_e32 v8, 0x40051340, v0
	s_delay_alu instid0(VALU_DEP_1)
	v_max_num_f32_e32 v8, v2, v8
.LBB88_74:
	s_or_b32 exec_lo, exec_lo, s11
	v_cmp_ngt_f32_e64 s11, 0x3f200000, |v11|
                                        ; implicit-def: $vgpr2
	s_and_saveexec_b32 s12, s11
	s_delay_alu instid0(SALU_CYCLE_1)
	s_xor_b32 s11, exec_lo, s12
	s_cbranch_execz .LBB88_76
; %bb.75:
	v_add_f32_e64 v2, |v11|, |v11|
	s_delay_alu instid0(VALU_DEP_1) | instskip(SKIP_1) | instid1(VALU_DEP_2)
	v_mul_f32_e32 v14, 0x3fb8aa3b, v2
	v_cmp_ngt_f32_e32 vcc_lo, 0xc2ce8ed0, v2
	v_rndne_f32_e32 v15, v14
	v_fma_f32 v16, 0x3fb8aa3b, v2, -v14
	s_delay_alu instid0(VALU_DEP_2) | instskip(NEXT) | instid1(VALU_DEP_2)
	v_sub_f32_e32 v14, v14, v15
	v_fmamk_f32 v16, v2, 0x32a5705f, v16
	v_cvt_i32_f32_e32 v15, v15
	s_delay_alu instid0(VALU_DEP_2) | instskip(NEXT) | instid1(VALU_DEP_1)
	v_add_f32_e32 v14, v14, v16
	v_exp_f32_e32 v14, v14
	v_nop
	s_delay_alu instid0(TRANS32_DEP_1) | instskip(NEXT) | instid1(VALU_DEP_1)
	v_ldexp_f32 v14, v14, v15
	v_cndmask_b32_e32 v14, 0, v14, vcc_lo
	v_cmp_nlt_f32_e32 vcc_lo, 0x42b17218, v2
	s_delay_alu instid0(VALU_DEP_2) | instskip(NEXT) | instid1(VALU_DEP_1)
	v_cndmask_b32_e32 v2, 0x7f800000, v14, vcc_lo
	v_add_f32_e32 v2, 1.0, v2
	s_delay_alu instid0(VALU_DEP_1) | instskip(SKIP_1) | instid1(TRANS32_DEP_1)
	v_rcp_f32_e32 v2, v2
	v_nop
	v_fma_f32 v2, v2, -2.0, 1.0
.LBB88_76:
	s_and_not1_saveexec_b32 s11, s11
	s_cbranch_execz .LBB88_78
; %bb.77:
	v_mul_f32_e32 v2, v11, v11
	s_mov_b32 s12, 0xbbbac73d
	s_delay_alu instid0(VALU_DEP_1) | instid1(SALU_CYCLE_1)
	v_fmaak_f32 v14, s12, v2, 0x3ca908c9
	s_delay_alu instid0(VALU_DEP_1) | instskip(NEXT) | instid1(VALU_DEP_1)
	v_fmaak_f32 v14, v2, v14, 0xbd5c1c4e
	v_fmaak_f32 v14, v2, v14, 0x3e088382
	s_delay_alu instid0(VALU_DEP_1) | instskip(NEXT) | instid1(VALU_DEP_1)
	v_fmaak_f32 v14, v2, v14, 0xbeaaaa99
	v_mul_f32_e64 v14, |v11|, v14
	s_delay_alu instid0(VALU_DEP_1)
	v_fma_f32 v2, v2, v14, |v11|
.LBB88_78:
	s_or_b32 exec_lo, exec_lo, s11
	s_delay_alu instid0(VALU_DEP_1) | instskip(NEXT) | instid1(VALU_DEP_1)
	v_bfi_b32 v2, 0x7fffffff, v2, v11
	v_dual_mul_f32 v2, s41, v2 :: v_dual_add_nc_u32 v15, 32, v112
	s_delay_alu instid0(VALU_DEP_1)
	v_cmp_gt_i32_e64 s11, s20, v15
	s_and_saveexec_b32 s12, s11
	s_cbranch_execz .LBB88_83
; %bb.79:
	v_cmp_ne_u32_e32 vcc_lo, 1, v13
	s_cbranch_vccnz .LBB88_81
; %bb.80:
	v_dual_ashrrev_i32 v11, 31, v10 :: v_dual_mov_b32 v113, 0
	s_delay_alu instid0(VALU_DEP_1) | instskip(NEXT) | instid1(VALU_DEP_1)
	v_add_nc_u64_e32 v[16:17], v[10:11], v[112:113]
	v_lshl_add_u64 v[16:17], v[16:17], 1, s[14:15]
	global_load_u16 v11, v[16:17], off offset:64
	s_wait_loadcnt 0x0
	v_cvt_f32_f16_e32 v11, v11
	s_delay_alu instid0(VALU_DEP_1)
	v_mul_f32_e32 v11, v87, v11
	s_branch .LBB88_82
.LBB88_81:
	v_mov_b32_e32 v11, 0
.LBB88_82:
	s_delay_alu instid0(VALU_DEP_1) | instskip(NEXT) | instid1(VALU_DEP_1)
	v_dual_add_f32 v2, v2, v11 :: v_dual_max_num_f32 v8, v8, v8
	v_add_f32_e32 v11, 0x40051340, v2
	s_delay_alu instid0(VALU_DEP_1)
	v_max_num_f32_e32 v8, v8, v11
.LBB88_83:
	s_or_b32 exec_lo, exec_lo, s12
	v_cmp_ngt_f32_e64 s12, 0x3f200000, |v4|
                                        ; implicit-def: $vgpr11
	s_and_saveexec_b32 s13, s12
	s_delay_alu instid0(SALU_CYCLE_1)
	s_xor_b32 s12, exec_lo, s13
	s_cbranch_execz .LBB88_85
; %bb.84:
	v_add_f32_e64 v11, |v4|, |v4|
	s_delay_alu instid0(VALU_DEP_1) | instskip(SKIP_1) | instid1(VALU_DEP_2)
	v_mul_f32_e32 v14, 0x3fb8aa3b, v11
	v_cmp_ngt_f32_e32 vcc_lo, 0xc2ce8ed0, v11
	v_rndne_f32_e32 v16, v14
	v_fma_f32 v17, 0x3fb8aa3b, v11, -v14
	s_delay_alu instid0(VALU_DEP_1) | instskip(SKIP_1) | instid1(VALU_DEP_2)
	v_dual_sub_f32 v14, v14, v16 :: v_dual_fmamk_f32 v17, v11, 0x32a5705f, v17
	v_cvt_i32_f32_e32 v16, v16
	v_add_f32_e32 v14, v14, v17
	s_delay_alu instid0(VALU_DEP_1) | instskip(SKIP_1) | instid1(TRANS32_DEP_1)
	v_exp_f32_e32 v14, v14
	v_nop
	v_ldexp_f32 v14, v14, v16
	s_delay_alu instid0(VALU_DEP_1) | instskip(SKIP_1) | instid1(VALU_DEP_2)
	v_cndmask_b32_e32 v14, 0, v14, vcc_lo
	v_cmp_nlt_f32_e32 vcc_lo, 0x42b17218, v11
	v_cndmask_b32_e32 v11, 0x7f800000, v14, vcc_lo
	s_delay_alu instid0(VALU_DEP_1) | instskip(NEXT) | instid1(VALU_DEP_1)
	v_add_f32_e32 v11, 1.0, v11
	v_rcp_f32_e32 v11, v11
	v_nop
	s_delay_alu instid0(TRANS32_DEP_1)
	v_fma_f32 v11, v11, -2.0, 1.0
.LBB88_85:
	s_and_not1_saveexec_b32 s12, s12
	s_cbranch_execz .LBB88_87
; %bb.86:
	v_mul_f32_e32 v11, v4, v4
	s_mov_b32 s13, 0xbbbac73d
	s_delay_alu instid0(VALU_DEP_1) | instid1(SALU_CYCLE_1)
	v_fmaak_f32 v14, s13, v11, 0x3ca908c9
	s_delay_alu instid0(VALU_DEP_1) | instskip(NEXT) | instid1(VALU_DEP_1)
	v_fmaak_f32 v14, v11, v14, 0xbd5c1c4e
	v_fmaak_f32 v14, v11, v14, 0x3e088382
	s_delay_alu instid0(VALU_DEP_1) | instskip(NEXT) | instid1(VALU_DEP_1)
	v_fmaak_f32 v14, v11, v14, 0xbeaaaa99
	v_mul_f32_e64 v14, |v4|, v14
	s_delay_alu instid0(VALU_DEP_1)
	v_fma_f32 v11, v11, v14, |v4|
.LBB88_87:
	s_or_b32 exec_lo, exec_lo, s12
	s_delay_alu instid0(VALU_DEP_1) | instskip(SKIP_1) | instid1(VALU_DEP_2)
	v_bfi_b32 v4, 0x7fffffff, v11, v4
	v_add_nc_u32_e32 v27, 64, v112
	v_mul_f32_e32 v4, s41, v4
	s_delay_alu instid0(VALU_DEP_2)
	v_cmp_gt_i32_e64 s12, s20, v27
	s_and_saveexec_b32 s13, s12
	s_cbranch_execz .LBB88_92
; %bb.88:
	v_cmp_ne_u32_e32 vcc_lo, 1, v13
	s_cbranch_vccnz .LBB88_90
; %bb.89:
	v_dual_ashrrev_i32 v11, 31, v10 :: v_dual_mov_b32 v113, 0
	s_delay_alu instid0(VALU_DEP_1) | instskip(NEXT) | instid1(VALU_DEP_1)
	v_add_nc_u64_e32 v[16:17], v[10:11], v[112:113]
	v_lshl_add_u64 v[16:17], v[16:17], 1, s[14:15]
	global_load_u16 v11, v[16:17], off offset:128
	s_wait_loadcnt 0x0
	v_cvt_f32_f16_e32 v11, v11
	s_delay_alu instid0(VALU_DEP_1)
	v_mul_f32_e32 v11, v87, v11
	s_branch .LBB88_91
.LBB88_90:
	v_mov_b32_e32 v11, 0
.LBB88_91:
	s_delay_alu instid0(VALU_DEP_1) | instskip(SKIP_1) | instid1(VALU_DEP_2)
	v_add_f32_e32 v4, v4, v11
	v_max_num_f32_e32 v8, v8, v8
	v_add_f32_e32 v11, 0x40051340, v4
	s_delay_alu instid0(VALU_DEP_1)
	v_max_num_f32_e32 v8, v8, v11
.LBB88_92:
	s_or_b32 exec_lo, exec_lo, s13
	v_cmp_ngt_f32_e64 s13, 0x3f200000, |v6|
                                        ; implicit-def: $vgpr11
	s_and_saveexec_b32 s21, s13
	s_delay_alu instid0(SALU_CYCLE_1)
	s_xor_b32 s13, exec_lo, s21
	s_cbranch_execz .LBB88_94
; %bb.93:
	v_add_f32_e64 v11, |v6|, |v6|
	s_delay_alu instid0(VALU_DEP_1) | instskip(SKIP_1) | instid1(VALU_DEP_2)
	v_mul_f32_e32 v14, 0x3fb8aa3b, v11
	v_cmp_ngt_f32_e32 vcc_lo, 0xc2ce8ed0, v11
	v_rndne_f32_e32 v16, v14
	v_fma_f32 v17, 0x3fb8aa3b, v11, -v14
	s_delay_alu instid0(VALU_DEP_1) | instskip(SKIP_1) | instid1(VALU_DEP_2)
	v_dual_sub_f32 v14, v14, v16 :: v_dual_fmamk_f32 v17, v11, 0x32a5705f, v17
	v_cvt_i32_f32_e32 v16, v16
	v_add_f32_e32 v14, v14, v17
	s_delay_alu instid0(VALU_DEP_1) | instskip(SKIP_1) | instid1(TRANS32_DEP_1)
	v_exp_f32_e32 v14, v14
	v_nop
	v_ldexp_f32 v14, v14, v16
	s_delay_alu instid0(VALU_DEP_1) | instskip(SKIP_1) | instid1(VALU_DEP_2)
	v_cndmask_b32_e32 v14, 0, v14, vcc_lo
	v_cmp_nlt_f32_e32 vcc_lo, 0x42b17218, v11
	v_cndmask_b32_e32 v11, 0x7f800000, v14, vcc_lo
	s_delay_alu instid0(VALU_DEP_1) | instskip(NEXT) | instid1(VALU_DEP_1)
	v_add_f32_e32 v11, 1.0, v11
	v_rcp_f32_e32 v11, v11
	v_nop
	s_delay_alu instid0(TRANS32_DEP_1)
	v_fma_f32 v11, v11, -2.0, 1.0
.LBB88_94:
	s_and_not1_saveexec_b32 s13, s13
	s_cbranch_execz .LBB88_96
; %bb.95:
	v_mul_f32_e32 v11, v6, v6
	s_mov_b32 s21, 0xbbbac73d
	s_delay_alu instid0(VALU_DEP_1) | instid1(SALU_CYCLE_1)
	v_fmaak_f32 v14, s21, v11, 0x3ca908c9
	s_delay_alu instid0(VALU_DEP_1) | instskip(NEXT) | instid1(VALU_DEP_1)
	v_fmaak_f32 v14, v11, v14, 0xbd5c1c4e
	v_fmaak_f32 v14, v11, v14, 0x3e088382
	s_delay_alu instid0(VALU_DEP_1) | instskip(NEXT) | instid1(VALU_DEP_1)
	v_fmaak_f32 v14, v11, v14, 0xbeaaaa99
	v_mul_f32_e64 v14, |v6|, v14
	s_delay_alu instid0(VALU_DEP_1)
	v_fma_f32 v11, v11, v14, |v6|
.LBB88_96:
	s_or_b32 exec_lo, exec_lo, s13
	s_delay_alu instid0(VALU_DEP_1) | instskip(SKIP_1) | instid1(VALU_DEP_2)
	v_bfi_b32 v6, 0x7fffffff, v11, v6
	v_add_nc_u32_e32 v28, 0x60, v112
	v_mul_f32_e32 v6, s41, v6
	s_delay_alu instid0(VALU_DEP_2)
	v_cmp_gt_i32_e64 s13, s20, v28
	s_and_saveexec_b32 s21, s13
	s_cbranch_execz .LBB88_101
; %bb.97:
	v_cmp_ne_u32_e32 vcc_lo, 1, v13
	s_cbranch_vccnz .LBB88_99
; %bb.98:
	v_dual_ashrrev_i32 v11, 31, v10 :: v_dual_mov_b32 v113, 0
	s_delay_alu instid0(VALU_DEP_1) | instskip(NEXT) | instid1(VALU_DEP_1)
	v_add_nc_u64_e32 v[10:11], v[10:11], v[112:113]
	v_lshl_add_u64 v[10:11], v[10:11], 1, s[14:15]
	global_load_u16 v10, v[10:11], off offset:192
	s_wait_loadcnt 0x0
	v_cvt_f32_f16_e32 v10, v10
	s_delay_alu instid0(VALU_DEP_1)
	v_mul_f32_e32 v10, v87, v10
	s_branch .LBB88_100
.LBB88_99:
	v_mov_b32_e32 v10, 0
.LBB88_100:
	s_delay_alu instid0(VALU_DEP_1) | instskip(NEXT) | instid1(VALU_DEP_1)
	v_dual_add_f32 v6, v6, v10 :: v_dual_max_num_f32 v8, v8, v8
	v_add_f32_e32 v10, 0x40051340, v6
	s_delay_alu instid0(VALU_DEP_1)
	v_max_num_f32_e32 v8, v8, v10
.LBB88_101:
	s_or_b32 exec_lo, exec_lo, s21
	v_dual_mov_b32 v129, 32 :: v_dual_bitop2_b32 v127, 16, v125 bitop3:0x14
	v_cmp_ngt_f32_e64 s21, 0x3f200000, |v1|
	v_xor_b32_e32 v128, 8, v125
	v_xor_b32_e32 v130, 4, v125
	s_delay_alu instid0(VALU_DEP_4) | instskip(SKIP_1) | instid1(VALU_DEP_4)
	v_cmp_gt_i32_e32 vcc_lo, 32, v127
	v_dual_cndmask_b32 v10, v125, v127, vcc_lo :: v_dual_bitop2_b32 v132, 1, v125 bitop3:0x14
	v_cmp_gt_i32_e32 vcc_lo, 32, v128
	s_delay_alu instid0(VALU_DEP_2)
	v_lshlrev_b32_e32 v16, 2, v10
	ds_bpermute_b32 v10, v16, v8
	v_cndmask_b32_e32 v11, v125, v128, vcc_lo
	v_cmp_gt_i32_e32 vcc_lo, 32, v130
	s_wait_dscnt 0x0
	v_dual_max_num_f32 v10, v10, v10 :: v_dual_max_num_f32 v8, v8, v8
	s_delay_alu instid0(VALU_DEP_1) | instskip(SKIP_3) | instid1(VALU_DEP_1)
	v_dual_max_num_f32 v10, v8, v10 :: v_dual_lshlrev_b32 v29, 2, v11
	ds_bpermute_b32 v8, v29, v10
	s_wait_dscnt 0x0
	v_dual_cndmask_b32 v11, v125, v130 :: v_dual_max_num_f32 v14, v8, v8
	v_dual_lshlrev_b32 v8, 2, v11 :: v_dual_max_num_f32 v10, v10, v14
	ds_bpermute_b32 v11, v8, v10
	s_wait_dscnt 0x0
	v_dual_max_num_f32 v11, v11, v11 :: v_dual_bitop2_b32 v131, 2, v125 bitop3:0x14
	s_delay_alu instid0(VALU_DEP_1) | instskip(NEXT) | instid1(VALU_DEP_2)
	v_cmp_gt_i32_e32 vcc_lo, 32, v131
	v_max_num_f32_e32 v10, v10, v11
	v_cndmask_b32_e32 v14, v125, v131, vcc_lo
	v_cmp_gt_i32_e32 vcc_lo, 32, v132
	s_delay_alu instid0(VALU_DEP_2) | instskip(SKIP_3) | instid1(VALU_DEP_1)
	v_lshlrev_b32_e32 v17, 2, v14
	ds_bpermute_b32 v11, v17, v10
	s_wait_dscnt 0x0
	v_dual_cndmask_b32 v14, v125, v132 :: v_dual_max_num_f32 v11, v11, v11
	v_lshlrev_b32_e32 v26, 2, v14
                                        ; implicit-def: $vgpr14
	s_delay_alu instid0(VALU_DEP_2) | instskip(SKIP_2) | instid1(SALU_CYCLE_1)
	v_max_num_f32_e32 v10, v10, v11
	ds_bpermute_b32 v11, v26, v10
	s_and_saveexec_b32 s23, s21
	s_xor_b32 s21, exec_lo, s23
	s_cbranch_execz .LBB88_103
; %bb.102:
	v_add_f32_e64 v14, |v1|, |v1|
	s_delay_alu instid0(VALU_DEP_1) | instskip(SKIP_1) | instid1(VALU_DEP_2)
	v_mul_f32_e32 v30, 0x3fb8aa3b, v14
	v_cmp_ngt_f32_e32 vcc_lo, 0xc2ce8ed0, v14
	v_rndne_f32_e32 v31, v30
	v_fma_f32 v34, 0x3fb8aa3b, v14, -v30
	s_delay_alu instid0(VALU_DEP_2) | instskip(NEXT) | instid1(VALU_DEP_2)
	v_sub_f32_e32 v30, v30, v31
	v_fmamk_f32 v34, v14, 0x32a5705f, v34
	v_cvt_i32_f32_e32 v31, v31
	s_delay_alu instid0(VALU_DEP_2) | instskip(NEXT) | instid1(VALU_DEP_1)
	v_add_f32_e32 v30, v30, v34
	v_exp_f32_e32 v30, v30
	v_nop
	s_delay_alu instid0(TRANS32_DEP_1) | instskip(NEXT) | instid1(VALU_DEP_1)
	v_ldexp_f32 v30, v30, v31
	v_cndmask_b32_e32 v30, 0, v30, vcc_lo
	v_cmp_nlt_f32_e32 vcc_lo, 0x42b17218, v14
	s_delay_alu instid0(VALU_DEP_2) | instskip(NEXT) | instid1(VALU_DEP_1)
	v_cndmask_b32_e32 v14, 0x7f800000, v30, vcc_lo
	v_add_f32_e32 v14, 1.0, v14
	s_delay_alu instid0(VALU_DEP_1) | instskip(SKIP_1) | instid1(TRANS32_DEP_1)
	v_rcp_f32_e32 v14, v14
	v_nop
	v_fma_f32 v14, v14, -2.0, 1.0
.LBB88_103:
	s_and_not1_saveexec_b32 s21, s21
	s_cbranch_execz .LBB88_105
; %bb.104:
	v_mul_f32_e32 v14, v1, v1
	s_mov_b32 s23, 0xbbbac73d
	s_delay_alu instid0(VALU_DEP_1) | instid1(SALU_CYCLE_1)
	v_fmaak_f32 v30, s23, v14, 0x3ca908c9
	s_delay_alu instid0(VALU_DEP_1) | instskip(NEXT) | instid1(VALU_DEP_1)
	v_fmaak_f32 v30, v14, v30, 0xbd5c1c4e
	v_fmaak_f32 v30, v14, v30, 0x3e088382
	s_delay_alu instid0(VALU_DEP_1) | instskip(NEXT) | instid1(VALU_DEP_1)
	v_fmaak_f32 v30, v14, v30, 0xbeaaaa99
	v_mul_f32_e64 v30, |v1|, v30
	s_delay_alu instid0(VALU_DEP_1)
	v_fma_f32 v14, v14, v30, |v1|
.LBB88_105:
	s_or_b32 exec_lo, exec_lo, s21
	v_mov_b32_e32 v41, 0
	s_delay_alu instid0(VALU_DEP_2) | instskip(SKIP_2) | instid1(VALU_DEP_3)
	v_bfi_b32 v1, 0x7fffffff, v14, v1
	s_wait_dscnt 0x0
	v_max_num_f32_e32 v11, v11, v11
	v_mul_u64_e32 v[30:31], s[16:17], v[40:41]
	s_delay_alu instid0(VALU_DEP_1) | instskip(SKIP_1) | instid1(VALU_DEP_1)
	v_dual_mul_f32 v1, s41, v1 :: v_dual_add_nc_u32 v30, v40, v31
	v_max_num_f32_e32 v31, v10, v10
	v_dual_lshrrev_b32 v30, s37, v30 :: v_dual_max_num_f32 v14, v31, v11
	s_delay_alu instid0(VALU_DEP_1) | instskip(NEXT) | instid1(VALU_DEP_1)
	v_mul_lo_u32 v30, v30, s38
	v_sub_nc_u32_e32 v30, v40, v30
	s_delay_alu instid0(VALU_DEP_1)
	v_mad_u32 v10, v30, s36, s18
	s_and_saveexec_b32 s16, s10
	s_cbranch_execz .LBB88_109
; %bb.106:
	v_cmp_ne_u32_e32 vcc_lo, 1, v13
	s_cbranch_vccnz .LBB88_108
; %bb.107:
	s_delay_alu instid0(VALU_DEP_2) | instskip(SKIP_3) | instid1(VALU_DEP_1)
	v_add_nc_u32_e32 v11, v10, v112
	global_load_u16 v11, v11, s[14:15] scale_offset
	s_wait_loadcnt 0x0
	v_cvt_f32_f16_e32 v11, v11
	v_mul_f32_e32 v41, v87, v11
.LBB88_108:
	s_delay_alu instid0(VALU_DEP_1) | instskip(SKIP_1) | instid1(VALU_DEP_2)
	v_add_f32_e32 v1, v1, v41
	v_max_num_f32_e32 v9, v9, v9
	v_add_f32_e32 v11, 0x40051340, v1
	s_delay_alu instid0(VALU_DEP_1)
	v_max_num_f32_e32 v9, v9, v11
.LBB88_109:
	s_or_b32 exec_lo, exec_lo, s16
	v_cmp_ngt_f32_e64 s10, 0x3f200000, |v3|
                                        ; implicit-def: $vgpr11
	s_and_saveexec_b32 s16, s10
	s_delay_alu instid0(SALU_CYCLE_1)
	s_xor_b32 s10, exec_lo, s16
	s_cbranch_execz .LBB88_111
; %bb.110:
	v_add_f32_e64 v11, |v3|, |v3|
	s_delay_alu instid0(VALU_DEP_1) | instskip(SKIP_1) | instid1(VALU_DEP_2)
	v_mul_f32_e32 v30, 0x3fb8aa3b, v11
	v_cmp_ngt_f32_e32 vcc_lo, 0xc2ce8ed0, v11
	v_rndne_f32_e32 v31, v30
	v_fma_f32 v34, 0x3fb8aa3b, v11, -v30
	s_delay_alu instid0(VALU_DEP_2) | instskip(NEXT) | instid1(VALU_DEP_2)
	v_sub_f32_e32 v30, v30, v31
	v_fmamk_f32 v34, v11, 0x32a5705f, v34
	v_cvt_i32_f32_e32 v31, v31
	s_delay_alu instid0(VALU_DEP_2) | instskip(NEXT) | instid1(VALU_DEP_1)
	v_add_f32_e32 v30, v30, v34
	v_exp_f32_e32 v30, v30
	v_nop
	s_delay_alu instid0(TRANS32_DEP_1) | instskip(NEXT) | instid1(VALU_DEP_1)
	v_ldexp_f32 v30, v30, v31
	v_cndmask_b32_e32 v30, 0, v30, vcc_lo
	v_cmp_nlt_f32_e32 vcc_lo, 0x42b17218, v11
	s_delay_alu instid0(VALU_DEP_2) | instskip(NEXT) | instid1(VALU_DEP_1)
	v_cndmask_b32_e32 v11, 0x7f800000, v30, vcc_lo
	v_add_f32_e32 v11, 1.0, v11
	s_delay_alu instid0(VALU_DEP_1) | instskip(SKIP_1) | instid1(TRANS32_DEP_1)
	v_rcp_f32_e32 v11, v11
	v_nop
	v_fma_f32 v11, v11, -2.0, 1.0
.LBB88_111:
	s_and_not1_saveexec_b32 s10, s10
	s_cbranch_execz .LBB88_113
; %bb.112:
	v_mul_f32_e32 v11, v3, v3
	s_mov_b32 s16, 0xbbbac73d
	s_delay_alu instid0(VALU_DEP_1) | instid1(SALU_CYCLE_1)
	v_fmaak_f32 v30, s16, v11, 0x3ca908c9
	s_delay_alu instid0(VALU_DEP_1) | instskip(NEXT) | instid1(VALU_DEP_1)
	v_fmaak_f32 v30, v11, v30, 0xbd5c1c4e
	v_fmaak_f32 v30, v11, v30, 0x3e088382
	s_delay_alu instid0(VALU_DEP_1) | instskip(NEXT) | instid1(VALU_DEP_1)
	v_fmaak_f32 v30, v11, v30, 0xbeaaaa99
	v_mul_f32_e64 v30, |v3|, v30
	s_delay_alu instid0(VALU_DEP_1)
	v_fma_f32 v11, v11, v30, |v3|
.LBB88_113:
	s_or_b32 exec_lo, exec_lo, s10
	s_delay_alu instid0(VALU_DEP_1) | instskip(NEXT) | instid1(VALU_DEP_1)
	v_bfi_b32 v3, 0x7fffffff, v11, v3
	v_mul_f32_e32 v3, s41, v3
	s_and_saveexec_b32 s10, s11
	s_cbranch_execz .LBB88_118
; %bb.114:
	v_cmp_ne_u32_e32 vcc_lo, 1, v13
	s_cbranch_vccnz .LBB88_116
; %bb.115:
	v_dual_ashrrev_i32 v11, 31, v10 :: v_dual_mov_b32 v113, 0
	s_delay_alu instid0(VALU_DEP_1) | instskip(NEXT) | instid1(VALU_DEP_1)
	v_add_nc_u64_e32 v[30:31], v[10:11], v[112:113]
	v_lshl_add_u64 v[30:31], v[30:31], 1, s[14:15]
	global_load_u16 v11, v[30:31], off offset:64
	s_wait_loadcnt 0x0
	v_cvt_f32_f16_e32 v11, v11
	s_delay_alu instid0(VALU_DEP_1)
	v_mul_f32_e32 v11, v87, v11
	s_branch .LBB88_117
.LBB88_116:
	v_mov_b32_e32 v11, 0
.LBB88_117:
	s_delay_alu instid0(VALU_DEP_1) | instskip(NEXT) | instid1(VALU_DEP_1)
	v_dual_add_f32 v3, v3, v11 :: v_dual_max_num_f32 v9, v9, v9
	v_add_f32_e32 v11, 0x40051340, v3
	s_delay_alu instid0(VALU_DEP_1)
	v_max_num_f32_e32 v9, v9, v11
.LBB88_118:
	s_or_b32 exec_lo, exec_lo, s10
	v_cmp_ngt_f32_e64 s10, 0x3f200000, |v5|
                                        ; implicit-def: $vgpr11
	s_and_saveexec_b32 s11, s10
	s_delay_alu instid0(SALU_CYCLE_1)
	s_xor_b32 s10, exec_lo, s11
	s_cbranch_execz .LBB88_120
; %bb.119:
	v_add_f32_e64 v11, |v5|, |v5|
	s_delay_alu instid0(VALU_DEP_1) | instskip(SKIP_1) | instid1(VALU_DEP_2)
	v_mul_f32_e32 v30, 0x3fb8aa3b, v11
	v_cmp_ngt_f32_e32 vcc_lo, 0xc2ce8ed0, v11
	v_rndne_f32_e32 v31, v30
	v_fma_f32 v34, 0x3fb8aa3b, v11, -v30
	s_delay_alu instid0(VALU_DEP_2) | instskip(NEXT) | instid1(VALU_DEP_2)
	v_sub_f32_e32 v30, v30, v31
	v_fmamk_f32 v34, v11, 0x32a5705f, v34
	v_cvt_i32_f32_e32 v31, v31
	s_delay_alu instid0(VALU_DEP_2) | instskip(NEXT) | instid1(VALU_DEP_1)
	v_add_f32_e32 v30, v30, v34
	v_exp_f32_e32 v30, v30
	v_nop
	s_delay_alu instid0(TRANS32_DEP_1) | instskip(NEXT) | instid1(VALU_DEP_1)
	v_ldexp_f32 v30, v30, v31
	v_cndmask_b32_e32 v30, 0, v30, vcc_lo
	v_cmp_nlt_f32_e32 vcc_lo, 0x42b17218, v11
	s_delay_alu instid0(VALU_DEP_2) | instskip(NEXT) | instid1(VALU_DEP_1)
	v_cndmask_b32_e32 v11, 0x7f800000, v30, vcc_lo
	v_add_f32_e32 v11, 1.0, v11
	s_delay_alu instid0(VALU_DEP_1) | instskip(SKIP_1) | instid1(TRANS32_DEP_1)
	v_rcp_f32_e32 v11, v11
	v_nop
	v_fma_f32 v11, v11, -2.0, 1.0
.LBB88_120:
	s_and_not1_saveexec_b32 s10, s10
	s_cbranch_execz .LBB88_122
; %bb.121:
	v_mul_f32_e32 v11, v5, v5
	s_mov_b32 s11, 0xbbbac73d
	s_delay_alu instid0(VALU_DEP_1) | instid1(SALU_CYCLE_1)
	v_fmaak_f32 v30, s11, v11, 0x3ca908c9
	s_delay_alu instid0(VALU_DEP_1) | instskip(NEXT) | instid1(VALU_DEP_1)
	v_fmaak_f32 v30, v11, v30, 0xbd5c1c4e
	v_fmaak_f32 v30, v11, v30, 0x3e088382
	s_delay_alu instid0(VALU_DEP_1) | instskip(NEXT) | instid1(VALU_DEP_1)
	v_fmaak_f32 v30, v11, v30, 0xbeaaaa99
	v_mul_f32_e64 v30, |v5|, v30
	s_delay_alu instid0(VALU_DEP_1)
	v_fma_f32 v11, v11, v30, |v5|
.LBB88_122:
	s_or_b32 exec_lo, exec_lo, s10
	s_delay_alu instid0(VALU_DEP_1) | instskip(NEXT) | instid1(VALU_DEP_1)
	v_bfi_b32 v5, 0x7fffffff, v11, v5
	v_mul_f32_e32 v5, s41, v5
	s_and_saveexec_b32 s10, s12
	s_cbranch_execz .LBB88_127
; %bb.123:
	v_cmp_ne_u32_e32 vcc_lo, 1, v13
	s_cbranch_vccnz .LBB88_125
; %bb.124:
	v_dual_ashrrev_i32 v11, 31, v10 :: v_dual_mov_b32 v113, 0
	s_delay_alu instid0(VALU_DEP_1) | instskip(NEXT) | instid1(VALU_DEP_1)
	v_add_nc_u64_e32 v[30:31], v[10:11], v[112:113]
	v_lshl_add_u64 v[30:31], v[30:31], 1, s[14:15]
	global_load_u16 v11, v[30:31], off offset:128
	s_wait_loadcnt 0x0
	v_cvt_f32_f16_e32 v11, v11
	s_delay_alu instid0(VALU_DEP_1)
	v_mul_f32_e32 v11, v87, v11
	s_branch .LBB88_126
.LBB88_125:
	v_mov_b32_e32 v11, 0
.LBB88_126:
	s_delay_alu instid0(VALU_DEP_1) | instskip(SKIP_1) | instid1(VALU_DEP_2)
	v_add_f32_e32 v5, v5, v11
	v_max_num_f32_e32 v9, v9, v9
	v_add_f32_e32 v11, 0x40051340, v5
	s_delay_alu instid0(VALU_DEP_1)
	v_max_num_f32_e32 v9, v9, v11
.LBB88_127:
	s_or_b32 exec_lo, exec_lo, s10
	v_cmp_ngt_f32_e64 s10, 0x3f200000, |v7|
                                        ; implicit-def: $vgpr11
	s_and_saveexec_b32 s11, s10
	s_delay_alu instid0(SALU_CYCLE_1)
	s_xor_b32 s10, exec_lo, s11
	s_cbranch_execz .LBB88_129
; %bb.128:
	v_add_f32_e64 v11, |v7|, |v7|
	s_delay_alu instid0(VALU_DEP_1) | instskip(SKIP_1) | instid1(VALU_DEP_2)
	v_mul_f32_e32 v30, 0x3fb8aa3b, v11
	v_cmp_ngt_f32_e32 vcc_lo, 0xc2ce8ed0, v11
	v_rndne_f32_e32 v31, v30
	v_fma_f32 v34, 0x3fb8aa3b, v11, -v30
	s_delay_alu instid0(VALU_DEP_2) | instskip(NEXT) | instid1(VALU_DEP_2)
	v_sub_f32_e32 v30, v30, v31
	v_fmamk_f32 v34, v11, 0x32a5705f, v34
	v_cvt_i32_f32_e32 v31, v31
	s_delay_alu instid0(VALU_DEP_2) | instskip(NEXT) | instid1(VALU_DEP_1)
	v_add_f32_e32 v30, v30, v34
	v_exp_f32_e32 v30, v30
	v_nop
	s_delay_alu instid0(TRANS32_DEP_1) | instskip(NEXT) | instid1(VALU_DEP_1)
	v_ldexp_f32 v30, v30, v31
	v_cndmask_b32_e32 v30, 0, v30, vcc_lo
	v_cmp_nlt_f32_e32 vcc_lo, 0x42b17218, v11
	s_delay_alu instid0(VALU_DEP_2) | instskip(NEXT) | instid1(VALU_DEP_1)
	v_cndmask_b32_e32 v11, 0x7f800000, v30, vcc_lo
	v_add_f32_e32 v11, 1.0, v11
	s_delay_alu instid0(VALU_DEP_1) | instskip(SKIP_1) | instid1(TRANS32_DEP_1)
	v_rcp_f32_e32 v11, v11
	v_nop
	v_fma_f32 v11, v11, -2.0, 1.0
.LBB88_129:
	s_and_not1_saveexec_b32 s10, s10
	s_cbranch_execz .LBB88_131
; %bb.130:
	v_mul_f32_e32 v11, v7, v7
	s_mov_b32 s11, 0xbbbac73d
	s_delay_alu instid0(VALU_DEP_1) | instid1(SALU_CYCLE_1)
	v_fmaak_f32 v30, s11, v11, 0x3ca908c9
	s_delay_alu instid0(VALU_DEP_1) | instskip(NEXT) | instid1(VALU_DEP_1)
	v_fmaak_f32 v30, v11, v30, 0xbd5c1c4e
	v_fmaak_f32 v30, v11, v30, 0x3e088382
	s_delay_alu instid0(VALU_DEP_1) | instskip(NEXT) | instid1(VALU_DEP_1)
	v_fmaak_f32 v30, v11, v30, 0xbeaaaa99
	v_mul_f32_e64 v30, |v7|, v30
	s_delay_alu instid0(VALU_DEP_1)
	v_fma_f32 v11, v11, v30, |v7|
.LBB88_131:
	s_or_b32 exec_lo, exec_lo, s10
	s_delay_alu instid0(VALU_DEP_1) | instskip(NEXT) | instid1(VALU_DEP_1)
	v_bfi_b32 v7, 0x7fffffff, v11, v7
	v_mul_f32_e32 v7, s41, v7
	s_and_saveexec_b32 s10, s13
	s_cbranch_execz .LBB88_136
; %bb.132:
	v_cmp_ne_u32_e32 vcc_lo, 1, v13
	s_cbranch_vccnz .LBB88_134
; %bb.133:
	v_dual_ashrrev_i32 v11, 31, v10 :: v_dual_mov_b32 v113, 0
	s_delay_alu instid0(VALU_DEP_1) | instskip(NEXT) | instid1(VALU_DEP_1)
	v_add_nc_u64_e32 v[10:11], v[10:11], v[112:113]
	v_lshl_add_u64 v[10:11], v[10:11], 1, s[14:15]
	global_load_u16 v10, v[10:11], off offset:192
	s_wait_loadcnt 0x0
	v_cvt_f32_f16_e32 v10, v10
	s_delay_alu instid0(VALU_DEP_1)
	v_mul_f32_e32 v10, v87, v10
	s_branch .LBB88_135
.LBB88_134:
	v_mov_b32_e32 v10, 0
.LBB88_135:
	s_delay_alu instid0(VALU_DEP_1) | instskip(NEXT) | instid1(VALU_DEP_1)
	v_dual_add_f32 v7, v7, v10 :: v_dual_max_num_f32 v9, v9, v9
	v_add_f32_e32 v10, 0x40051340, v7
	s_delay_alu instid0(VALU_DEP_1)
	v_max_num_f32_e32 v9, v9, v10
.LBB88_136:
	s_or_b32 exec_lo, exec_lo, s10
	ds_bpermute_b32 v10, v16, v9
	v_max_num_f32_e32 v9, v9, v9
	s_mov_b32 s16, 0
	s_ashr_i32 s23, s22, 31
	v_dual_sub_f32 v4, v4, v14 :: v_dual_sub_f32 v6, v6, v14
	v_lshl_add_u32 v36, v15, 2, v88
	v_cmp_gt_u32_e64 s10, s20, v15
	s_mul_u64 s[14:15], s[18:19], s[22:23]
	s_mov_b32 s17, s16
	s_mov_b32 s18, s16
	v_dual_sub_f32 v0, v0, v14 :: v_dual_sub_f32 v2, v2, v14
	v_lshl_add_u32 v37, v27, 2, v88
	v_cmp_gt_u32_e64 s11, s20, v27
	v_lshl_add_u32 v38, v28, 2, v88
	s_delay_alu instid0(VALU_DEP_4)
	v_mul_f32_e32 v27, 0x3fb8aa3b, v0
	v_cmp_gt_u32_e64 s12, s20, v28
	v_mul_f32_e32 v28, 0x3fb8aa3b, v2
	v_cmp_ngt_f32_e64 s13, 0xc2ce8ed0, v0
	s_wait_dscnt 0x0
	v_max_num_f32_e32 v10, v10, v10
	v_fma_f32 v39, 0x3fb8aa3b, v0, -v27
	v_rndne_f32_e32 v40, v27
	v_fma_f32 v41, 0x3fb8aa3b, v2, -v28
	v_rndne_f32_e32 v42, v28
	v_max_num_f32_e32 v9, v9, v10
	s_lshl_b64 s[36:37], s[14:15], 2
	v_cmp_ngt_f32_e64 s14, 0xc2ce8ed0, v2
	v_mul_lo_u32 v16, s22, v18
	v_cmp_gt_u32_e32 vcc_lo, s20, v112
	ds_bpermute_b32 v10, v29, v9
	v_cmp_nlt_f32_e64 s20, 0x42b17218, v6
	v_cmp_ngt_f32_e64 s15, 0xc2ce8ed0, v4
	v_cmp_nlt_f32_e64 s19, 0x42b17218, v4
	v_mbcnt_lo_u32_b32 v31, -1, 0
	s_add_nc_u64 s[26:27], s[26:27], s[36:37]
	v_dual_mov_b32 v30, 0 :: v_dual_mov_b32 v13, 0
	s_wait_dscnt 0x0
	s_delay_alu instid0(VALU_DEP_2)
	v_lshlrev_b32_e32 v31, 20, v31
	s_barrier_signal -1
	s_barrier_wait -1
	v_add_nc_u32_e32 v142, 0x3800, v43
	v_add_nc_u32_e32 v138, 0x5000, v43
	;; [unrolled: 1-line block ×6, first 2 shown]
	v_dual_max_num_f32 v10, v10, v10 :: v_dual_add_nc_u32 v133, 0x7800, v43
	v_add_nc_u32_e32 v29, v88, v123
	v_add_nc_u32_e32 v141, 0x4000, v43
	s_delay_alu instid0(VALU_DEP_3) | instskip(SKIP_4) | instid1(VALU_DEP_2)
	v_max_num_f32_e32 v11, v9, v10
	ds_bpermute_b32 v8, v8, v11
	s_wait_dscnt 0x0
	v_dual_max_num_f32 v15, v8, v8 :: v_dual_mov_b32 v8, s16
	v_dual_mul_f32 v34, 0x3fb8aa3b, v4 :: v_dual_mov_b32 v9, s17
	v_dual_mov_b32 v10, s18 :: v_dual_max_num_f32 v11, v11, v15
	v_mul_f32_e32 v15, 0x3fb8aa3b, v6
	v_cmp_nlt_f32_e64 s17, 0x42b17218, v0
	v_cmp_nlt_f32_e64 s18, 0x42b17218, v2
	v_fma_f32 v44, 0x3fb8aa3b, v4, -v34
	ds_bpermute_b32 v35, v17, v11
	v_fmac_f32_e32 v41, 0x32a5705f, v2
	v_rndne_f32_e32 v46, v34
	v_cmp_ngt_f32_e64 s16, 0xc2ce8ed0, v6
	v_fmac_f32_e32 v44, 0x32a5705f, v4
	v_ashrrev_i32_e32 v17, 31, v16
	v_add_nc_u64_e32 v[30:31], src_flat_scratch_base_lo, v[30:31]
	s_clause 0x1
	scratch_store_b32 off, v13, off
	scratch_store_b96 off, v[8:10], off offset:4
	s_wait_dscnt 0x0
	v_max_num_f32_e32 v35, v35, v35
	v_fmac_f32_e32 v39, 0x32a5705f, v0
	v_sub_f32_e32 v0, v27, v40
	v_fma_f32 v47, 0x3fb8aa3b, v6, -v15
	v_rndne_f32_e32 v48, v15
	v_max_num_f32_e32 v2, v11, v35
	v_cvt_i32_f32_e32 v40, v40
	s_delay_alu instid0(VALU_DEP_4)
	v_dual_add_f32 v0, v0, v39 :: v_dual_fmac_f32 v47, 0x32a5705f, v6
	v_sub_f32_e32 v11, v28, v42
	ds_bpermute_b32 v6, v26, v2
	v_dual_sub_f32 v4, v34, v46 :: v_dual_sub_f32 v15, v15, v48
	v_exp_f32_e32 v0, v0
	v_add_f32_e32 v11, v11, v41
	v_cvt_i32_f32_e32 v28, v42
	s_delay_alu instid0(VALU_DEP_3)
	v_add_f32_e32 v4, v4, v44
	v_lshl_add_u64 v[26:27], v[16:17], 2, s[26:27]
	v_cvt_i32_f32_e32 v17, v46
	v_exp_f32_e32 v11, v11
	v_ldexp_f32 v0, v0, v40
	v_add_f32_e32 v15, v15, v47
	v_exp_f32_e32 v4, v4
	v_cvt_i32_f32_e32 v39, v48
	v_add_nc_u64_e32 v[34:35], v[26:27], v[12:13]
	v_cndmask_b32_e64 v0, 0, v0, s13
	v_exp_f32_e32 v15, v15
	v_ldexp_f32 v11, v11, v28
	s_delay_alu instid0(TRANS32_DEP_2)
	v_ldexp_f32 v4, v4, v17
	s_wait_dscnt 0x0
	v_max_num_f32_e32 v6, v6, v6
	v_cndmask_b32_e64 v0, 0x7f800000, v0, s17
	v_cndmask_b32_e64 v11, 0, v11, s14
	v_ldexp_f32 v15, v15, v39
	v_cndmask_b32_e64 v4, 0, v4, s15
	s_delay_alu instid0(VALU_DEP_2) | instskip(SKIP_2) | instid1(VALU_DEP_4)
	v_dual_cndmask_b32 v27, 0, v0, vcc_lo :: v_dual_cndmask_b32 v17, 0, v15, s16
	v_max_num_f32_e32 v15, v2, v6
	v_cndmask_b32_e64 v2, 0x7f800000, v11, s18
	v_cndmask_b32_e64 v4, 0x7f800000, v4, s19
	s_delay_alu instid0(VALU_DEP_4) | instskip(NEXT) | instid1(VALU_DEP_4)
	v_cndmask_b32_e64 v6, 0x7f800000, v17, s20
	v_dual_sub_f32 v0, v1, v15 :: v_dual_sub_f32 v1, v3, v15
	s_delay_alu instid0(VALU_DEP_4) | instskip(NEXT) | instid1(VALU_DEP_2)
	v_dual_cndmask_b32 v28, 0, v2, s10 :: v_dual_sub_f32 v3, v5, v15
	v_dual_sub_f32 v5, v7, v15 :: v_dual_mul_f32 v2, 0x3fb8aa3b, v0
	s_delay_alu instid0(VALU_DEP_3)
	v_mul_f32_e32 v7, 0x3fb8aa3b, v1
	v_cmp_ngt_f32_e64 s13, 0xc2ce8ed0, v0
	v_cmp_nlt_f32_e64 s17, 0x42b17218, v0
	v_cmp_ngt_f32_e64 s14, 0xc2ce8ed0, v1
	v_fma_f32 v26, 0x3fb8aa3b, v0, -v2
	v_rndne_f32_e32 v39, v2
	v_fma_f32 v40, 0x3fb8aa3b, v1, -v7
	v_rndne_f32_e32 v41, v7
	v_cmp_nlt_f32_e64 s18, 0x42b17218, v1
	v_fmac_f32_e32 v26, 0x32a5705f, v0
	v_sub_f32_e32 v0, v2, v39
	v_fmac_f32_e32 v40, 0x32a5705f, v1
	v_sub_f32_e32 v1, v7, v41
	v_mul_f32_e32 v11, 0x3fb8aa3b, v3
	v_cmp_ngt_f32_e64 s15, 0xc2ce8ed0, v3
	v_add_f32_e32 v0, v0, v26
	v_cmp_ngt_f32_e64 s16, 0xc2ce8ed0, v5
	v_cmp_nlt_f32_e64 s19, 0x42b17218, v3
	v_rndne_f32_e32 v44, v11
	v_mul_f32_e32 v17, 0x3fb8aa3b, v5
	v_exp_f32_e32 v0, v0
	v_fma_f32 v42, 0x3fb8aa3b, v3, -v11
	v_cmp_nlt_f32_e64 s20, 0x42b17218, v5
	v_sub_f32_e32 v2, v11, v44
	v_rndne_f32_e32 v47, v17
	v_cvt_i32_f32_e32 v11, v39
	v_fma_f32 v46, 0x3fb8aa3b, v5, -v17
	v_cvt_i32_f32_e32 v26, v44
	s_delay_alu instid0(VALU_DEP_4) | instskip(SKIP_4) | instid1(VALU_DEP_4)
	v_sub_f32_e32 v7, v17, v47
	v_dual_fmac_f32 v42, 0x32a5705f, v3 :: v_dual_add_f32 v1, v1, v40
	v_ldexp_f32 v0, v0, v11
	v_cvt_i32_f32_e32 v17, v41
	v_cvt_i32_f32_e32 v39, v47
	v_add_f32_e32 v2, v2, v42
	v_exp_f32_e32 v1, v1
	v_cndmask_b32_e64 v0, 0, v0, s13
	s_delay_alu instid0(VALU_DEP_2) | instskip(NEXT) | instid1(VALU_DEP_1)
	v_exp_f32_e32 v2, v2
	v_cndmask_b32_e64 v0, 0x7f800000, v0, s17
	v_fmac_f32_e32 v46, 0x32a5705f, v5
	s_delay_alu instid0(TRANS32_DEP_2) | instskip(NEXT) | instid1(VALU_DEP_2)
	v_ldexp_f32 v1, v1, v17
	v_dual_cndmask_b32 v11, 0, v0, vcc_lo :: v_dual_add_f32 v7, v7, v46
	s_delay_alu instid0(VALU_DEP_2) | instskip(NEXT) | instid1(TRANS32_DEP_1)
	v_cndmask_b32_e64 v1, 0, v1, s14
	v_ldexp_f32 v2, v2, v26
	v_dual_cndmask_b32 v26, 0, v4, s11 :: v_dual_cndmask_b32 v0, v30, v34, s2
	s_delay_alu instid0(VALU_DEP_4) | instskip(NEXT) | instid1(VALU_DEP_3)
	v_exp_f32_e32 v7, v7
	v_cndmask_b32_e64 v1, 0x7f800000, v1, s18
	s_delay_alu instid0(TRANS32_DEP_1) | instskip(SKIP_1) | instid1(VALU_DEP_2)
	v_ldexp_f32 v3, v7, v39
	v_cndmask_b32_e64 v2, 0, v2, s15
	v_dual_cndmask_b32 v7, 0, v6, s12 :: v_dual_cndmask_b32 v3, 0, v3, s16
	s_delay_alu instid0(VALU_DEP_2) | instskip(SKIP_2) | instid1(VALU_DEP_3)
	v_cndmask_b32_e64 v2, 0x7f800000, v2, s19
	v_dual_cndmask_b32 v17, 0, v1, s10 :: v_dual_cndmask_b32 v1, v31, v35, s2
	s_lshl_b32 s2, s22, 4
	v_cndmask_b32_e64 v3, 0x7f800000, v3, s20
	s_delay_alu instid0(VALU_DEP_3)
	v_cndmask_b32_e64 v5, 0, v2, s11
	v_cvt_pk_f16_f32 v2, v27, v11
	v_add_nc_u32_e32 v34, s2, v16
	v_dual_add_f32 v11, v11, v17 :: v_dual_add_nc_u32 v44, 0x2000, v43
	v_cndmask_b32_e64 v4, 0, v3, s12
	v_cvt_pk_f16_f32 v3, v28, v17
	v_cvt_pk_f16_f32 v6, v26, v5
	s_delay_alu instid0(VALU_DEP_4) | instskip(NEXT) | instid1(VALU_DEP_4)
	v_add_f32_e32 v5, v5, v11
	v_cvt_pk_f16_f32 v35, v7, v4
	ds_store_b32 v29, v2
	ds_store_b32 v36, v3
	;; [unrolled: 1-line block ×4, first 2 shown]
	flat_load_b128 v[0:3], v[0:1]
	v_ashrrev_i32_e32 v35, 31, v34
	v_lshl_or_b32 v6, v18, 8, v12
	s_clause 0x1
	scratch_store_b32 off, v13, off
	scratch_store_b96 off, v[8:10], off offset:4
	v_dual_add_f32 v119, v4, v5 :: v_dual_add_nc_u32 v72, 0x2800, v43
	v_lshl_add_u64 v[36:37], v[34:35], 2, s[26:27]
	v_add_nc_u32_e32 v34, s2, v34
	s_delay_alu instid0(VALU_DEP_2) | instskip(NEXT) | instid1(VALU_DEP_1)
	v_add_nc_u64_e32 v[36:37], v[36:37], v[12:13]
	v_dual_ashrrev_i32 v35, 31, v34 :: v_dual_cndmask_b32 v37, v31, v37, s3
	s_delay_alu instid0(VALU_DEP_2)
	v_cndmask_b32_e64 v36, v30, v36, s3
	s_wait_loadcnt_dscnt 0x0
	ds_store_b128 v6, v[0:3]
	flat_load_b128 v[0:3], v[36:37]
	s_wait_xcnt 0x0
	v_lshl_add_u64 v[36:37], v[34:35], 2, s[26:27]
	v_lshl_or_b32 v6, v20, 8, v12
	s_clause 0x1
	scratch_store_b32 off, v13, off
	scratch_store_b96 off, v[8:10], off offset:4
	v_add_nc_u32_e32 v34, s2, v34
	v_add_nc_u64_e32 v[36:37], v[36:37], v[12:13]
	s_delay_alu instid0(VALU_DEP_1) | instskip(NEXT) | instid1(VALU_DEP_2)
	v_dual_ashrrev_i32 v35, 31, v34 :: v_dual_cndmask_b32 v37, v31, v37, s4
	v_cndmask_b32_e64 v36, v30, v36, s4
	s_wait_loadcnt_dscnt 0x0
	ds_store_b128 v6, v[0:3]
	flat_load_b128 v[0:3], v[36:37]
	s_wait_xcnt 0x0
	v_lshl_add_u64 v[36:37], v[34:35], 2, s[26:27]
	v_lshl_or_b32 v6, v21, 8, v12
	s_clause 0x1
	scratch_store_b32 off, v13, off
	scratch_store_b96 off, v[8:10], off offset:4
	v_add_nc_u64_e32 v[36:37], v[36:37], v[12:13]
	s_delay_alu instid0(VALU_DEP_1)
	v_dual_cndmask_b32 v21, v31, v37, s5 :: v_dual_cndmask_b32 v20, v30, v36, s5
	s_wait_loadcnt_dscnt 0x0
	ds_store_b128 v6, v[0:3]
	flat_load_b128 v[0:3], v[20:21]
	s_wait_xcnt 0x0
	v_add_nc_u32_e32 v20, s2, v34
	v_lshl_or_b32 v6, v22, 8, v12
	s_clause 0x1
	scratch_store_b32 off, v13, off
	scratch_store_b96 off, v[8:10], off offset:4
	v_ashrrev_i32_e32 v21, 31, v20
	s_delay_alu instid0(VALU_DEP_1) | instskip(NEXT) | instid1(VALU_DEP_1)
	v_lshl_add_u64 v[34:35], v[20:21], 2, s[26:27]
	v_add_nc_u64_e32 v[34:35], v[34:35], v[12:13]
	s_delay_alu instid0(VALU_DEP_1) | instskip(SKIP_1) | instid1(VALU_DEP_1)
	v_dual_cndmask_b32 v35, v31, v35, s6 :: v_dual_cndmask_b32 v34, v30, v34, s6
	v_add_nc_u32_e32 v20, s2, v20
	v_ashrrev_i32_e32 v21, 31, v20
	s_wait_loadcnt_dscnt 0x0
	ds_store_b128 v6, v[0:3]
	flat_load_b128 v[0:3], v[34:35]
	s_wait_xcnt 0x0
	v_lshl_add_u64 v[34:35], v[20:21], 2, s[26:27]
	v_lshl_or_b32 v6, v23, 8, v12
	s_clause 0x1
	scratch_store_b32 off, v13, off
	scratch_store_b96 off, v[8:10], off offset:4
	v_add_nc_u32_e32 v20, s2, v20
	v_add_nc_u64_e32 v[34:35], v[34:35], v[12:13]
	s_delay_alu instid0(VALU_DEP_1) | instskip(NEXT) | instid1(VALU_DEP_2)
	v_dual_ashrrev_i32 v21, 31, v20 :: v_dual_cndmask_b32 v23, v31, v35, s7
	v_cndmask_b32_e64 v22, v30, v34, s7
	s_wait_loadcnt_dscnt 0x0
	ds_store_b128 v6, v[0:3]
	flat_load_b128 v[0:3], v[22:23]
	s_wait_xcnt 0x0
	v_lshl_add_u64 v[22:23], v[20:21], 2, s[26:27]
	v_lshl_or_b32 v6, v24, 8, v12
	s_clause 0x1
	scratch_store_b32 off, v13, off
	scratch_store_b96 off, v[8:10], off offset:4
	v_add_nc_u32_e32 v20, s2, v20
	v_add_nc_u64_e32 v[22:23], v[22:23], v[12:13]
	s_delay_alu instid0(VALU_DEP_1) | instskip(NEXT) | instid1(VALU_DEP_2)
	v_dual_ashrrev_i32 v21, 31, v20 :: v_dual_cndmask_b32 v23, v31, v23, s8
	v_cndmask_b32_e64 v22, v30, v22, s8
	s_delay_alu instid0(VALU_DEP_2) | instskip(NEXT) | instid1(VALU_DEP_1)
	v_lshl_add_u64 v[20:21], v[20:21], 2, s[26:27]
	v_add_nc_u64_e32 v[20:21], v[20:21], v[12:13]
	s_delay_alu instid0(VALU_DEP_1)
	v_dual_cndmask_b32 v21, v31, v21, s9 :: v_dual_cndmask_b32 v20, v30, v20, s9
	s_wait_loadcnt_dscnt 0x0
	ds_store_b128 v6, v[0:3]
	flat_load_b128 v[0:3], v[22:23]
	v_lshl_or_b32 v6, v25, 8, v12
	s_clause 0x1
	scratch_store_b32 off, v13, off
	scratch_store_b96 off, v[8:10], off offset:4
	s_wait_xcnt 0x0
	v_dual_sub_f32 v13, v116, v14 :: v_dual_sub_f32 v10, v117, v15
	v_mov_b64_e32 v[116:117], v[14:15]
	s_delay_alu instid0(VALU_DEP_2) | instskip(NEXT) | instid1(VALU_DEP_3)
	v_cmp_ngt_f32_e32 vcc_lo, 0xc2ce8ed0, v13
	v_mul_f32_e32 v9, 0x3fb8aa3b, v10
	v_cmp_nlt_f32_e64 s2, 0x42b17218, v13
	s_wait_loadcnt_dscnt 0x0
	ds_store_b128 v6, v[0:3]
	flat_load_b128 v[0:3], v[20:21]
	v_mul_f32_e32 v6, 0x3fb8aa3b, v13
	s_wait_xcnt 0x0
	v_rndne_f32_e32 v21, v9
	s_delay_alu instid0(VALU_DEP_2) | instskip(SKIP_1) | instid1(VALU_DEP_2)
	v_fma_f32 v8, 0x3fb8aa3b, v13, -v6
	v_rndne_f32_e32 v18, v6
	v_fmac_f32_e32 v8, 0x32a5705f, v13
	s_delay_alu instid0(VALU_DEP_2) | instskip(SKIP_3) | instid1(VALU_DEP_3)
	v_sub_f32_e32 v16, v6, v18
	v_fma_f32 v20, 0x3fb8aa3b, v10, -v9
	v_lshl_or_b32 v6, v19, 8, v12
	v_dual_sub_f32 v12, v9, v21 :: v_dual_add_nc_u32 v9, 0x1000, v43
	v_dual_add_f32 v19, v16, v8 :: v_dual_fmac_f32 v20, 0x32a5705f, v10
	v_cvt_i32_f32_e32 v18, v18
	v_cmp_ngt_f32_e64 s3, 0xc2ce8ed0, v10
	v_add_nc_u32_e32 v8, 0x800, v43
	s_delay_alu instid0(VALU_DEP_4) | instskip(SKIP_2) | instid1(VALU_DEP_2)
	v_exp_f32_e32 v19, v19
	v_add_f32_e32 v12, v12, v20
	v_cvt_i32_f32_e32 v20, v21
	v_exp_f32_e32 v12, v12
	s_delay_alu instid0(TRANS32_DEP_2) | instskip(NEXT) | instid1(VALU_DEP_1)
	v_ldexp_f32 v18, v19, v18
	v_cndmask_b32_e32 v13, 0, v18, vcc_lo
	s_delay_alu instid0(TRANS32_DEP_1) | instskip(SKIP_1) | instid1(VALU_DEP_2)
	v_ldexp_f32 v12, v12, v20
	v_cmp_nlt_f32_e32 vcc_lo, 0x42b17218, v10
	v_cndmask_b32_e64 v10, 0, v12, s3
	s_delay_alu instid0(VALU_DEP_4) | instskip(SKIP_1) | instid1(VALU_DEP_1)
	v_cndmask_b32_e64 v12, 0x7f800000, v13, s2
	v_dual_add_f32 v13, v27, v28 :: v_dual_add_nc_u32 v16, 0x1800, v43
	v_add_f32_e32 v13, v26, v13
	s_delay_alu instid0(VALU_DEP_1) | instskip(NEXT) | instid1(VALU_DEP_4)
	v_dual_add_f32 v118, v7, v13 :: v_dual_cndmask_b32 v113, 0x7f800000, v10
	v_cvt_f16_f32_e32 v10, v12
	v_add_nc_u32_e32 v140, 0x3000, v43
	s_delay_alu instid0(VALU_DEP_3) | instskip(NEXT) | instid1(VALU_DEP_4)
	v_dual_fmac_f32 v118, v114, v12 :: v_dual_add_nc_u32 v139, 0x4800, v43
	v_cvt_f16_f32_e32 v18, v113
	s_delay_alu instid0(VALU_DEP_4) | instskip(NEXT) | instid1(VALU_DEP_2)
	v_and_b32_e32 v10, 0xffff, v10
	v_and_b32_e32 v17, 0xffff, v18
	s_delay_alu instid0(VALU_DEP_2) | instskip(NEXT) | instid1(VALU_DEP_2)
	v_mul_u32_u24_e32 v50, 0x10001, v10
	v_mul_u32_u24_e32 v51, 0x10001, v17
	s_delay_alu instid0(VALU_DEP_2) | instskip(NEXT) | instid1(VALU_DEP_2)
	v_pk_mul_f16 v73, v33, v50
	v_pk_mul_f16 v74, v32, v51
	s_wait_loadcnt_dscnt 0x0
	ds_store_b128 v6, v[0:3]
	s_wait_storecnt_dscnt 0x0
	s_barrier_signal -1
	s_barrier_wait -1
	ds_load_b128 v[46:49], v126 offset:34816
	ds_load_2addr_b64 v[60:63], v43 offset1:32
	ds_load_2addr_b64 v[80:83], v43 offset0:64 offset1:96
	ds_load_2addr_b64 v[104:107], v43 offset0:128 offset1:160
	ds_load_b128 v[108:111], v126 offset:34832
	ds_load_2addr_b64 v[144:147], v43 offset0:192 offset1:224
	ds_load_2addr_b64 v[148:151], v8 offset1:32
	ds_load_2addr_b64 v[64:67], v8 offset0:64 offset1:96
	ds_load_2addr_b64 v[56:59], v8 offset0:128 offset1:160
	ds_load_b128 v[152:155], v126 offset:34848
	ds_load_b128 v[156:159], v126 offset:34864
	ds_load_2addr_b64 v[40:43], v8 offset0:192 offset1:224
	ds_load_2addr_b64 v[36:39], v9 offset1:32
	ds_load_2addr_b64 v[28:31], v9 offset0:64 offset1:96
	ds_load_2addr_b64 v[20:23], v9 offset0:128 offset1:160
	ds_load_b128 v[160:163], v126 offset:34880
	ds_load_b128 v[100:103], v126 offset:34896
	ds_load_2addr_b64 v[12:15], v9 offset0:192 offset1:224
	ds_load_2addr_b64 v[8:11], v16 offset1:32
	ds_load_2addr_b64 v[4:7], v16 offset0:64 offset1:96
	s_wait_dscnt 0x13
	v_and_b32_e32 v17, 0xffff, v46
	v_lshrrev_b32_e32 v18, 16, v46
	v_and_b32_e32 v76, 0xffff, v47
	v_lshrrev_b32_e32 v47, 16, v47
	ds_load_2addr_b64 v[0:3], v16 offset0:128 offset1:160
	ds_load_b128 v[96:99], v126 offset:34912
	ds_load_b128 v[52:55], v126 offset:34928
	v_mul_u32_u24_e32 v46, 0x10001, v17
	v_mul_u32_u24_e32 v75, 0x10001, v18
	;; [unrolled: 1-line block ×3, first 2 shown]
	ds_load_2addr_b64 v[88:91], v16 offset0:192 offset1:224
	ds_load_2addr_b64 v[32:35], v44 offset1:32
	ds_load_2addr_b64 v[24:27], v44 offset0:64 offset1:96
	ds_load_2addr_b64 v[16:19], v44 offset0:128 offset1:160
	ds_load_b128 v[92:95], v126 offset:34944
	s_wait_dscnt 0x1a
	v_pk_mul_f16 v68, v60, v46
	v_pk_mul_f16 v60, v60, v75
	v_pk_fma_f16 v46, v61, v46, v73
	ds_load_2addr_b64 v[76:79], v44 offset0:192 offset1:224
	v_pk_fma_f16 v44, v61, v75, v74
	v_pk_fma_f16 v50, v86, v50, v68
	;; [unrolled: 1-line block ×3, first 2 shown]
	v_and_b32_e32 v51, 0xffff, v48
	v_pk_fma_f16 v46, v63, v84, v46
	v_lshrrev_b32_e32 v48, 16, v48
	v_pk_fma_f16 v50, v62, v84, v50
	v_lshrrev_b32_e32 v75, 16, v49
	v_mul_u32_u24_e32 v47, 0x10001, v47
	v_mul_u32_u24_e32 v51, 0x10001, v51
	v_and_b32_e32 v49, 0xffff, v49
	v_mul_u32_u24_e32 v48, 0x10001, v48
	s_wait_dscnt 0x18
	v_lshrrev_b32_e32 v85, 16, v111
	v_pk_fma_f16 v73, v63, v47, v44
	v_pk_fma_f16 v74, v62, v47, v45
	;; [unrolled: 1-line block ×4, first 2 shown]
	v_mul_u32_u24_e32 v49, 0x10001, v49
	v_mul_u32_u24_e32 v51, 0x10001, v75
	v_pk_fma_f16 v73, v81, v48, v73
	v_pk_fma_f16 v48, v80, v48, v74
	v_dual_lshrrev_b32 v74, 16, v108 :: v_dual_lshrrev_b32 v81, 16, v109
	v_pk_fma_f16 v75, v83, v49, v84
	v_pk_fma_f16 v49, v82, v49, v50
	v_and_b32_e32 v50, 0xffff, v108
	v_pk_fma_f16 v73, v83, v51, v73
	v_pk_fma_f16 v80, v82, v51, v48
	v_and_b32_e32 v82, 0xffff, v109
	v_mul_u32_u24_e32 v74, 0x10001, v74
	v_mul_u32_u24_e32 v48, 0x10001, v50
	v_lshrrev_b32_e32 v83, 16, v110
	v_and_b32_e32 v84, 0xffff, v110
	v_mul_u32_u24_e32 v82, 0x10001, v82
	v_mul_u32_u24_e32 v81, 0x10001, v81
	v_pk_fma_f16 v75, v105, v48, v75
	v_pk_fma_f16 v87, v104, v48, v49
	;; [unrolled: 1-line block ×4, first 2 shown]
	v_and_b32_e32 v86, 0xffff, v111
	v_pk_fma_f16 v75, v107, v82, v75
	v_pk_fma_f16 v80, v106, v82, v87
	;; [unrolled: 1-line block ×4, first 2 shown]
	v_mul_u32_u24_e32 v81, 0x10001, v84
	v_mul_u32_u24_e32 v84, 0x10001, v83
	s_wait_dscnt 0x13
	v_dual_lshrrev_b32 v104, 16, v152 :: v_dual_lshrrev_b32 v105, 16, v153
	v_and_b32_e32 v87, 0xffff, v152
	v_pk_fma_f16 v75, v145, v81, v75
	v_pk_fma_f16 v111, v144, v81, v80
	v_mul_u32_u24_e32 v86, 0x10001, v86
	v_mul_u32_u24_e32 v85, 0x10001, v85
	v_pk_fma_f16 v73, v145, v84, v73
	v_pk_fma_f16 v74, v144, v84, v74
	v_and_b32_e32 v106, 0xffff, v153
	v_pk_fma_f16 v75, v147, v86, v75
	v_pk_fma_f16 v84, v146, v86, v111
	;; [unrolled: 1-line block ×4, first 2 shown]
	v_mul_u32_u24_e32 v85, 0x10001, v87
	v_mul_u32_u24_e32 v104, 0x10001, v104
	v_dual_lshrrev_b32 v107, 16, v154 :: v_dual_lshrrev_b32 v109, 16, v155
	v_and_b32_e32 v108, 0xffff, v154
	s_delay_alu instid0(VALU_DEP_4)
	v_pk_fma_f16 v75, v149, v85, v75
	v_pk_fma_f16 v153, v148, v85, v84
	v_mul_u32_u24_e32 v106, 0x10001, v106
	v_mul_u32_u24_e32 v105, 0x10001, v105
	v_pk_fma_f16 v73, v149, v104, v73
	v_pk_fma_f16 v74, v148, v104, v74
	v_and_b32_e32 v110, 0xffff, v155
	v_pk_fma_f16 v148, v151, v106, v75
	v_pk_fma_f16 v106, v150, v106, v153
	;; [unrolled: 1-line block ×4, first 2 shown]
	v_mul_u32_u24_e32 v108, 0x10001, v108
	v_mul_u32_u24_e32 v107, 0x10001, v107
	s_wait_dscnt 0x12
	v_dual_lshrrev_b32 v114, 16, v156 :: v_dual_lshrrev_b32 v143, 16, v157
	v_and_b32_e32 v111, 0xffff, v156
	v_pk_fma_f16 v148, v65, v108, v148
	v_pk_fma_f16 v106, v64, v108, v106
	v_mul_u32_u24_e32 v108, 0x10001, v110
	v_mul_u32_u24_e32 v109, 0x10001, v109
	v_pk_fma_f16 v65, v65, v107, v151
	v_pk_fma_f16 v64, v64, v107, v105
	v_and_b32_e32 v144, 0xffff, v157
	v_pk_fma_f16 v105, v67, v108, v148
	v_pk_fma_f16 v106, v66, v108, v106
	;; [unrolled: 1-line block ×4, first 2 shown]
	v_mul_u32_u24_e32 v109, 0x10001, v111
	v_mul_u32_u24_e32 v110, 0x10001, v114
	v_dual_lshrrev_b32 v145, 16, v158 :: v_dual_lshrrev_b32 v147, 16, v159
	v_and_b32_e32 v146, 0xffff, v158
	s_delay_alu instid0(VALU_DEP_4)
	v_pk_fma_f16 v105, v57, v109, v105
	v_pk_fma_f16 v106, v56, v109, v106
	v_mul_u32_u24_e32 v109, 0x10001, v144
	v_mul_u32_u24_e32 v111, 0x10001, v143
	v_pk_fma_f16 v57, v57, v110, v107
	v_pk_fma_f16 v56, v56, v110, v108
	v_and_b32_e32 v152, 0xffff, v159
	s_wait_dscnt 0xd
	v_dual_lshrrev_b32 v104, 16, v160 :: v_dual_lshrrev_b32 v150, 16, v161
	v_and_b32_e32 v149, 0xffff, v160
	v_pk_fma_f16 v105, v59, v109, v105
	v_pk_fma_f16 v106, v58, v109, v106
	v_pk_fma_f16 v107, v59, v111, v57
	v_pk_fma_f16 v108, v58, v111, v56
	s_wait_dscnt 0x7
	v_lshrrev_b32_e32 v144, 16, v98
	v_mul_u32_u24_e32 v109, 0x10001, v146
	v_lshrrev_b32_e32 v146, 16, v99
	v_and_b32_e32 v160, 0xffff, v99
	v_mul_u32_u24_e32 v99, 0x10001, v145
	v_mul_u32_u24_e32 v110, 0x10001, v147
	v_pk_fma_f16 v105, v41, v109, v105
	v_pk_fma_f16 v106, v40, v109, v106
	v_mul_u32_u24_e32 v109, 0x10001, v152
	v_pk_fma_f16 v41, v41, v99, v107
	v_pk_fma_f16 v40, v40, v99, v108
	v_and_b32_e32 v153, 0xffff, v161
	v_dual_lshrrev_b32 v154, 16, v162 :: v_dual_lshrrev_b32 v156, 16, v163
	v_pk_fma_f16 v99, v43, v109, v105
	v_pk_fma_f16 v105, v42, v109, v106
	;; [unrolled: 1-line block ×4, first 2 shown]
	v_mul_u32_u24_e32 v42, 0x10001, v149
	v_mul_u32_u24_e32 v43, 0x10001, v104
	v_and_b32_e32 v155, 0xffff, v162
	v_mul_u32_u24_e32 v104, 0x10001, v153
	v_and_b32_e32 v157, 0xffff, v163
	v_pk_fma_f16 v99, v37, v42, v99
	v_pk_fma_f16 v42, v36, v42, v105
	v_mul_u32_u24_e32 v105, 0x10001, v150
	v_pk_fma_f16 v37, v37, v43, v41
	v_pk_fma_f16 v36, v36, v43, v40
	v_pk_fma_f16 v40, v39, v104, v99
	v_pk_fma_f16 v41, v38, v104, v42
	v_dual_lshrrev_b32 v158, 16, v100 :: v_dual_lshrrev_b32 v148, 16, v101
	v_pk_fma_f16 v37, v39, v105, v37
	v_pk_fma_f16 v36, v38, v105, v36
	v_mul_u32_u24_e32 v38, 0x10001, v155
	v_mul_u32_u24_e32 v39, 0x10001, v154
	v_and_b32_e32 v100, 0xffff, v100
	v_mul_u32_u24_e32 v42, 0x10001, v156
	v_and_b32_e32 v101, 0xffff, v101
	v_pk_fma_f16 v40, v29, v38, v40
	v_pk_fma_f16 v38, v28, v38, v41
	v_mul_u32_u24_e32 v41, 0x10001, v157
	v_pk_fma_f16 v29, v29, v39, v37
	v_pk_fma_f16 v28, v28, v39, v36
	v_dual_lshrrev_b32 v151, 16, v102 :: v_dual_lshrrev_b32 v159, 16, v103
	s_delay_alu instid0(VALU_DEP_4)
	v_pk_fma_f16 v36, v31, v41, v40
	v_pk_fma_f16 v37, v30, v41, v38
	;; [unrolled: 1-line block ×4, first 2 shown]
	v_mul_u32_u24_e32 v30, 0x10001, v100
	v_mul_u32_u24_e32 v31, 0x10001, v158
	v_and_b32_e32 v102, 0xffff, v102
	v_mul_u32_u24_e32 v38, 0x10001, v101
	v_and_b32_e32 v103, 0xffff, v103
	v_pk_fma_f16 v36, v21, v30, v36
	v_pk_fma_f16 v30, v20, v30, v37
	v_mul_u32_u24_e32 v37, 0x10001, v148
	v_pk_fma_f16 v21, v21, v31, v29
	v_pk_fma_f16 v20, v20, v31, v28
	;; [unrolled: 1-line block ×4, first 2 shown]
	v_mul_u32_u24_e32 v30, 0x10001, v102
	v_pk_fma_f16 v21, v23, v37, v21
	v_pk_fma_f16 v20, v22, v37, v20
	v_mul_u32_u24_e32 v22, 0x10001, v151
	v_dual_lshrrev_b32 v114, 16, v96 :: v_dual_lshrrev_b32 v143, 16, v97
	v_and_b32_e32 v96, 0xffff, v96
	v_mul_u32_u24_e32 v23, 0x10001, v103
	v_pk_fma_f16 v28, v13, v30, v28
	v_pk_fma_f16 v29, v12, v30, v29
	v_mul_u32_u24_e32 v30, 0x10001, v159
	v_pk_fma_f16 v13, v13, v22, v21
	v_pk_fma_f16 v12, v12, v22, v20
	v_and_b32_e32 v97, 0xffff, v97
	v_pk_fma_f16 v20, v15, v23, v28
	v_pk_fma_f16 v21, v14, v23, v29
	v_mul_u32_u24_e32 v22, 0x10001, v96
	v_pk_fma_f16 v13, v15, v30, v13
	v_pk_fma_f16 v12, v14, v30, v12
	v_mul_u32_u24_e32 v14, 0x10001, v114
	v_and_b32_e32 v98, 0xffff, v98
	v_mul_u32_u24_e32 v15, 0x10001, v97
	v_pk_fma_f16 v20, v9, v22, v20
	v_pk_fma_f16 v21, v8, v22, v21
	v_mul_u32_u24_e32 v22, 0x10001, v143
	v_pk_fma_f16 v9, v9, v14, v13
	v_pk_fma_f16 v8, v8, v14, v12
	;; [unrolled: 1-line block ×4, first 2 shown]
	v_mul_u32_u24_e32 v14, 0x10001, v98
	v_mul_u32_u24_e32 v15, 0x10001, v144
	v_pk_fma_f16 v9, v11, v22, v9
	v_pk_fma_f16 v8, v10, v22, v8
	ds_load_b128 v[68:71], v126 offset:34960
	ds_load_b128 v[80:83], v126 offset:34976
	s_wait_dscnt 0x8
	v_dual_lshrrev_b32 v145, 16, v52 :: v_dual_lshrrev_b32 v152, 16, v53
	v_and_b32_e32 v147, 0xffff, v52
	v_mul_u32_u24_e32 v10, 0x10001, v160
	v_mul_u32_u24_e32 v11, 0x10001, v146
	v_pk_fma_f16 v12, v5, v14, v12
	v_pk_fma_f16 v5, v5, v15, v9
	v_pk_fma_f16 v9, v4, v14, v13
	v_pk_fma_f16 v4, v4, v15, v8
	v_and_b32_e32 v161, 0xffff, v53
	s_wait_dscnt 0x3
	v_dual_lshrrev_b32 v165, 16, v92 :: v_dual_lshrrev_b32 v153, 16, v93
	v_and_b32_e32 v150, 0xffff, v92
	v_and_b32_e32 v166, 0xffff, v93
	v_mul_u32_u24_e32 v8, 0x10001, v147
	v_mul_u32_u24_e32 v92, 0x10001, v145
	v_pk_fma_f16 v93, v7, v10, v12
	v_pk_fma_f16 v5, v7, v11, v5
	;; [unrolled: 1-line block ×4, first 2 shown]
	v_dual_lshrrev_b32 v162, 16, v54 :: v_dual_lshrrev_b32 v149, 16, v55
	v_and_b32_e32 v163, 0xffff, v54
	v_dual_lshrrev_b32 v167, 16, v94 :: v_dual_lshrrev_b32 v155, 16, v95
	v_and_b32_e32 v168, 0xffff, v94
	v_mul_u32_u24_e32 v6, 0x10001, v161
	v_mul_u32_u24_e32 v94, 0x10001, v152
	v_pk_fma_f16 v93, v1, v8, v93
	v_pk_fma_f16 v1, v1, v92, v5
	;; [unrolled: 1-line block ×4, first 2 shown]
	v_and_b32_e32 v164, 0xffff, v55
	v_and_b32_e32 v169, 0xffff, v95
	v_mul_u32_u24_e32 v92, 0x10001, v163
	v_mul_u32_u24_e32 v95, 0x10001, v162
	v_pk_fma_f16 v93, v3, v6, v93
	v_pk_fma_f16 v1, v3, v94, v1
	;; [unrolled: 1-line block ×4, first 2 shown]
	s_wait_dscnt 0x1
	v_dual_lshrrev_b32 v154, 16, v68 :: v_dual_lshrrev_b32 v157, 16, v69
	v_and_b32_e32 v156, 0xffff, v68
	v_and_b32_e32 v170, 0xffff, v69
	v_dual_lshrrev_b32 v171, 16, v70 :: v_dual_lshrrev_b32 v173, 16, v71
	v_and_b32_e32 v172, 0xffff, v70
	v_and_b32_e32 v174, 0xffff, v71
	v_mul_u32_u24_e32 v2, 0x10001, v164
	v_mul_u32_u24_e32 v114, 0x10001, v149
	v_pk_fma_f16 v1, v89, v95, v1
	v_pk_fma_f16 v3, v88, v92, v3
	;; [unrolled: 1-line block ×3, first 2 shown]
	v_fmac_f32_e32 v119, v115, v113
	ds_load_2addr_b64 v[64:67], v140 offset1:32
	ds_load_2addr_b64 v[56:59], v140 offset0:64 offset1:96
	ds_load_2addr_b64 v[52:55], v140 offset0:128 offset1:160
	;; [unrolled: 1-line block ×3, first 2 shown]
	v_pk_fma_f16 v140, v89, v92, v93
	ds_load_2addr_b64 v[40:43], v142 offset1:32
	ds_load_2addr_b64 v[36:39], v142 offset0:64 offset1:96
	ds_load_2addr_b64 v[28:31], v142 offset0:128 offset1:160
	;; [unrolled: 1-line block ×3, first 2 shown]
	v_mul_u32_u24_e32 v142, 0x10001, v150
	v_pk_fma_f16 v140, v91, v2, v140
	v_pk_fma_f16 v143, v91, v114, v1
	;; [unrolled: 1-line block ×4, first 2 shown]
	v_mul_u32_u24_e32 v144, 0x10001, v165
	ds_load_2addr_b64 v[12:15], v141 offset1:32
	ds_load_2addr_b64 v[8:11], v141 offset0:64 offset1:96
	ds_load_2addr_b64 v[4:7], v141 offset0:128 offset1:160
	v_pk_fma_f16 v140, v33, v142, v140
	v_pk_fma_f16 v142, v32, v142, v1
	ds_load_2addr_b64 v[0:3], v141 offset0:192 offset1:224
	v_mul_u32_u24_e32 v141, 0x10001, v166
	v_mul_u32_u24_e32 v145, 0x10001, v153
	v_pk_fma_f16 v33, v33, v144, v143
	v_pk_fma_f16 v32, v32, v144, v114
	s_wait_dscnt 0xc
	v_lshrrev_b32_e32 v146, 16, v83
	v_pk_fma_f16 v140, v35, v141, v140
	v_pk_fma_f16 v141, v34, v141, v142
	;; [unrolled: 1-line block ×4, first 2 shown]
	v_lshrrev_b32_e32 v145, 16, v82
	v_mul_u32_u24_e32 v32, 0x10001, v168
	v_and_b32_e32 v147, 0xffff, v83
	v_mul_u32_u24_e32 v83, 0x10001, v167
	v_mul_u32_u24_e32 v148, 0x10001, v169
	;; [unrolled: 1-line block ×3, first 2 shown]
	v_pk_fma_f16 v140, v25, v32, v140
	v_pk_fma_f16 v141, v24, v32, v141
	;; [unrolled: 1-line block ×4, first 2 shown]
	ds_load_b128 v[104:107], v126 offset:35024
	ds_load_b128 v[100:103], v126 offset:35040
	v_pk_fma_f16 v83, v27, v148, v140
	v_pk_fma_f16 v140, v26, v148, v141
	;; [unrolled: 1-line block ×4, first 2 shown]
	v_mul_u32_u24_e32 v24, 0x10001, v156
	v_mul_u32_u24_e32 v151, 0x10001, v154
	ds_load_2addr_b64 v[60:63], v72 offset1:32
	v_mul_u32_u24_e32 v152, 0x10001, v170
	v_mul_u32_u24_e32 v153, 0x10001, v157
	v_pk_fma_f16 v83, v17, v24, v83
	v_pk_fma_f16 v140, v16, v24, v140
	;; [unrolled: 1-line block ×4, first 2 shown]
	v_mul_u32_u24_e32 v155, 0x10001, v171
	v_pk_fma_f16 v83, v19, v152, v83
	v_pk_fma_f16 v140, v18, v152, v140
	;; [unrolled: 1-line block ×4, first 2 shown]
	v_mul_u32_u24_e32 v16, 0x10001, v172
	ds_load_2addr_b64 v[44:47], v72 offset0:64 offset1:96
	ds_load_b128 v[84:87], v126 offset:34992
	ds_load_b128 v[108:111], v126 offset:35008
	v_dual_lshrrev_b32 v114, 16, v80 :: v_dual_lshrrev_b32 v144, 16, v81
	v_and_b32_e32 v80, 0xffff, v80
	v_pk_fma_f16 v83, v77, v16, v83
	v_pk_fma_f16 v140, v76, v16, v140
	v_mul_u32_u24_e32 v156, 0x10001, v174
	v_mul_u32_u24_e32 v157, 0x10001, v173
	v_pk_fma_f16 v77, v77, v155, v143
	v_pk_fma_f16 v76, v76, v155, v151
	ds_load_b128 v[96:99], v126 offset:35056
	ds_load_b128 v[92:95], v126 offset:35072
	v_and_b32_e32 v81, 0xffff, v81
	s_wait_dscnt 0x7
	v_lshrrev_b32_e32 v151, 16, v104
	v_pk_fma_f16 v83, v79, v156, v83
	v_pk_fma_f16 v140, v78, v156, v140
	v_and_b32_e32 v155, 0xffff, v104
	v_pk_fma_f16 v104, v79, v157, v77
	v_pk_fma_f16 v143, v78, v157, v76
	v_mul_u32_u24_e32 v76, 0x10001, v80
	v_mul_u32_u24_e32 v80, 0x10001, v114
	ds_load_2addr_b64 v[48:51], v72 offset0:128 offset1:160
	v_and_b32_e32 v82, 0xffff, v82
	v_lshrrev_b32_e32 v156, 16, v105
	v_and_b32_e32 v157, 0xffff, v105
	s_wait_dscnt 0x6
	v_pk_fma_f16 v83, v61, v76, v83
	v_pk_fma_f16 v105, v60, v76, v140
	v_mul_u32_u24_e32 v81, 0x10001, v81
	v_mul_u32_u24_e32 v114, 0x10001, v144
	v_pk_fma_f16 v61, v61, v80, v104
	v_pk_fma_f16 v60, v60, v80, v143
	ds_load_2addr_b64 v[72:75], v72 offset0:192 offset1:224
	v_pk_fma_f16 v80, v63, v81, v83
	v_pk_fma_f16 v81, v62, v81, v105
	;; [unrolled: 1-line block ×4, first 2 shown]
	v_mul_u32_u24_e32 v62, 0x10001, v82
	v_mul_u32_u24_e32 v63, 0x10001, v145
	s_wait_dscnt 0x5
	v_dual_lshrrev_b32 v142, 16, v84 :: v_dual_lshrrev_b32 v148, 16, v85
	v_and_b32_e32 v84, 0xffff, v84
	v_dual_lshrrev_b32 v160, 16, v100 :: v_dual_lshrrev_b32 v162, 16, v101
	v_and_b32_e32 v161, 0xffff, v100
	v_and_b32_e32 v163, 0xffff, v101
	v_dual_lshrrev_b32 v164, 16, v102 :: v_dual_lshrrev_b32 v166, 16, v103
	v_and_b32_e32 v165, 0xffff, v102
	v_pk_fma_f16 v100, v45, v62, v80
	v_pk_fma_f16 v62, v44, v62, v81
	v_mul_u32_u24_e32 v101, 0x10001, v147
	v_mul_u32_u24_e32 v102, 0x10001, v146
	v_pk_fma_f16 v45, v45, v63, v61
	v_pk_fma_f16 v44, v44, v63, v60
	v_and_b32_e32 v85, 0xffff, v85
	s_wait_dscnt 0x3
	v_dual_lshrrev_b32 v145, 16, v96 :: v_dual_lshrrev_b32 v169, 16, v97
	v_pk_fma_f16 v60, v47, v101, v100
	v_pk_fma_f16 v61, v46, v101, v62
	v_and_b32_e32 v168, 0xffff, v96
	v_pk_fma_f16 v62, v47, v102, v45
	v_pk_fma_f16 v63, v46, v102, v44
	v_mul_u32_u24_e32 v84, 0x10001, v84
	v_mul_u32_u24_e32 v96, 0x10001, v142
	v_dual_lshrrev_b32 v149, 16, v86 :: v_dual_lshrrev_b32 v150, 16, v87
	v_and_b32_e32 v86, 0xffff, v86
	s_wait_dscnt 0x1
	v_pk_fma_f16 v60, v49, v84, v60
	v_pk_fma_f16 v61, v48, v84, v61
	v_mul_u32_u24_e32 v84, 0x10001, v85
	v_mul_u32_u24_e32 v85, 0x10001, v148
	v_pk_fma_f16 v49, v49, v96, v62
	v_pk_fma_f16 v48, v48, v96, v63
	ds_load_b128 v[88:91], v126 offset:35088
	ds_load_b128 v[76:79], v126 offset:35104
	v_and_b32_e32 v87, 0xffff, v87
	v_pk_fma_f16 v60, v51, v84, v60
	v_pk_fma_f16 v61, v50, v84, v61
	;; [unrolled: 1-line block ×4, first 2 shown]
	v_mul_u32_u24_e32 v84, 0x10001, v86
	v_mul_u32_u24_e32 v85, 0x10001, v149
	v_dual_lshrrev_b32 v141, 16, v108 :: v_dual_lshrrev_b32 v152, 16, v109
	v_and_b32_e32 v108, 0xffff, v108
	s_wait_dscnt 0x2
	v_pk_fma_f16 v60, v73, v84, v60
	v_pk_fma_f16 v61, v72, v84, v61
	v_mul_u32_u24_e32 v84, 0x10001, v87
	v_mul_u32_u24_e32 v86, 0x10001, v150
	v_pk_fma_f16 v62, v73, v85, v62
	v_pk_fma_f16 v63, v72, v85, v63
	v_and_b32_e32 v109, 0xffff, v109
	v_pk_fma_f16 v72, v75, v84, v60
	v_pk_fma_f16 v73, v74, v84, v61
	;; [unrolled: 1-line block ×4, first 2 shown]
	v_mul_u32_u24_e32 v84, 0x10001, v108
	v_mul_u32_u24_e32 v85, 0x10001, v141
	v_dual_lshrrev_b32 v153, 16, v110 :: v_dual_lshrrev_b32 v154, 16, v111
	v_and_b32_e32 v110, 0xffff, v110
	s_delay_alu instid0(VALU_DEP_4)
	v_pk_fma_f16 v72, v65, v84, v72
	v_pk_fma_f16 v73, v64, v84, v73
	v_mul_u32_u24_e32 v84, 0x10001, v109
	v_mul_u32_u24_e32 v86, 0x10001, v152
	v_pk_fma_f16 v65, v65, v85, v75
	v_pk_fma_f16 v64, v64, v85, v74
	v_and_b32_e32 v111, 0xffff, v111
	ds_load_b128 v[80:83], v126 offset:35120
	s_wait_dscnt 0x1
	v_dual_lshrrev_b32 v142, 16, v76 :: v_dual_lshrrev_b32 v143, 16, v77
	v_and_b32_e32 v104, 0xffff, v76
	v_pk_fma_f16 v72, v67, v84, v72
	v_pk_fma_f16 v73, v66, v84, v73
	;; [unrolled: 1-line block ×4, first 2 shown]
	v_and_b32_e32 v144, 0xffff, v77
	v_mul_u32_u24_e32 v76, 0x10001, v110
	ds_load_b128 v[64:67], v126 offset:35136
	v_mul_u32_u24_e32 v77, 0x10001, v153
	v_lshrrev_b32_e32 v149, 16, v78
	v_and_b32_e32 v141, 0xffff, v78
	v_pk_fma_f16 v72, v57, v76, v72
	v_pk_fma_f16 v73, v56, v76, v73
	v_mul_u32_u24_e32 v76, 0x10001, v111
	v_mul_u32_u24_e32 v78, 0x10001, v154
	v_pk_fma_f16 v57, v57, v77, v74
	v_pk_fma_f16 v56, v56, v77, v75
	v_mul_u32_u24_e32 v77, 0x10001, v151
	v_pk_fma_f16 v72, v59, v76, v72
	v_pk_fma_f16 v73, v58, v76, v73
	;; [unrolled: 1-line block ×4, first 2 shown]
	v_mul_u32_u24_e32 v76, 0x10001, v155
	ds_load_b128 v[56:59], v126 offset:35152
	v_dual_lshrrev_b32 v158, 16, v106 :: v_dual_lshrrev_b32 v159, 16, v107
	v_and_b32_e32 v106, 0xffff, v106
	v_pk_fma_f16 v72, v53, v76, v72
	v_pk_fma_f16 v73, v52, v76, v73
	v_mul_u32_u24_e32 v76, 0x10001, v157
	v_mul_u32_u24_e32 v78, 0x10001, v156
	v_pk_fma_f16 v53, v53, v77, v74
	v_pk_fma_f16 v52, v52, v77, v75
	v_and_b32_e32 v107, 0xffff, v107
	v_and_b32_e32 v167, 0xffff, v103
	v_dual_lshrrev_b32 v171, 16, v98 :: v_dual_lshrrev_b32 v173, 16, v99
	v_and_b32_e32 v174, 0xffff, v99
	v_dual_lshrrev_b32 v175, 16, v92 :: v_dual_lshrrev_b32 v148, 16, v93
	;; [unrolled: 2-line block ×5, first 2 shown]
	v_and_b32_e32 v94, 0xffff, v90
	v_and_b32_e32 v103, 0xffff, v91
	s_wait_dscnt 0x1
	v_dual_lshrrev_b32 v100, 16, v64 :: v_dual_lshrrev_b32 v91, 16, v65
	v_and_b32_e32 v102, 0xffff, v64
	v_pk_fma_f16 v64, v55, v76, v72
	v_pk_fma_f16 v72, v54, v76, v73
	v_pk_fma_f16 v73, v55, v78, v53
	v_pk_fma_f16 v74, v54, v78, v52
	v_and_b32_e32 v93, 0xffff, v65
	v_dual_lshrrev_b32 v88, 16, v66 :: v_dual_lshrrev_b32 v87, 16, v67
	v_and_b32_e32 v90, 0xffff, v66
	v_mul_u32_u24_e32 v65, 0x10001, v106
	ds_load_b128 v[52:55], v126 offset:35168
	v_mul_u32_u24_e32 v66, 0x10001, v158
	v_and_b32_e32 v182, 0xffff, v89
	v_and_b32_e32 v89, 0xffff, v67
	v_pk_fma_f16 v64, v69, v65, v64
	v_pk_fma_f16 v65, v68, v65, v72
	v_mul_u32_u24_e32 v67, 0x10001, v107
	v_mul_u32_u24_e32 v72, 0x10001, v159
	v_pk_fma_f16 v69, v69, v66, v73
	v_pk_fma_f16 v66, v68, v66, v74
	v_and_b32_e32 v170, 0xffff, v97
	v_and_b32_e32 v172, 0xffff, v98
	v_dual_lshrrev_b32 v105, 16, v82 :: v_dual_lshrrev_b32 v97, 16, v83
	v_and_b32_e32 v98, 0xffff, v83
	s_wait_dscnt 0x1
	v_dual_lshrrev_b32 v84, 16, v56 :: v_dual_lshrrev_b32 v85, 16, v57
	v_and_b32_e32 v96, 0xffff, v56
	v_pk_fma_f16 v56, v71, v67, v64
	v_pk_fma_f16 v64, v70, v67, v65
	;; [unrolled: 1-line block ×4, first 2 shown]
	v_and_b32_e32 v86, 0xffff, v57
	v_dual_lshrrev_b32 v78, 16, v58 :: v_dual_lshrrev_b32 v76, 16, v59
	v_and_b32_e32 v83, 0xffff, v58
	v_mul_u32_u24_e32 v57, 0x10001, v161
	v_mul_u32_u24_e32 v58, 0x10001, v160
	ds_load_2addr_b64 v[32:35], v139 offset1:32
	ds_load_2addr_b64 v[24:27], v139 offset0:64 offset1:96
	ds_load_2addr_b64 v[16:19], v139 offset0:128 offset1:160
	;; [unrolled: 1-line block ×3, first 2 shown]
	v_lshrrev_b32_e32 v139, 16, v79
	v_and_b32_e32 v140, 0xffff, v79
	v_and_b32_e32 v79, 0xffff, v59
	v_pk_fma_f16 v56, v41, v57, v56
	v_pk_fma_f16 v57, v40, v57, v64
	v_mul_u32_u24_e32 v59, 0x10001, v163
	v_mul_u32_u24_e32 v64, 0x10001, v162
	v_pk_fma_f16 v41, v41, v58, v65
	v_pk_fma_f16 v40, v40, v58, v66
	v_and_b32_e32 v109, 0xffff, v82
	s_wait_dscnt 0x4
	v_lshrrev_b32_e32 v77, 16, v52
	v_and_b32_e32 v82, 0xffff, v52
	v_pk_fma_f16 v52, v43, v59, v56
	v_pk_fma_f16 v56, v42, v59, v57
	;; [unrolled: 1-line block ×4, first 2 shown]
	v_mul_u32_u24_e32 v42, 0x10001, v165
	v_mul_u32_u24_e32 v43, 0x10001, v164
	v_dual_lshrrev_b32 v146, 16, v80 :: v_dual_lshrrev_b32 v111, 16, v81
	v_and_b32_e32 v147, 0xffff, v80
	v_and_b32_e32 v114, 0xffff, v81
	v_lshrrev_b32_e32 v80, 16, v53
	v_and_b32_e32 v81, 0xffff, v53
	v_mul_u32_u24_e32 v53, 0x10001, v167
	v_pk_fma_f16 v52, v37, v42, v52
	v_pk_fma_f16 v42, v36, v42, v56
	v_mul_u32_u24_e32 v56, 0x10001, v166
	v_pk_fma_f16 v37, v37, v43, v41
	v_pk_fma_f16 v36, v36, v43, v40
	;; [unrolled: 1-line block ×4, first 2 shown]
	v_mul_u32_u24_e32 v59, 0x10001, v168
	v_pk_fma_f16 v37, v39, v56, v37
	v_pk_fma_f16 v36, v38, v56, v36
	v_mul_u32_u24_e32 v38, 0x10001, v145
	v_mul_u32_u24_e32 v39, 0x10001, v170
	v_pk_fma_f16 v56, v29, v59, v57
	v_pk_fma_f16 v57, v28, v59, v58
	v_mul_u32_u24_e32 v58, 0x10001, v169
	v_pk_fma_f16 v29, v29, v38, v37
	v_pk_fma_f16 v28, v28, v38, v36
	;; [unrolled: 1-line block ×4, first 2 shown]
	v_mul_u32_u24_e32 v38, 0x10001, v172
	v_pk_fma_f16 v29, v31, v58, v29
	v_pk_fma_f16 v28, v30, v58, v28
	v_mul_u32_u24_e32 v30, 0x10001, v171
	v_and_b32_e32 v92, 0xffff, v92
	v_mul_u32_u24_e32 v31, 0x10001, v174
	v_pk_fma_f16 v36, v21, v38, v36
	v_pk_fma_f16 v37, v20, v38, v37
	v_mul_u32_u24_e32 v38, 0x10001, v173
	v_pk_fma_f16 v21, v21, v30, v29
	v_pk_fma_f16 v20, v20, v30, v28
	;; [unrolled: 1-line block ×4, first 2 shown]
	v_mul_u32_u24_e32 v30, 0x10001, v92
	v_mul_u32_u24_e32 v31, 0x10001, v175
	v_pk_fma_f16 v21, v23, v38, v21
	v_pk_fma_f16 v20, v22, v38, v20
	v_mul_u32_u24_e32 v22, 0x10001, v176
	v_mul_u32_u24_e32 v23, 0x10001, v148
	v_pk_fma_f16 v28, v13, v30, v28
	v_pk_fma_f16 v13, v13, v31, v21
	;; [unrolled: 1-line block ×4, first 2 shown]
	v_and_b32_e32 v95, 0xffff, v95
	v_mul_u32_u24_e32 v20, 0x10001, v178
	v_mul_u32_u24_e32 v92, 0x10001, v177
	v_pk_fma_f16 v106, v15, v22, v28
	v_pk_fma_f16 v13, v15, v23, v13
	;; [unrolled: 1-line block ×4, first 2 shown]
	v_mul_u32_u24_e32 v14, 0x10001, v95
	v_mul_u32_u24_e32 v95, 0x10001, v179
	v_pk_fma_f16 v106, v9, v20, v106
	v_pk_fma_f16 v9, v9, v92, v13
	;; [unrolled: 1-line block ×4, first 2 shown]
	v_mul_u32_u24_e32 v92, 0x10001, v150
	v_pk_fma_f16 v106, v11, v14, v106
	v_pk_fma_f16 v107, v11, v95, v9
	v_pk_fma_f16 v9, v10, v14, v13
	v_pk_fma_f16 v95, v10, v95, v8
	v_mul_u32_u24_e32 v108, 0x10001, v180
	v_dual_lshrrev_b32 v74, 16, v54 :: v_dual_lshrrev_b32 v72, 16, v55
	v_and_b32_e32 v75, 0xffff, v54
	v_and_b32_e32 v73, 0xffff, v55
	ds_load_2addr_b64 v[52:55], v136 offset1:32
	ds_load_2addr_b64 v[40:43], v136 offset0:64 offset1:96
	ds_load_2addr_b64 v[56:59], v136 offset0:128 offset1:160
	;; [unrolled: 1-line block ×3, first 2 shown]
	v_pk_fma_f16 v106, v5, v92, v106
	v_pk_fma_f16 v92, v4, v92, v9
	v_mul_u32_u24_e32 v110, 0x10001, v182
	v_mul_u32_u24_e32 v136, 0x10001, v181
	v_pk_fma_f16 v5, v5, v108, v107
	v_pk_fma_f16 v4, v4, v108, v95
	v_mul_u32_u24_e32 v101, 0x10001, v101
	v_pk_fma_f16 v106, v7, v110, v106
	v_pk_fma_f16 v107, v6, v110, v92
	;; [unrolled: 1-line block ×4, first 2 shown]
	v_mul_u32_u24_e32 v4, 0x10001, v94
	v_mul_u32_u24_e32 v103, 0x10001, v103
	;; [unrolled: 1-line block ×3, first 2 shown]
	ds_load_2addr_b64 v[48:51], v138 offset1:32
	ds_load_2addr_b64 v[60:63], v138 offset0:64 offset1:96
	v_pk_fma_f16 v106, v1, v4, v106
	v_pk_fma_f16 v107, v0, v4, v107
	;; [unrolled: 1-line block ×4, first 2 shown]
	ds_load_2addr_b64 v[68:71], v138 offset0:128 offset1:160
	ds_load_2addr_b64 v[64:67], v138 offset0:192 offset1:224
	ds_load_b128 v[158:161], v126 offset:35184
	ds_load_b128 v[162:165], v126 offset:35200
	ds_load_2addr_b64 v[28:31], v137 offset1:32
	ds_load_2addr_b64 v[20:23], v137 offset0:64 offset1:96
	ds_load_2addr_b64 v[12:15], v137 offset0:128 offset1:160
	;; [unrolled: 1-line block ×3, first 2 shown]
	v_pk_fma_f16 v137, v3, v103, v106
	v_pk_fma_f16 v138, v2, v103, v107
	;; [unrolled: 1-line block ×4, first 2 shown]
	v_mul_u32_u24_e32 v0, 0x10001, v104
	ds_load_b128 v[166:169], v126 offset:35216
	v_mul_u32_u24_e32 v142, 0x10001, v142
	v_mul_u32_u24_e32 v144, 0x10001, v144
	;; [unrolled: 1-line block ×3, first 2 shown]
	s_wait_dscnt 0x12
	v_pk_fma_f16 v150, v33, v0, v137
	v_pk_fma_f16 v138, v32, v0, v138
	ds_load_b128 v[0:3], v126 offset:35232
	v_pk_fma_f16 v32, v32, v142, v136
	v_pk_fma_f16 v33, v33, v142, v145
	;; [unrolled: 1-line block ×4, first 2 shown]
	s_wait_dscnt 0x7
	v_dual_lshrrev_b32 v153, 16, v158 :: v_dual_lshrrev_b32 v154, 16, v159
	v_pk_fma_f16 v155, v34, v143, v32
	v_mul_u32_u24_e32 v32, 0x10001, v141
	v_and_b32_e32 v157, 0xffff, v158
	v_pk_fma_f16 v152, v35, v143, v33
	v_mul_u32_u24_e32 v149, 0x10001, v149
	v_mul_u32_u24_e32 v140, 0x10001, v140
	v_pk_fma_f16 v150, v25, v32, v150
	v_pk_fma_f16 v158, v24, v32, v151
	ds_load_b128 v[32:35], v126 offset:35248
	v_and_b32_e32 v156, 0xffff, v159
	v_mul_u32_u24_e32 v139, 0x10001, v139
	v_pk_fma_f16 v25, v25, v149, v152
	v_pk_fma_f16 v24, v24, v149, v155
	s_wait_dscnt 0x1
	v_lshrrev_b32_e32 v151, 16, v0
	v_pk_fma_f16 v159, v27, v140, v150
	v_pk_fma_f16 v158, v26, v140, v158
	v_and_b32_e32 v155, 0xffff, v0
	v_mul_u32_u24_e32 v0, 0x10001, v147
	v_pk_fma_f16 v25, v27, v139, v25
	v_pk_fma_f16 v24, v26, v139, v24
	v_lshrrev_b32_e32 v150, 16, v1
	v_and_b32_e32 v152, 0xffff, v1
	v_dual_lshrrev_b32 v149, 16, v2 :: v_dual_lshrrev_b32 v139, 16, v3
	v_and_b32_e32 v147, 0xffff, v2
	v_and_b32_e32 v140, 0xffff, v3
	v_mul_u32_u24_e32 v26, 0x10001, v146
	v_pk_fma_f16 v27, v17, v0, v159
	v_pk_fma_f16 v146, v16, v0, v158
	ds_load_b128 v[0:3], v126 offset:35264
	v_mul_u32_u24_e32 v114, 0x10001, v114
	v_mul_u32_u24_e32 v111, 0x10001, v111
	v_pk_fma_f16 v17, v17, v26, v25
	v_pk_fma_f16 v16, v16, v26, v24
	v_dual_lshrrev_b32 v99, 16, v162 :: v_dual_lshrrev_b32 v103, 16, v163
	v_and_b32_e32 v101, 0xffff, v162
	s_wait_dscnt 0x1
	v_dual_lshrrev_b32 v159, 16, v32 :: v_dual_lshrrev_b32 v158, 16, v33
	v_pk_fma_f16 v24, v19, v114, v27
	v_pk_fma_f16 v25, v18, v114, v146
	v_and_b32_e32 v162, 0xffff, v32
	v_pk_fma_f16 v26, v19, v111, v17
	v_pk_fma_f16 v27, v18, v111, v16
	v_mul_u32_u24_e32 v16, 0x10001, v109
	v_mul_u32_u24_e32 v32, 0x10001, v105
	v_dual_lshrrev_b32 v92, 16, v160 :: v_dual_lshrrev_b32 v94, 16, v161
	v_and_b32_e32 v148, 0xffff, v160
	v_and_b32_e32 v160, 0xffff, v33
	v_dual_lshrrev_b32 v114, 16, v34 :: v_dual_lshrrev_b32 v109, 16, v35
	v_and_b32_e32 v146, 0xffff, v34
	v_pk_fma_f16 v24, v45, v16, v24
	v_pk_fma_f16 v25, v44, v16, v25
	v_mul_u32_u24_e32 v33, 0x10001, v98
	v_mul_u32_u24_e32 v34, 0x10001, v97
	v_pk_fma_f16 v26, v45, v32, v26
	v_pk_fma_f16 v27, v44, v32, v27
	v_and_b32_e32 v107, 0xffff, v163
	v_dual_lshrrev_b32 v106, 16, v164 :: v_dual_lshrrev_b32 v104, 16, v165
	v_and_b32_e32 v110, 0xffff, v165
	s_wait_dscnt 0x0
	v_lshrrev_b32_e32 v163, 16, v0
	v_pk_fma_f16 v24, v47, v33, v24
	v_pk_fma_f16 v25, v46, v33, v25
	v_and_b32_e32 v165, 0xffff, v0
	v_pk_fma_f16 v26, v47, v34, v26
	v_pk_fma_f16 v27, v46, v34, v27
	v_mul_u32_u24_e32 v0, 0x10001, v102
	v_mul_u32_u24_e32 v32, 0x10001, v100
	;; [unrolled: 1-line block ×4, first 2 shown]
	v_and_b32_e32 v111, 0xffff, v35
	v_pk_fma_f16 v24, v49, v0, v24
	v_pk_fma_f16 v25, v48, v0, v25
	;; [unrolled: 1-line block ×4, first 2 shown]
	v_mul_u32_u24_e32 v32, 0x10001, v90
	v_pk_fma_f16 v24, v51, v33, v24
	v_pk_fma_f16 v25, v50, v33, v25
	;; [unrolled: 1-line block ×4, first 2 shown]
	v_mul_u32_u24_e32 v33, 0x10001, v88
	v_pk_fma_f16 v24, v61, v32, v24
	v_pk_fma_f16 v25, v60, v32, v25
	v_mul_u32_u24_e32 v32, 0x10001, v89
	v_mul_u32_u24_e32 v34, 0x10001, v87
	v_pk_fma_f16 v26, v61, v33, v26
	v_pk_fma_f16 v27, v60, v33, v27
	v_mul_u32_u24_e32 v33, 0x10001, v84
	v_pk_fma_f16 v24, v63, v32, v24
	v_pk_fma_f16 v25, v62, v32, v25
	;; [unrolled: 1-line block ×4, first 2 shown]
	v_mul_u32_u24_e32 v32, 0x10001, v96
	v_mul_u32_u24_e32 v34, 0x10001, v85
	;; [unrolled: 1-line block ×3, first 2 shown]
	v_pk_fma_f16 v26, v69, v33, v26
	v_pk_fma_f16 v27, v68, v33, v27
	;; [unrolled: 1-line block ×4, first 2 shown]
	v_mul_u32_u24_e32 v32, 0x10001, v86
	v_pk_fma_f16 v26, v71, v34, v26
	v_pk_fma_f16 v27, v70, v34, v27
	v_mul_u32_u24_e32 v33, 0x10001, v78
	v_mul_u32_u24_e32 v34, 0x10001, v79
	v_pk_fma_f16 v24, v71, v32, v24
	v_pk_fma_f16 v25, v70, v32, v25
	v_mul_u32_u24_e32 v32, 0x10001, v83
	v_pk_fma_f16 v35, v65, v33, v26
	v_pk_fma_f16 v33, v64, v33, v27
	v_mul_u32_u24_e32 v49, 0x10001, v77
	v_mul_u32_u24_e32 v50, 0x10001, v81
	v_pk_fma_f16 v24, v65, v32, v24
	v_pk_fma_f16 v25, v64, v32, v25
	v_mul_u32_u24_e32 v32, 0x10001, v76
	v_mul_u32_u24_e32 v51, 0x10001, v80
	;; [unrolled: 1-line block ×3, first 2 shown]
	v_pk_fma_f16 v44, v67, v34, v24
	v_pk_fma_f16 v45, v66, v34, v25
	v_pk_fma_f16 v47, v67, v32, v35
	v_pk_fma_f16 v48, v66, v32, v33
	v_mul_u32_u24_e32 v62, 0x10001, v74
	v_pk_fma_f16 v44, v53, v46, v44
	v_pk_fma_f16 v45, v52, v46, v45
	v_pk_fma_f16 v53, v53, v49, v47
	v_pk_fma_f16 v48, v52, v49, v48
	v_mul_u32_u24_e32 v63, 0x10001, v73
	;; [unrolled: 5-line block ×4, first 2 shown]
	v_mul_u32_u24_e32 v62, 0x10001, v153
	v_pk_fma_f16 v65, v43, v63, v65
	v_pk_fma_f16 v66, v43, v64, v41
	;; [unrolled: 1-line block ×4, first 2 shown]
	v_mul_u32_u24_e32 v64, 0x10001, v156
	v_mul_u32_u24_e32 v67, 0x10001, v154
	v_pk_fma_f16 v65, v57, v61, v65
	v_pk_fma_f16 v57, v57, v62, v66
	;; [unrolled: 1-line block ×4, first 2 shown]
	v_and_b32_e32 v95, 0xffff, v161
	v_mul_u32_u24_e32 v72, 0x10001, v148
	v_pk_fma_f16 v65, v59, v64, v65
	v_pk_fma_f16 v64, v58, v64, v66
	v_pk_fma_f16 v73, v59, v67, v57
	v_pk_fma_f16 v74, v58, v67, v56
	v_mul_u32_u24_e32 v76, 0x10001, v92
	v_pk_fma_f16 v75, v37, v72, v65
	v_pk_fma_f16 v72, v36, v72, v64
	v_mul_u32_u24_e32 v77, 0x10001, v95
	v_mul_u32_u24_e32 v78, 0x10001, v94
	v_pk_fma_f16 v37, v37, v76, v73
	v_pk_fma_f16 v36, v36, v76, v74
	v_mul_u32_u24_e32 v79, 0x10001, v101
	v_mul_u32_u24_e32 v80, 0x10001, v99
	v_pk_fma_f16 v75, v39, v77, v75
	v_pk_fma_f16 v37, v39, v78, v37
	;; [unrolled: 1-line block ×4, first 2 shown]
	v_and_b32_e32 v108, 0xffff, v164
	ds_load_b128 v[16:19], v126 offset:35280
	v_mul_u32_u24_e32 v81, 0x10001, v107
	v_mul_u32_u24_e32 v82, 0x10001, v103
	v_pk_fma_f16 v72, v29, v79, v75
	v_pk_fma_f16 v29, v29, v80, v37
	;; [unrolled: 1-line block ×4, first 2 shown]
	v_mul_u32_u24_e32 v92, 0x10001, v108
	v_mul_u32_u24_e32 v94, 0x10001, v106
	v_pk_fma_f16 v39, v31, v81, v72
	v_pk_fma_f16 v29, v31, v82, v29
	;; [unrolled: 1-line block ×4, first 2 shown]
	v_dual_lshrrev_b32 v137, 16, v166 :: v_dual_lshrrev_b32 v142, 16, v167
	v_and_b32_e32 v144, 0xffff, v166
	v_lshrrev_b32_e32 v161, 16, v1
	v_and_b32_e32 v164, 0xffff, v1
	v_dual_lshrrev_b32 v105, 16, v2 :: v_dual_lshrrev_b32 v97, 16, v3
	v_and_b32_e32 v102, 0xffff, v2
	v_and_b32_e32 v98, 0xffff, v3
	ds_load_b128 v[0:3], v126 offset:35296
	v_mul_u32_u24_e32 v95, 0x10001, v110
	v_mul_u32_u24_e32 v96, 0x10001, v104
	v_pk_fma_f16 v37, v21, v92, v39
	v_pk_fma_f16 v21, v21, v94, v29
	;; [unrolled: 1-line block ×4, first 2 shown]
	v_and_b32_e32 v145, 0xffff, v167
	v_mul_u32_u24_e32 v99, 0x10001, v144
	v_mul_u32_u24_e32 v101, 0x10001, v137
	v_pk_fma_f16 v31, v23, v95, v37
	v_pk_fma_f16 v21, v23, v96, v21
	;; [unrolled: 1-line block ×4, first 2 shown]
	ds_load_2addr_b64 v[4:7], v135 offset1:32
	v_dual_lshrrev_b32 v138, 16, v168 :: v_dual_lshrrev_b32 v136, 16, v169
	v_and_b32_e32 v143, 0xffff, v168
	v_and_b32_e32 v141, 0xffff, v169
	s_wait_dscnt 0x2
	v_dual_lshrrev_b32 v167, 16, v16 :: v_dual_lshrrev_b32 v166, 16, v17
	v_and_b32_e32 v171, 0xffff, v16
	v_and_b32_e32 v169, 0xffff, v17
	v_dual_lshrrev_b32 v93, 16, v18 :: v_dual_lshrrev_b32 v90, 16, v19
	v_and_b32_e32 v100, 0xffff, v18
	v_and_b32_e32 v91, 0xffff, v19
	ds_load_b128 v[16:19], v126 offset:35312
	v_mul_u32_u24_e32 v103, 0x10001, v145
	v_mul_u32_u24_e32 v104, 0x10001, v142
	v_pk_fma_f16 v29, v13, v99, v31
	v_pk_fma_f16 v13, v13, v101, v21
	;; [unrolled: 1-line block ×4, first 2 shown]
	v_mul_u32_u24_e32 v106, 0x10001, v143
	v_mul_u32_u24_e32 v107, 0x10001, v138
	v_pk_fma_f16 v23, v15, v103, v29
	v_pk_fma_f16 v13, v15, v104, v13
	;; [unrolled: 1-line block ×4, first 2 shown]
	s_wait_dscnt 0x2
	v_dual_lshrrev_b32 v170, 16, v0 :: v_dual_lshrrev_b32 v126, 16, v1
	v_and_b32_e32 v173, 0xffff, v0
	v_and_b32_e32 v172, 0xffff, v1
	v_dual_lshrrev_b32 v89, 16, v2 :: v_dual_lshrrev_b32 v87, 16, v3
	v_and_b32_e32 v168, 0xffff, v2
	v_and_b32_e32 v88, 0xffff, v3
	ds_load_2addr_b64 v[0:3], v135 offset0:64 offset1:96
	v_mul_u32_u24_e32 v108, 0x10001, v141
	v_mul_u32_u24_e32 v110, 0x10001, v136
	v_pk_fma_f16 v21, v9, v106, v23
	v_pk_fma_f16 v9, v9, v107, v13
	;; [unrolled: 1-line block ×4, first 2 shown]
	ds_load_2addr_b64 v[32:35], v134 offset1:32
	ds_load_2addr_b64 v[44:47], v134 offset0:64 offset1:96
	ds_load_2addr_b64 v[48:51], v134 offset0:128 offset1:160
	ds_load_2addr_b64 v[52:55], v134 offset0:192 offset1:224
	ds_load_2addr_b64 v[40:43], v133 offset1:32
	ds_load_2addr_b64 v[60:63], v133 offset0:64 offset1:96
	ds_load_2addr_b64 v[56:59], v133 offset0:128 offset1:160
	;; [unrolled: 1-line block ×3, first 2 shown]
	v_mul_u32_u24_e32 v133, 0x10001, v155
	v_mul_u32_u24_e32 v134, 0x10001, v151
	v_pk_fma_f16 v15, v11, v108, v21
	v_pk_fma_f16 v9, v11, v110, v9
	;; [unrolled: 1-line block ×4, first 2 shown]
	s_wait_dscnt 0x9
	v_dual_lshrrev_b32 v84, 16, v16 :: v_dual_lshrrev_b32 v69, 16, v17
	v_and_b32_e32 v68, 0xffff, v16
	v_and_b32_e32 v70, 0xffff, v17
	v_dual_lshrrev_b32 v71, 16, v18 :: v_dual_lshrrev_b32 v86, 16, v19
	v_and_b32_e32 v85, 0xffff, v18
	v_and_b32_e32 v83, 0xffff, v19
	ds_load_2addr_b64 v[16:19], v135 offset0:128 offset1:160
	ds_load_2addr_b64 v[24:27], v135 offset0:192 offset1:224
	v_mul_u32_u24_e32 v135, 0x10001, v152
	v_mul_u32_u24_e32 v136, 0x10001, v150
	v_pk_fma_f16 v13, v5, v133, v15
	v_pk_fma_f16 v5, v5, v134, v9
	v_pk_fma_f16 v9, v4, v133, v11
	v_pk_fma_f16 v4, v4, v134, v8
	v_mul_u32_u24_e32 v137, 0x10001, v147
	v_mul_u32_u24_e32 v138, 0x10001, v149
	v_pk_fma_f16 v11, v7, v135, v13
	v_pk_fma_f16 v5, v7, v136, v5
	v_pk_fma_f16 v7, v6, v135, v9
	v_pk_fma_f16 v4, v6, v136, v4
	v_mul_u32_u24_e32 v140, 0x10001, v140
	v_mul_u32_u24_e32 v139, 0x10001, v139
	s_wait_dscnt 0xa
	v_pk_fma_f16 v9, v1, v137, v11
	v_pk_fma_f16 v1, v1, v138, v5
	v_pk_fma_f16 v5, v0, v137, v7
	v_pk_fma_f16 v0, v0, v138, v4
	v_mul_u32_u24_e32 v141, 0x10001, v162
	v_mul_u32_u24_e32 v142, 0x10001, v159
	v_pk_fma_f16 v7, v3, v140, v9
	v_pk_fma_f16 v1, v3, v139, v1
	v_pk_fma_f16 v3, v2, v140, v5
	v_pk_fma_f16 v0, v2, v139, v0
	v_mul_u32_u24_e32 v143, 0x10001, v160
	v_mul_u32_u24_e32 v144, 0x10001, v158
	s_wait_dscnt 0x1
	;; [unrolled: 13-line block ×3, first 2 shown]
	v_pk_fma_f16 v5, v25, v145, v5
	v_pk_fma_f16 v1, v25, v114, v1
	v_pk_fma_f16 v3, v24, v145, v3
	v_pk_fma_f16 v0, v24, v114, v0
	v_mul_u32_u24_e32 v74, 0x10001, v165
	v_mul_u32_u24_e32 v38, 0x10001, v163
	v_pk_fma_f16 v5, v27, v111, v5
	v_pk_fma_f16 v1, v27, v73, v1
	v_pk_fma_f16 v3, v26, v111, v3
	v_pk_fma_f16 v0, v26, v73, v0
	v_mul_u32_u24_e32 v36, 0x10001, v164
	v_mul_u32_u24_e32 v30, 0x10001, v161
	;; [unrolled: 6-line block ×16, first 2 shown]
	v_pk_fma_f16 v4, v65, v9, v4
	v_pk_fma_f16 v1, v65, v6, v1
	;; [unrolled: 1-line block ×4, first 2 shown]
	v_mov_b64_e32 v[114:115], v[118:119]
	v_pk_fma_f16 v33, v67, v3, v4
	v_pk_fma_f16 v32, v67, v5, v1
	;; [unrolled: 1-line block ×4, first 2 shown]
	s_barrier_signal -1
	s_barrier_wait -1
.LBB88_137:
	v_cmp_lt_i32_e32 vcc_lo, v127, v129
	s_cmp_eq_u64 s[24:25], 0
	s_cselect_b32 s2, -1, 0
	s_cmp_lg_u32 s35, 0
	v_cndmask_b32_e32 v0, v125, v127, vcc_lo
	v_cmp_lt_i32_e32 vcc_lo, v128, v129
	s_cselect_b32 s3, -1, 0
	s_delay_alu instid0(SALU_CYCLE_1) | instskip(SKIP_3) | instid1(VALU_DEP_3)
	s_or_b32 s2, s3, s2
	v_cndmask_b32_e32 v2, v125, v128, vcc_lo
	v_lshlrev_b32_e32 v1, 2, v0
	v_cmp_lt_i32_e32 vcc_lo, v130, v129
	v_lshlrev_b32_e32 v3, 2, v2
	ds_bpermute_b32 v0, v1, v114
	ds_bpermute_b32 v1, v1, v115
	v_cndmask_b32_e32 v4, v125, v130, vcc_lo
	v_cmp_lt_i32_e32 vcc_lo, v131, v129
	s_delay_alu instid0(VALU_DEP_2)
	v_lshlrev_b32_e32 v4, 2, v4
	s_wait_dscnt 0x0
	v_pk_add_f32 v[0:1], v[114:115], v[0:1]
	ds_bpermute_b32 v2, v3, v0
	ds_bpermute_b32 v3, v3, v1
	s_wait_dscnt 0x0
	v_pk_add_f32 v[0:1], v[0:1], v[2:3]
	ds_bpermute_b32 v2, v4, v0
	ds_bpermute_b32 v3, v4, v1
	v_cndmask_b32_e32 v4, v125, v131, vcc_lo
	v_cmp_lt_i32_e32 vcc_lo, v132, v129
	s_delay_alu instid0(VALU_DEP_2)
	v_lshlrev_b32_e32 v4, 2, v4
	s_wait_dscnt 0x0
	v_pk_add_f32 v[0:1], v[0:1], v[2:3]
	ds_bpermute_b32 v2, v4, v0
	ds_bpermute_b32 v3, v4, v1
	v_cndmask_b32_e32 v4, v125, v132, vcc_lo
	s_and_b32 vcc_lo, exec_lo, s2
	s_delay_alu instid0(VALU_DEP_1)
	v_lshlrev_b32_e32 v4, 2, v4
	s_wait_dscnt 0x0
	v_pk_add_f32 v[0:1], v[0:1], v[2:3]
	ds_bpermute_b32 v2, v4, v0
	ds_bpermute_b32 v3, v4, v1
	s_wait_dscnt 0x0
	v_pk_add_f32 v[0:1], v[0:1], v[2:3]
	s_cbranch_vccnz .LBB88_139
; %bb.138:
	v_dual_mov_b32 v2, s33 :: v_dual_max_num_f32 v5, v117, v117
	global_load_b32 v4, v2, s[24:25] scale_offset
	s_wait_xcnt 0x0
	v_max_num_f32_e32 v2, v116, v116
	s_wait_loadcnt 0x0
	v_max_num_f32_e32 v3, v4, v4
	s_delay_alu instid0(VALU_DEP_1) | instskip(NEXT) | instid1(VALU_DEP_1)
	v_dual_max_num_f32 v2, v2, v3 :: v_dual_max_num_f32 v3, v5, v3
	v_dual_sub_f32 v5, v116, v2 :: v_dual_sub_f32 v7, v117, v3
	v_dual_sub_f32 v6, v4, v2 :: v_dual_sub_f32 v8, v4, v3
	v_mov_b64_e32 v[116:117], v[2:3]
	s_delay_alu instid0(VALU_DEP_3) | instskip(NEXT) | instid1(VALU_DEP_3)
	v_mul_f32_e32 v4, 0x3fb8aa3b, v5
	v_dual_mul_f32 v10, 0x3fb8aa3b, v7 :: v_dual_mul_f32 v9, 0x3fb8aa3b, v6
	s_delay_alu instid0(VALU_DEP_4) | instskip(SKIP_1) | instid1(VALU_DEP_4)
	v_mul_f32_e32 v11, 0x3fb8aa3b, v8
	v_cmp_ngt_f32_e32 vcc_lo, 0xc2ce8ed0, v5
	v_fma_f32 v12, 0x3fb8aa3b, v5, -v4
	v_rndne_f32_e32 v13, v4
	v_fma_f32 v14, 0x3fb8aa3b, v6, -v9
	v_rndne_f32_e32 v15, v9
	;; [unrolled: 2-line block ×3, first 2 shown]
	v_fmac_f32_e32 v12, 0x32a5705f, v5
	v_rndne_f32_e32 v19, v11
	v_dual_fmac_f32 v14, 0x32a5705f, v6 :: v_dual_sub_f32 v9, v9, v15
	v_fma_f32 v18, 0x3fb8aa3b, v8, -v11
	s_delay_alu instid0(VALU_DEP_3) | instskip(NEXT) | instid1(VALU_DEP_3)
	v_dual_sub_f32 v10, v10, v17 :: v_dual_sub_f32 v11, v11, v19
	v_dual_fmac_f32 v16, 0x32a5705f, v7 :: v_dual_add_f32 v9, v9, v14
	v_sub_f32_e32 v4, v4, v13
	v_cvt_i32_f32_e32 v13, v13
	v_cvt_i32_f32_e32 v14, v17
	s_delay_alu instid0(VALU_DEP_4)
	v_add_f32_e32 v10, v10, v16
	v_exp_f32_e32 v9, v9
	v_add_f32_e32 v4, v4, v12
	v_cvt_i32_f32_e32 v12, v15
	v_cvt_i32_f32_e32 v15, v19
	v_exp_f32_e32 v10, v10
	s_delay_alu instid0(VALU_DEP_3)
	v_exp_f32_e32 v4, v4
	s_delay_alu instid0(TRANS32_DEP_3) | instid1(VALU_DEP_2)
	v_ldexp_f32 v9, v9, v12
	s_delay_alu instid0(TRANS32_DEP_2) | instskip(NEXT) | instid1(TRANS32_DEP_1)
	v_ldexp_f32 v10, v10, v14
	v_ldexp_f32 v4, v4, v13
	s_delay_alu instid0(VALU_DEP_1) | instskip(SKIP_1) | instid1(VALU_DEP_4)
	v_cndmask_b32_e32 v4, 0, v4, vcc_lo
	v_cmp_ngt_f32_e32 vcc_lo, 0xc2ce8ed0, v7
	v_cndmask_b32_e32 v10, 0, v10, vcc_lo
	v_cmp_nlt_f32_e32 vcc_lo, 0x42b17218, v5
	s_delay_alu instid0(VALU_DEP_4) | instskip(SKIP_1) | instid1(VALU_DEP_4)
	v_cndmask_b32_e32 v4, 0x7f800000, v4, vcc_lo
	v_cmp_nlt_f32_e32 vcc_lo, 0x42b17218, v7
	v_cndmask_b32_e32 v5, 0x7f800000, v10, vcc_lo
	v_cmp_ngt_f32_e32 vcc_lo, 0xc2ce8ed0, v6
	v_fmac_f32_e32 v18, 0x32a5705f, v8
	v_cvt_f16_f32_e32 v10, v4
	v_cndmask_b32_e32 v9, 0, v9, vcc_lo
	v_cmp_ngt_f32_e32 vcc_lo, 0xc2ce8ed0, v8
	s_delay_alu instid0(VALU_DEP_4) | instskip(NEXT) | instid1(VALU_DEP_4)
	v_add_f32_e32 v11, v11, v18
	v_and_b32_e32 v10, 0xffff, v10
	s_delay_alu instid0(VALU_DEP_2) | instskip(SKIP_1) | instid1(TRANS32_DEP_1)
	v_exp_f32_e32 v11, v11
	v_nop
	v_ldexp_f32 v7, v11, v15
	v_cvt_f16_f32_e32 v11, v5
	s_delay_alu instid0(VALU_DEP_2) | instskip(SKIP_2) | instid1(VALU_DEP_4)
	v_cndmask_b32_e32 v7, 0, v7, vcc_lo
	v_cmp_nlt_f32_e32 vcc_lo, 0x42b17218, v6
	v_cndmask_b32_e32 v6, 0x7f800000, v9, vcc_lo
	v_and_b32_e32 v9, 0xffff, v11
	v_cmp_nlt_f32_e32 vcc_lo, 0x42b17218, v8
	v_mul_u32_u24_e32 v8, 0x10001, v10
	s_delay_alu instid0(VALU_DEP_3) | instskip(SKIP_1) | instid1(VALU_DEP_3)
	v_mul_u32_u24_e32 v9, 0x10001, v9
	v_cndmask_b32_e32 v7, 0x7f800000, v7, vcc_lo
	v_pk_mul_f16 v86, v86, v8
	v_pk_mul_f16 v33, v33, v8
	s_delay_alu instid0(VALU_DEP_4) | instskip(NEXT) | instid1(VALU_DEP_4)
	v_pk_mul_f16 v45, v45, v9
	v_pk_fma_f32 v[0:1], v[0:1], v[4:5], v[6:7]
	v_pk_mul_f16 v32, v32, v9
.LBB88_139:
	s_mov_b32 s2, exec_lo
	v_cmpx_gt_i32_e64 s38, v124
	s_cbranch_execz .LBB88_149
; %bb.140:
	s_load_b32 s0, s[0:1], 0xd4
	v_mov_b32_e32 v2, 1.0
	s_wait_kmcnt 0x0
	s_cmp_lg_u32 s0, 1
	s_cselect_b32 s3, -1, 0
	s_cmp_eq_u32 s0, 1
	s_cselect_b32 s1, -1, 0
	s_and_b32 vcc_lo, exec_lo, s3
	s_cbranch_vccnz .LBB88_142
; %bb.141:
	v_div_scale_f32 v2, null, v0, v0, 1.0
	s_delay_alu instid0(VALU_DEP_1) | instskip(SKIP_1) | instid1(TRANS32_DEP_1)
	v_rcp_f32_e32 v3, v2
	v_nop
	v_fma_f32 v4, -v2, v3, 1.0
	s_delay_alu instid0(VALU_DEP_1) | instskip(SKIP_1) | instid1(VALU_DEP_1)
	v_fmac_f32_e32 v3, v4, v3
	v_div_scale_f32 v4, vcc_lo, 1.0, v0, 1.0
	v_mul_f32_e32 v5, v4, v3
	s_delay_alu instid0(VALU_DEP_1) | instskip(NEXT) | instid1(VALU_DEP_1)
	v_fma_f32 v6, -v2, v5, v4
	v_fmac_f32_e32 v5, v6, v3
	s_delay_alu instid0(VALU_DEP_1) | instskip(NEXT) | instid1(VALU_DEP_1)
	v_fma_f32 v2, -v2, v5, v4
	v_div_fmas_f32 v2, v2, v3, v5
	s_delay_alu instid0(VALU_DEP_1)
	v_div_fixup_f32 v2, v2, v0, 1.0
.LBB88_142:
	s_mul_i32 s2, s34, s38
	v_dual_lshrrev_b32 v5, 16, v86 :: v_dual_lshrrev_b32 v9, 16, v33
	s_add_co_i32 s2, s2, s40
	s_delay_alu instid0(SALU_CYCLE_1)
	v_dual_mov_b32 v7, 0 :: v_dual_add_nc_u32 v3, s2, v122
	v_cvt_f32_f16_e32 v4, v86
	v_cvt_f32_f16_e32 v8, v33
	;; [unrolled: 1-line block ×4, first 2 shown]
	v_mad_u32 v3, v3, s39, s33
	v_cmp_eq_u32_e32 vcc_lo, 0, v112
	s_and_b32 s3, vcc_lo, s3
	s_delay_alu instid0(VALU_DEP_2) | instskip(NEXT) | instid1(VALU_DEP_1)
	v_mad_u32 v3, s0, v3, s35
	v_lshl_add_u32 v6, v3, 7, v123
	v_pk_mul_f32 v[4:5], v[2:3], v[4:5] op_sel_hi:[0,1]
	s_delay_alu instid0(VALU_DEP_2)
	v_lshl_add_u64 v[10:11], v[6:7], 2, s[28:29]
	v_pk_mul_f32 v[6:7], v[2:3], v[8:9] op_sel_hi:[0,1]
	global_store_b128 v[10:11], v[4:7], off
	s_wait_xcnt 0x0
	s_and_saveexec_b32 s4, s3
	s_cbranch_execz .LBB88_144
; %bb.143:
	v_dual_mov_b32 v4, v116 :: v_dual_mov_b32 v5, v0
	global_store_b64 v3, v[4:5], s[30:31] scale_offset
.LBB88_144:
	s_wait_xcnt 0x0
	s_or_b32 exec_lo, exec_lo, s4
	v_cmp_gt_i32_e32 vcc_lo, s38, v121
	s_and_b32 exec_lo, exec_lo, vcc_lo
	s_cbranch_execz .LBB88_149
; %bb.145:
	v_mov_b32_e32 v0, 1.0
	s_and_not1_b32 vcc_lo, exec_lo, s1
	s_cbranch_vccnz .LBB88_147
; %bb.146:
	v_div_scale_f32 v0, null, v1, v1, 1.0
	s_delay_alu instid0(VALU_DEP_1) | instskip(SKIP_1) | instid1(TRANS32_DEP_1)
	v_rcp_f32_e32 v2, v0
	v_nop
	v_fma_f32 v3, -v0, v2, 1.0
	s_delay_alu instid0(VALU_DEP_1) | instskip(SKIP_1) | instid1(VALU_DEP_1)
	v_fmac_f32_e32 v2, v3, v2
	v_div_scale_f32 v3, vcc_lo, 1.0, v1, 1.0
	v_mul_f32_e32 v4, v3, v2
	s_delay_alu instid0(VALU_DEP_1) | instskip(NEXT) | instid1(VALU_DEP_1)
	v_fma_f32 v5, -v0, v4, v3
	v_fmac_f32_e32 v4, v5, v2
	s_delay_alu instid0(VALU_DEP_1) | instskip(NEXT) | instid1(VALU_DEP_1)
	v_fma_f32 v0, -v0, v4, v3
	v_div_fmas_f32 v0, v0, v2, v4
	s_delay_alu instid0(VALU_DEP_1)
	v_div_fixup_f32 v0, v0, v1, 1.0
.LBB88_147:
	v_dual_add_nc_u32 v2, s2, v120 :: v_dual_lshrrev_b32 v3, 16, v45
	v_dual_mov_b32 v7, 0 :: v_dual_lshrrev_b32 v9, 16, v32
	v_cvt_f32_f16_e32 v4, v45
	s_delay_alu instid0(VALU_DEP_3) | instskip(SKIP_3) | instid1(VALU_DEP_2)
	v_mad_u32 v2, v2, s39, s33
	v_cvt_f32_f16_e32 v8, v32
	v_cvt_f32_f16_e32 v5, v3
	;; [unrolled: 1-line block ×3, first 2 shown]
	v_pk_mul_f32 v[4:5], v[0:1], v[4:5] op_sel_hi:[0,1]
	v_mad_u32 v2, s0, v2, s35
	s_delay_alu instid0(VALU_DEP_1) | instskip(NEXT) | instid1(VALU_DEP_1)
	v_lshl_add_u32 v6, v2, 7, v123
	v_lshl_add_u64 v[10:11], v[6:7], 2, s[28:29]
	v_pk_mul_f32 v[6:7], v[0:1], v[8:9] op_sel_hi:[0,1]
	global_store_b128 v[10:11], v[4:7], off
	s_wait_xcnt 0x0
	s_and_b32 exec_lo, exec_lo, s3
	s_cbranch_execz .LBB88_149
; %bb.148:
	v_mov_b32_e32 v0, v117
	global_store_b64 v2, v[0:1], s[30:31] scale_offset
.LBB88_149:
	s_sendmsg sendmsg(MSG_DEALLOC_VGPRS)
	s_endpgm
	.section	.rodata,"a",@progbits
	.p2align	6, 0x0
	.amdhsa_kernel _ZL15flash_attn_tileILi128ELi128ELi16ELi1ELb1EEvPKcS1_S1_S1_S1_PKiPfP15HIP_vector_typeIfLj2EEffffjfiS5_IjLj3EEiiiiiiiiiiiliiliiiiil
		.amdhsa_group_segment_fixed_size 43008
		.amdhsa_private_segment_fixed_size 32
		.amdhsa_kernarg_size 464
		.amdhsa_user_sgpr_count 2
		.amdhsa_user_sgpr_dispatch_ptr 0
		.amdhsa_user_sgpr_queue_ptr 0
		.amdhsa_user_sgpr_kernarg_segment_ptr 1
		.amdhsa_user_sgpr_dispatch_id 0
		.amdhsa_user_sgpr_kernarg_preload_length 0
		.amdhsa_user_sgpr_kernarg_preload_offset 0
		.amdhsa_user_sgpr_private_segment_size 0
		.amdhsa_wavefront_size32 1
		.amdhsa_uses_dynamic_stack 0
		.amdhsa_enable_private_segment 1
		.amdhsa_system_sgpr_workgroup_id_x 1
		.amdhsa_system_sgpr_workgroup_id_y 1
		.amdhsa_system_sgpr_workgroup_id_z 1
		.amdhsa_system_sgpr_workgroup_info 0
		.amdhsa_system_vgpr_workitem_id 1
		.amdhsa_next_free_vgpr 183
		.amdhsa_next_free_sgpr 48
		.amdhsa_named_barrier_count 0
		.amdhsa_reserve_vcc 1
		.amdhsa_float_round_mode_32 0
		.amdhsa_float_round_mode_16_64 0
		.amdhsa_float_denorm_mode_32 3
		.amdhsa_float_denorm_mode_16_64 3
		.amdhsa_fp16_overflow 0
		.amdhsa_memory_ordered 1
		.amdhsa_forward_progress 1
		.amdhsa_inst_pref_size 255
		.amdhsa_round_robin_scheduling 0
		.amdhsa_exception_fp_ieee_invalid_op 0
		.amdhsa_exception_fp_denorm_src 0
		.amdhsa_exception_fp_ieee_div_zero 0
		.amdhsa_exception_fp_ieee_overflow 0
		.amdhsa_exception_fp_ieee_underflow 0
		.amdhsa_exception_fp_ieee_inexact 0
		.amdhsa_exception_int_div_zero 0
	.end_amdhsa_kernel
	.section	.text._ZL15flash_attn_tileILi128ELi128ELi16ELi1ELb1EEvPKcS1_S1_S1_S1_PKiPfP15HIP_vector_typeIfLj2EEffffjfiS5_IjLj3EEiiiiiiiiiiiliiliiiiil,"axG",@progbits,_ZL15flash_attn_tileILi128ELi128ELi16ELi1ELb1EEvPKcS1_S1_S1_S1_PKiPfP15HIP_vector_typeIfLj2EEffffjfiS5_IjLj3EEiiiiiiiiiiiliiliiiiil,comdat
.Lfunc_end88:
	.size	_ZL15flash_attn_tileILi128ELi128ELi16ELi1ELb1EEvPKcS1_S1_S1_S1_PKiPfP15HIP_vector_typeIfLj2EEffffjfiS5_IjLj3EEiiiiiiiiiiiliiliiiiil, .Lfunc_end88-_ZL15flash_attn_tileILi128ELi128ELi16ELi1ELb1EEvPKcS1_S1_S1_S1_PKiPfP15HIP_vector_typeIfLj2EEffffjfiS5_IjLj3EEiiiiiiiiiiiliiliiiiil
                                        ; -- End function
	.set _ZL15flash_attn_tileILi128ELi128ELi16ELi1ELb1EEvPKcS1_S1_S1_S1_PKiPfP15HIP_vector_typeIfLj2EEffffjfiS5_IjLj3EEiiiiiiiiiiiliiliiiiil.num_vgpr, 183
	.set _ZL15flash_attn_tileILi128ELi128ELi16ELi1ELb1EEvPKcS1_S1_S1_S1_PKiPfP15HIP_vector_typeIfLj2EEffffjfiS5_IjLj3EEiiiiiiiiiiiliiliiiiil.num_agpr, 0
	.set _ZL15flash_attn_tileILi128ELi128ELi16ELi1ELb1EEvPKcS1_S1_S1_S1_PKiPfP15HIP_vector_typeIfLj2EEffffjfiS5_IjLj3EEiiiiiiiiiiiliiliiiiil.numbered_sgpr, 48
	.set _ZL15flash_attn_tileILi128ELi128ELi16ELi1ELb1EEvPKcS1_S1_S1_S1_PKiPfP15HIP_vector_typeIfLj2EEffffjfiS5_IjLj3EEiiiiiiiiiiiliiliiiiil.num_named_barrier, 0
	.set _ZL15flash_attn_tileILi128ELi128ELi16ELi1ELb1EEvPKcS1_S1_S1_S1_PKiPfP15HIP_vector_typeIfLj2EEffffjfiS5_IjLj3EEiiiiiiiiiiiliiliiiiil.private_seg_size, 32
	.set _ZL15flash_attn_tileILi128ELi128ELi16ELi1ELb1EEvPKcS1_S1_S1_S1_PKiPfP15HIP_vector_typeIfLj2EEffffjfiS5_IjLj3EEiiiiiiiiiiiliiliiiiil.uses_vcc, 1
	.set _ZL15flash_attn_tileILi128ELi128ELi16ELi1ELb1EEvPKcS1_S1_S1_S1_PKiPfP15HIP_vector_typeIfLj2EEffffjfiS5_IjLj3EEiiiiiiiiiiiliiliiiiil.uses_flat_scratch, 1
	.set _ZL15flash_attn_tileILi128ELi128ELi16ELi1ELb1EEvPKcS1_S1_S1_S1_PKiPfP15HIP_vector_typeIfLj2EEffffjfiS5_IjLj3EEiiiiiiiiiiiliiliiiiil.has_dyn_sized_stack, 0
	.set _ZL15flash_attn_tileILi128ELi128ELi16ELi1ELb1EEvPKcS1_S1_S1_S1_PKiPfP15HIP_vector_typeIfLj2EEffffjfiS5_IjLj3EEiiiiiiiiiiiliiliiiiil.has_recursion, 0
	.set _ZL15flash_attn_tileILi128ELi128ELi16ELi1ELb1EEvPKcS1_S1_S1_S1_PKiPfP15HIP_vector_typeIfLj2EEffffjfiS5_IjLj3EEiiiiiiiiiiiliiliiiiil.has_indirect_call, 0
	.section	.AMDGPU.csdata,"",@progbits
; Kernel info:
; codeLenInByte = 36924
; TotalNumSgprs: 50
; NumVgprs: 183
; ScratchSize: 32
; MemoryBound: 0
; FloatMode: 240
; IeeeMode: 1
; LDSByteSize: 43008 bytes/workgroup (compile time only)
; SGPRBlocks: 0
; VGPRBlocks: 11
; NumSGPRsForWavesPerEU: 50
; NumVGPRsForWavesPerEU: 183
; NamedBarCnt: 0
; Occupancy: 5
; WaveLimiterHint : 1
; COMPUTE_PGM_RSRC2:SCRATCH_EN: 1
; COMPUTE_PGM_RSRC2:USER_SGPR: 2
; COMPUTE_PGM_RSRC2:TRAP_HANDLER: 0
; COMPUTE_PGM_RSRC2:TGID_X_EN: 1
; COMPUTE_PGM_RSRC2:TGID_Y_EN: 1
; COMPUTE_PGM_RSRC2:TGID_Z_EN: 1
; COMPUTE_PGM_RSRC2:TIDIG_COMP_CNT: 1
	.section	.text._ZL15flash_attn_tileILi128ELi128ELi8ELi1ELb1EEvPKcS1_S1_S1_S1_PKiPfP15HIP_vector_typeIfLj2EEffffjfiS5_IjLj3EEiiiiiiiiiiiliiliiiiil,"axG",@progbits,_ZL15flash_attn_tileILi128ELi128ELi8ELi1ELb1EEvPKcS1_S1_S1_S1_PKiPfP15HIP_vector_typeIfLj2EEffffjfiS5_IjLj3EEiiiiiiiiiiiliiliiiiil,comdat
	.globl	_ZL15flash_attn_tileILi128ELi128ELi8ELi1ELb1EEvPKcS1_S1_S1_S1_PKiPfP15HIP_vector_typeIfLj2EEffffjfiS5_IjLj3EEiiiiiiiiiiiliiliiiiil ; -- Begin function _ZL15flash_attn_tileILi128ELi128ELi8ELi1ELb1EEvPKcS1_S1_S1_S1_PKiPfP15HIP_vector_typeIfLj2EEffffjfiS5_IjLj3EEiiiiiiiiiiiliiliiiiil
	.p2align	8
	.type	_ZL15flash_attn_tileILi128ELi128ELi8ELi1ELb1EEvPKcS1_S1_S1_S1_PKiPfP15HIP_vector_typeIfLj2EEffffjfiS5_IjLj3EEiiiiiiiiiiiliiliiiiil,@function
_ZL15flash_attn_tileILi128ELi128ELi8ELi1ELb1EEvPKcS1_S1_S1_S1_PKiPfP15HIP_vector_typeIfLj2EEffffjfiS5_IjLj3EEiiiiiiiiiiiliiliiiiil: ; @_ZL15flash_attn_tileILi128ELi128ELi8ELi1ELb1EEvPKcS1_S1_S1_S1_PKiPfP15HIP_vector_typeIfLj2EEffffjfiS5_IjLj3EEiiiiiiiiiiiliiliiiiil
; %bb.0:
	s_clause 0x1
	s_load_b128 s[20:23], s[0:1], 0x5c
	s_load_b64 s[2:3], s[0:1], 0x80
	s_bfe_u32 s6, ttmp6, 0x40014
	s_lshr_b32 s5, ttmp7, 16
	s_add_co_i32 s6, s6, 1
	s_bfe_u32 s7, ttmp6, 0x40008
	s_mul_i32 s6, s5, s6
	s_getreg_b32 s42, hwreg(HW_REG_IB_STS2, 6, 4)
	s_add_co_i32 s7, s7, s6
	s_load_b64 s[40:41], s[0:1], 0xb8
	s_mov_b32 s39, 0
	s_mov_b64 s[30:31], 0
	s_wait_kmcnt 0x0
	s_cvt_f32_u32 s4, s23
	s_sub_co_i32 s8, 0, s23
	s_delay_alu instid0(SALU_CYCLE_2) | instskip(SKIP_1) | instid1(TRANS32_DEP_1)
	v_rcp_iflag_f32_e32 v1, s4
	v_nop
	v_readfirstlane_b32 s4, v1
	s_mul_f32 s4, s4, 0x4f7ffffe
	s_delay_alu instid0(SALU_CYCLE_3) | instskip(NEXT) | instid1(SALU_CYCLE_3)
	s_cvt_u32_f32 s4, s4
	s_mul_i32 s8, s8, s4
	s_delay_alu instid0(SALU_CYCLE_1) | instskip(NEXT) | instid1(SALU_CYCLE_1)
	s_mul_hi_u32 s8, s4, s8
	s_add_co_i32 s4, s4, s8
	s_cmp_eq_u32 s42, 0
	s_cselect_b32 s5, s5, s7
	s_delay_alu instid0(SALU_CYCLE_1) | instskip(NEXT) | instid1(SALU_CYCLE_1)
	s_mul_hi_u32 s4, s5, s4
	s_mul_i32 s6, s4, s23
	s_add_co_i32 s7, s4, 1
	s_sub_co_i32 s6, s5, s6
	s_delay_alu instid0(SALU_CYCLE_1)
	s_sub_co_i32 s8, s6, s23
	s_cmp_ge_u32 s6, s23
	s_cselect_b32 s4, s7, s4
	s_cselect_b32 s6, s8, s6
	s_add_co_i32 s7, s4, 1
	s_cmp_ge_u32 s6, s23
	s_cselect_b32 s28, s7, s4
	s_abs_i32 s4, s3
	s_mul_i32 s8, s28, s23
	s_cvt_f32_u32 s6, s4
	s_sub_co_i32 s7, 0, s4
	s_abs_i32 s9, s23
	s_sub_co_i32 s33, s5, s8
	v_rcp_iflag_f32_e32 v1, s6
	s_xor_b32 s3, s23, s3
	s_delay_alu instid0(SALU_CYCLE_1) | instskip(SKIP_1) | instid1(TRANS32_DEP_1)
	s_ashr_i32 s3, s3, 31
	v_nop
	v_readfirstlane_b32 s6, v1
	s_mul_f32 s6, s6, 0x4f7ffffe
	s_delay_alu instid0(SALU_CYCLE_3) | instskip(NEXT) | instid1(SALU_CYCLE_3)
	s_cvt_u32_f32 s6, s6
	s_mul_i32 s7, s7, s6
	s_delay_alu instid0(SALU_CYCLE_1) | instskip(NEXT) | instid1(SALU_CYCLE_1)
	s_mul_hi_u32 s7, s6, s7
	s_add_co_i32 s6, s6, s7
	s_delay_alu instid0(SALU_CYCLE_1) | instskip(NEXT) | instid1(SALU_CYCLE_1)
	s_mul_hi_u32 s5, s9, s6
	s_mul_i32 s6, s5, s4
	s_add_co_i32 s7, s5, 1
	s_sub_co_i32 s6, s9, s6
	s_delay_alu instid0(SALU_CYCLE_1)
	s_sub_co_i32 s8, s6, s4
	s_cmp_ge_u32 s6, s4
	s_cselect_b32 s5, s7, s5
	s_cselect_b32 s6, s8, s6
	s_add_co_i32 s7, s5, 1
	s_cmp_ge_u32 s6, s4
	s_cselect_b32 s4, s7, s5
	s_abs_i32 s38, s33
	s_xor_b32 s4, s4, s3
	s_delay_alu instid0(SALU_CYCLE_1) | instskip(NEXT) | instid1(SALU_CYCLE_1)
	s_sub_co_i32 s29, s4, s3
	s_abs_i32 s3, s29
	s_delay_alu instid0(SALU_CYCLE_1) | instskip(SKIP_1) | instid1(SALU_CYCLE_2)
	s_cvt_f32_u32 s4, s3
	s_sub_co_i32 s25, 0, s3
	v_rcp_iflag_f32_e32 v1, s4
	s_load_b512 s[4:19], s[0:1], 0x0
	v_nop
	s_delay_alu instid0(TRANS32_DEP_1) | instskip(SKIP_1) | instid1(SALU_CYCLE_3)
	v_readfirstlane_b32 s24, v1
	s_mul_f32 s24, s24, 0x4f7ffffe
	s_cvt_u32_f32 s24, s24
	s_delay_alu instid0(SALU_CYCLE_3) | instskip(NEXT) | instid1(SALU_CYCLE_1)
	s_mul_i32 s25, s25, s24
	s_mul_hi_u32 s25, s24, s25
	s_delay_alu instid0(SALU_CYCLE_1)
	s_add_co_i32 s36, s24, s25
	s_wait_kmcnt 0x0
	s_cmp_eq_u64 s[10:11], 0
	s_cbranch_scc1 .LBB89_2
; %bb.1:
	s_abs_i32 s26, s40
	s_abs_i32 s27, s28
	s_cvt_f32_u32 s24, s26
	s_sub_co_i32 s25, 0, s26
	s_delay_alu instid0(SALU_CYCLE_2) | instskip(SKIP_1) | instid1(TRANS32_DEP_1)
	v_rcp_iflag_f32_e32 v1, s24
	v_nop
	v_readfirstlane_b32 s24, v1
	s_mul_f32 s24, s24, 0x4f7ffffe
	s_delay_alu instid0(SALU_CYCLE_3) | instskip(NEXT) | instid1(SALU_CYCLE_3)
	s_cvt_u32_f32 s24, s24
	s_mul_i32 s25, s25, s24
	s_delay_alu instid0(SALU_CYCLE_1) | instskip(NEXT) | instid1(SALU_CYCLE_1)
	s_mul_hi_u32 s25, s24, s25
	s_add_co_i32 s24, s24, s25
	s_delay_alu instid0(SALU_CYCLE_1) | instskip(SKIP_2) | instid1(SALU_CYCLE_1)
	s_mul_hi_u32 s30, s27, s24
	s_load_b64 s[24:25], s[0:1], 0xc8
	s_mul_i32 s30, s30, s26
	s_sub_co_i32 s27, s27, s30
	s_ashr_i32 s30, s28, 31
	s_sub_co_i32 s31, s27, s26
	s_cmp_ge_u32 s27, s26
	s_cselect_b32 s27, s31, s27
	s_delay_alu instid0(SALU_CYCLE_1) | instskip(SKIP_2) | instid1(SALU_CYCLE_1)
	s_sub_co_i32 s31, s27, s26
	s_cmp_ge_u32 s27, s26
	s_cselect_b32 s26, s31, s27
	s_xor_b32 s26, s26, s30
	s_delay_alu instid0(SALU_CYCLE_1) | instskip(NEXT) | instid1(SALU_CYCLE_1)
	s_sub_co_i32 s26, s26, s30
	s_ashr_i32 s27, s26, 31
	s_wait_kmcnt 0x0
	s_mul_u64 s[24:25], s[24:25], s[26:27]
	s_delay_alu instid0(SALU_CYCLE_1)
	s_add_nc_u64 s[30:31], s[10:11], s[24:25]
.LBB89_2:
	s_clause 0x1
	s_load_b128 s[24:27], s[0:1], 0x40
	s_load_b64 s[34:35], s[0:1], 0x50
	v_mov_b32_e32 v84, 1.0
	s_mov_b32 s37, s39
	s_wait_kmcnt 0x0
	s_cmp_le_f32 s25, 0
	s_cbranch_scc1 .LBB89_4
; %bb.3:
	v_sub_co_u32 v1, s10, s33, s34
	s_and_b32 s25, s10, exec_lo
	s_cselect_b32 s25, s26, s27
	s_add_co_i32 s26, s33, 1
	v_readfirstlane_b32 s11, v1
	s_lshl_b32 s11, s11, 1
	s_delay_alu instid0(SALU_CYCLE_1) | instskip(SKIP_4) | instid1(SALU_CYCLE_3)
	s_or_b32 s11, s11, 1
	s_and_b32 s10, s10, exec_lo
	s_cselect_b32 s10, s26, s11
	s_cmp_neq_f32 s25, 1.0
	s_cvt_f32_i32 s10, s10
	s_cselect_b32 s11, s10, 1.0
	s_delay_alu instid0(SALU_CYCLE_1) | instskip(SKIP_1) | instid1(SALU_CYCLE_1)
	s_cmp_neq_f32 s11, 0
	s_cselect_b32 s10, s25, 1.0
	v_cvt_f64_f32_e64 v[2:3], |s10|
	s_delay_alu instid0(VALU_DEP_1) | instskip(SKIP_1) | instid1(VALU_DEP_1)
	v_frexp_exp_i32_f64_e32 v1, v[2:3]
	v_frexp_mant_f32_e64 v2, |s10|
	v_readfirstlane_b32 s25, v2
	s_cmp_lt_f32 s25, 0x3f2aaaab
	s_cselect_b32 vcc_lo, -1, 0
	s_delay_alu instid0(SALU_CYCLE_1) | instskip(SKIP_1) | instid1(SALU_CYCLE_1)
	s_and_b32 s26, vcc_lo, exec_lo
	s_cselect_b32 s26, 2.0, 1.0
	s_mul_f32 s25, s25, s26
	s_delay_alu instid0(SALU_CYCLE_3) | instskip(SKIP_1) | instid1(SALU_CYCLE_2)
	s_add_f32 s26, s25, 1.0
	s_add_f32 s34, s25, -1.0
	v_s_rcp_f32 s27, s26
	s_add_f32 s44, s26, -1.0
	v_subrev_co_ci_u32_e64 v1, null, 0, v1, vcc_lo
	s_delay_alu instid0(SALU_CYCLE_2) | instskip(NEXT) | instid1(TRANS32_DEP_1)
	s_sub_f32 s25, s25, s44
	s_mul_f32 s40, s34, s27
	v_cvt_f32_i32_e32 v1, v1
	s_delay_alu instid0(SALU_CYCLE_2) | instskip(NEXT) | instid1(SALU_CYCLE_3)
	s_mul_f32 s43, s26, s40
	v_dual_mov_b32 v3, s34 :: v_dual_mov_b32 v4, s43
	s_xor_b32 s45, s43, 0x80000000
	s_delay_alu instid0(SALU_CYCLE_1) | instskip(NEXT) | instid1(SALU_CYCLE_3)
	s_fmac_f32 s45, s40, s26
	s_fmac_f32 s45, s40, s25
	s_delay_alu instid0(SALU_CYCLE_3) | instskip(NEXT) | instid1(SALU_CYCLE_3)
	s_add_f32 s25, s43, s45
	v_dual_mov_b32 v6, s45 :: v_dual_mov_b32 v7, s25
	s_sub_f32 s26, s34, s25
	s_delay_alu instid0(SALU_CYCLE_3) | instskip(NEXT) | instid1(VALU_DEP_1)
	v_dual_mov_b32 v2, s25 :: v_dual_mov_b32 v5, s26
	v_pk_add_f32 v[2:3], v[2:3], v[4:5] neg_lo:[0,1] neg_hi:[0,1]
	s_delay_alu instid0(VALU_DEP_1) | instskip(NEXT) | instid1(VALU_DEP_1)
	v_pk_add_f32 v[2:3], v[2:3], v[6:7] neg_lo:[0,1] neg_hi:[0,1]
	v_readfirstlane_b32 s25, v3
	s_delay_alu instid0(VALU_DEP_2) | instskip(SKIP_1) | instid1(SALU_CYCLE_3)
	v_readfirstlane_b32 s34, v2
	s_add_f32 s25, s34, s25
	s_add_f32 s25, s26, s25
	s_delay_alu instid0(SALU_CYCLE_3) | instskip(NEXT) | instid1(SALU_CYCLE_3)
	s_mul_f32 s25, s27, s25
	s_add_f32 s26, s40, s25
	s_delay_alu instid0(SALU_CYCLE_3) | instskip(SKIP_1) | instid1(SALU_CYCLE_2)
	s_sub_f32 s27, s26, s40
	s_mul_f32 s34, s26, s26
	s_sub_f32 s25, s25, s27
	s_delay_alu instid0(SALU_CYCLE_2) | instskip(NEXT) | instid1(SALU_CYCLE_1)
	s_xor_b32 s27, s34, 0x80000000
	s_fmac_f32 s27, s26, s26
	s_delay_alu instid0(SALU_CYCLE_1) | instskip(NEXT) | instid1(SALU_CYCLE_3)
	s_add_f32 s40, s25, s25
	s_fmac_f32 s27, s26, s40
	s_mov_b32 s40, 0x3e76c4e1
	s_delay_alu instid0(SALU_CYCLE_2) | instskip(NEXT) | instid1(SALU_CYCLE_3)
	s_add_f32 s44, s34, s27
	s_fmaak_f32 s40, s44, s40, 0x3e91f4c4
	s_sub_f32 s34, s44, s34
	s_delay_alu instid0(SALU_CYCLE_2) | instskip(NEXT) | instid1(SALU_CYCLE_2)
	s_fmaak_f32 s40, s44, s40, 0x3ecccdef
	s_sub_f32 s34, s27, s34
	s_delay_alu instid0(SALU_CYCLE_2) | instskip(NEXT) | instid1(SALU_CYCLE_3)
	s_mul_f32 s43, s44, s40
	s_xor_b32 s45, s43, 0x80000000
	s_delay_alu instid0(SALU_CYCLE_1) | instskip(NEXT) | instid1(SALU_CYCLE_3)
	s_fmac_f32 s45, s44, s40
	s_fmac_f32 s45, s34, s40
	s_delay_alu instid0(SALU_CYCLE_3) | instskip(NEXT) | instid1(SALU_CYCLE_3)
	s_add_f32 s40, s43, s45
	s_sub_f32 s27, s40, s43
	s_add_f32 s43, s40, 0x3f2aaaaa
	s_delay_alu instid0(SALU_CYCLE_2) | instskip(NEXT) | instid1(SALU_CYCLE_2)
	s_sub_f32 s27, s45, s27
	s_add_f32 s45, s43, 0xbf2aaaaa
	s_delay_alu instid0(SALU_CYCLE_2) | instskip(NEXT) | instid1(SALU_CYCLE_2)
	s_add_f32 s27, s27, 0x31739010
	s_sub_f32 s45, s40, s45
	s_delay_alu instid0(SALU_CYCLE_2) | instskip(NEXT) | instid1(SALU_CYCLE_2)
	v_mov_b64_e32 v[2:3], s[26:27]
	v_mov_b64_e32 v[4:5], s[44:45]
	s_delay_alu instid0(VALU_DEP_1) | instskip(SKIP_2) | instid1(VALU_DEP_3)
	v_pk_mul_f32 v[6:7], v[2:3], v[4:5]
	v_pk_add_f32 v[2:3], v[2:3], v[4:5]
	v_mov_b32_e32 v9, s43
	v_xor_b32_e32 v8, 0x80000000, v6
	s_delay_alu instid0(VALU_DEP_3) | instskip(NEXT) | instid1(VALU_DEP_2)
	v_mov_b32_e32 v7, v3
	v_fmac_f32_e64 v8, s44, s26
	s_delay_alu instid0(VALU_DEP_1) | instskip(NEXT) | instid1(VALU_DEP_1)
	v_fmac_f32_e64 v8, s44, s25
	v_fmac_f32_e64 v8, s34, s26
	s_delay_alu instid0(VALU_DEP_1) | instskip(NEXT) | instid1(VALU_DEP_1)
	v_pk_add_f32 v[4:5], v[6:7], v[8:9]
	v_dual_mov_b32 v2, v5 :: v_dual_sub_f32 v7, s43, v5
	v_mul_f32_e32 v12, 0x3f317218, v1
	s_delay_alu instid0(VALU_DEP_2) | instskip(NEXT) | instid1(VALU_DEP_3)
	v_pk_mul_f32 v[10:11], v[4:5], v[2:3]
	v_add_f32_e32 v3, v3, v7
	s_delay_alu instid0(VALU_DEP_3) | instskip(NEXT) | instid1(VALU_DEP_3)
	v_xor_b32_e32 v7, 0x80000000, v12
	v_xor_b32_e32 v2, 0x80000000, v10
	s_delay_alu instid0(VALU_DEP_2) | instskip(NEXT) | instid1(VALU_DEP_2)
	v_dual_sub_f32 v6, v4, v6 :: v_dual_fmac_f32 v7, 0x3f317218, v1
	v_fmac_f32_e32 v2, v4, v5
	s_delay_alu instid0(VALU_DEP_2) | instskip(NEXT) | instid1(VALU_DEP_2)
	v_sub_f32_e32 v6, v8, v6
	v_fmac_f32_e32 v2, v4, v3
	s_delay_alu instid0(VALU_DEP_1) | instskip(SKIP_3) | instid1(VALU_DEP_2)
	v_fmac_f32_e32 v2, v6, v5
	v_fmamk_f32 v4, v1, 0xb102e308, v7
	v_ldexp_f32 v5, s26, 1
	v_ldexp_f32 v1, s25, 1
	v_dual_add_f32 v13, v10, v2 :: v_dual_mov_b32 v11, v5
	s_delay_alu instid0(VALU_DEP_1) | instskip(SKIP_1) | instid1(VALU_DEP_2)
	v_pk_add_f32 v[6:7], v[12:13], v[4:5]
	v_dual_mov_b32 v8, v13 :: v_dual_mov_b32 v3, v13
	v_dual_mov_b32 v9, v7 :: v_dual_mov_b32 v5, v6
	v_mov_b32_e32 v14, v7
	s_delay_alu instid0(VALU_DEP_2) | instskip(NEXT) | instid1(VALU_DEP_1)
	v_pk_add_f32 v[8:9], v[8:9], v[10:11] neg_lo:[0,1] neg_hi:[0,1]
	v_pk_add_f32 v[2:3], v[2:3], v[8:9] neg_lo:[0,1] neg_hi:[0,1]
	s_delay_alu instid0(VALU_DEP_1) | instskip(NEXT) | instid1(VALU_DEP_1)
	v_add_f32_e32 v1, v1, v2
	v_add_f32_e32 v13, v1, v3
	s_delay_alu instid0(VALU_DEP_1) | instskip(SKIP_1) | instid1(VALU_DEP_2)
	v_pk_add_f32 v[2:3], v[6:7], v[12:13]
	v_pk_add_f32 v[8:9], v[6:7], v[12:13] neg_lo:[0,1] neg_hi:[0,1]
	v_mov_b32_e32 v9, v3
	s_delay_alu instid0(VALU_DEP_1) | instskip(SKIP_2) | instid1(VALU_DEP_3)
	v_pk_add_f32 v[10:11], v[4:5], v[8:9]
	v_pk_add_f32 v[4:5], v[4:5], v[8:9] neg_lo:[0,1] neg_hi:[0,1]
	v_dual_mov_b32 v16, v3 :: v_dual_mov_b32 v5, v6
	v_dual_mov_b32 v12, v11 :: v_dual_mov_b32 v17, v11
	s_delay_alu instid0(VALU_DEP_3) | instskip(NEXT) | instid1(VALU_DEP_2)
	v_readfirstlane_b32 s25, v4
	v_pk_add_f32 v[8:9], v[12:13], v[6:7] neg_lo:[0,1] neg_hi:[0,1]
	s_delay_alu instid0(VALU_DEP_2) | instskip(NEXT) | instid1(VALU_DEP_2)
	v_dual_mov_b32 v4, v13 :: v_dual_mov_b32 v10, s25
	v_dual_mov_b32 v15, v8 :: v_dual_mov_b32 v1, v8
	s_delay_alu instid0(VALU_DEP_1) | instskip(NEXT) | instid1(VALU_DEP_2)
	v_pk_add_f32 v[6:7], v[16:17], v[14:15] neg_lo:[0,1] neg_hi:[0,1]
	v_pk_add_f32 v[2:3], v[2:3], v[0:1] neg_lo:[0,1] neg_hi:[0,1]
	v_mov_b32_e32 v2, s25
	s_delay_alu instid0(VALU_DEP_3) | instskip(NEXT) | instid1(VALU_DEP_1)
	v_pk_add_f32 v[4:5], v[4:5], v[6:7] neg_lo:[0,1] neg_hi:[0,1]
	v_pk_add_f32 v[2:3], v[2:3], v[4:5]
	s_delay_alu instid0(VALU_DEP_1) | instskip(NEXT) | instid1(VALU_DEP_2)
	v_readfirstlane_b32 s26, v2
	v_mov_b32_e32 v6, v3
	s_delay_alu instid0(VALU_DEP_1) | instskip(NEXT) | instid1(VALU_DEP_3)
	v_pk_add_f32 v[6:7], v[2:3], v[6:7]
	v_mov_b32_e32 v2, s26
	s_delay_alu instid0(VALU_DEP_2) | instskip(SKIP_1) | instid1(VALU_DEP_2)
	v_pk_add_f32 v[8:9], v[12:13], v[6:7]
	v_mov_b32_e32 v5, v6
	v_readfirstlane_b32 s27, v8
	s_delay_alu instid0(VALU_DEP_1) | instskip(NEXT) | instid1(VALU_DEP_1)
	v_mov_b32_e32 v3, s27
	v_pk_add_f32 v[2:3], v[2:3], v[10:11] neg_lo:[0,1] neg_hi:[0,1]
	s_delay_alu instid0(VALU_DEP_1) | instskip(NEXT) | instid1(VALU_DEP_2)
	v_readfirstlane_b32 s34, v2
	v_pk_add_f32 v[2:3], v[4:5], v[2:3] neg_lo:[0,1] neg_hi:[0,1]
	s_sub_f32 s26, s26, s34
	s_delay_alu instid0(VALU_DEP_1) | instskip(NEXT) | instid1(SALU_CYCLE_2)
	v_readfirstlane_b32 s34, v2
	s_sub_f32 s25, s25, s26
	v_readfirstlane_b32 s26, v3
	s_delay_alu instid0(SALU_CYCLE_2) | instskip(NEXT) | instid1(SALU_CYCLE_3)
	s_add_f32 s25, s34, s25
	s_add_f32 s25, s25, s26
	s_delay_alu instid0(SALU_CYCLE_3) | instskip(NEXT) | instid1(SALU_CYCLE_3)
	s_add_f32 s26, s27, s25
	s_mul_f32 s34, s11, s26
	s_sub_f32 s27, s26, s27
	s_delay_alu instid0(SALU_CYCLE_2) | instskip(NEXT) | instid1(SALU_CYCLE_2)
	s_xor_b32 s40, s34, 0x80000000
	s_sub_f32 s25, s25, s27
	s_fmac_f32 s40, s11, s26
	s_delay_alu instid0(SALU_CYCLE_3) | instskip(SKIP_1) | instid1(SALU_CYCLE_2)
	s_fmac_f32 s40, s11, s25
	v_cmp_class_f32_e64 s25, s34, 0x204
	s_add_f32 s26, s34, s40
	s_and_b32 s25, s25, exec_lo
	s_delay_alu instid0(SALU_CYCLE_2) | instskip(SKIP_1) | instid1(SALU_CYCLE_1)
	s_sub_f32 s25, s26, s34
	s_cselect_b32 s26, s34, s26
	s_and_b32 s27, s26, 0x7fffffff
	s_delay_alu instid0(SALU_CYCLE_1) | instskip(SKIP_1) | instid1(SALU_CYCLE_2)
	s_sub_f32 s25, s40, s25
	s_cmp_neq_f32 s27, 0x7f800000
	s_cselect_b32 s25, s25, 0
	s_cmp_eq_f32 s26, 0x42b17218
	s_cselect_b32 s27, 0x37000000, 0
	s_delay_alu instid0(SALU_CYCLE_1) | instskip(SKIP_1) | instid1(SALU_CYCLE_2)
	s_sub_f32 s26, s26, s27
	s_add_f32 s25, s27, s25
	s_mul_f32 s34, s26, 0x3fb8aa3b
	s_delay_alu instid0(SALU_CYCLE_3) | instskip(SKIP_3) | instid1(SALU_CYCLE_1)
	s_xor_b32 s40, s34, 0x80000000
	s_rndne_f32 s43, s34
	s_fmamk_f32 s40, s26, 0x3fb8aa3b, s40
	s_cmp_nlt_f32 s26, 0xc2ce8ed0
	s_sub_f32 s34, s34, s43
	s_delay_alu instid0(SALU_CYCLE_1)
	s_fmamk_f32 s40, s26, 0x32a5705f, s40
	s_cselect_b32 vcc_lo, -1, 0
	s_cmp_ngt_f32 s26, 0x42b17218
	s_trunc_f32 s26, s11
	s_add_f32 s34, s34, s40
	s_cvt_i32_f32 s40, s43
	s_delay_alu instid0(SALU_CYCLE_2)
	v_s_exp_f32 s34, s34
	v_nop
	s_delay_alu instid0(TRANS32_DEP_1) | instid1(SALU_CYCLE_1)
	v_ldexp_f32 v1, s34, s40
	s_mul_f32 s34, s11, 0.5
	s_delay_alu instid0(VALU_DEP_1) | instskip(SKIP_3) | instid1(VALU_DEP_1)
	v_cndmask_b32_e32 v1, 0, v1, vcc_lo
	s_cselect_b32 vcc_lo, -1, 0
	s_cmp_eq_f32 s26, s11
	s_trunc_f32 s40, s34
	v_cndmask_b32_e32 v1, 0x7f800000, v1, vcc_lo
	s_cselect_b32 s43, -1, 0
	s_delay_alu instid0(SALU_CYCLE_1) | instskip(NEXT) | instid1(VALU_DEP_1)
	s_cmp_neq_f32 s40, s34
	v_fma_f32 v2, s25, v1, v1
	v_cmp_class_f32_e64 vcc_lo, v1, 0x204
	s_cselect_b32 s27, -1, 0
	s_delay_alu instid0(SALU_CYCLE_1)
	s_and_b32 s25, s43, s27
	v_cndmask_b32_e32 v1, v2, v1, vcc_lo
	s_and_b32 s27, s25, exec_lo
	s_cselect_b32 s27, s10, 1.0
	s_cmp_eq_f32 s26, s11
	v_cmp_class_f32_e64 s26, s10, 0x204
	v_bfi_b32 v1, 0x7fffffff, v1, s27
	s_cselect_b32 vcc_lo, -1, 0
	s_cmp_lt_f32 s10, 0
	s_delay_alu instid0(VALU_DEP_1) | instskip(SKIP_2) | instid1(VALU_DEP_1)
	v_cndmask_b32_e32 v2, 0x7fc00000, v1, vcc_lo
	s_cselect_b32 vcc_lo, -1, 0
	s_cmp_eq_f32 s10, 0
	v_cndmask_b32_e32 v1, v1, v2, vcc_lo
	s_cselect_b32 s27, -1, 0
	s_delay_alu instid0(SALU_CYCLE_1) | instskip(SKIP_2) | instid1(SALU_CYCLE_1)
	s_or_b32 vcc_lo, s27, s26
	s_cmp_lt_f32 s11, 0
	s_cselect_b32 s11, -1, 0
	s_xor_b32 s11, s11, s27
	s_delay_alu instid0(SALU_CYCLE_1)
	s_and_b32 s11, s11, exec_lo
	s_cselect_b32 s11, 0, 0x7f800000
	s_and_b32 s25, s25, exec_lo
	s_cselect_b32 s25, s10, 0
	s_cmp_o_f32 s10, s10
	v_mov_b32_e32 v2, s25
	s_delay_alu instid0(VALU_DEP_1) | instskip(NEXT) | instid1(VALU_DEP_1)
	v_bfi_b32 v2, 0x7fffffff, s11, v2
	v_cndmask_b32_e32 v1, v1, v2, vcc_lo
	s_cselect_b32 vcc_lo, -1, 0
	s_delay_alu instid0(VALU_DEP_1)
	v_cndmask_b32_e32 v84, 0x7fc00000, v1, vcc_lo
.LBB89_4:
	s_bfe_u32 s11, ttmp6, 0x4000c
	v_bfe_u32 v83, v0, 10, 10
	s_add_co_i32 s11, s11, 1
	s_and_b32 s25, ttmp6, 15
	s_mul_i32 s26, ttmp9, s11
	s_ashr_i32 s10, s33, 31
	s_ashr_i32 s11, s29, 31
	s_add_co_i32 s25, s25, s26
	s_cmp_eq_u32 s42, 0
	v_lshlrev_b32_e32 v65, 1, v83
	s_cselect_b32 s25, ttmp9, s25
	s_load_b96 s[44:46], s[0:1], 0x70
	s_lshl_b32 s34, s25, 3
	v_and_b32_e32 v40, 0x3ff, v0
	v_dual_mov_b32 v45, 0 :: v_dual_add_nc_u32 v66, s34, v65
	s_delay_alu instid0(VALU_DEP_2) | instskip(NEXT) | instid1(VALU_DEP_2)
	v_lshlrev_b32_e32 v44, 4, v40
	v_mul_hi_u32 v1, v66, s20
	s_delay_alu instid0(VALU_DEP_1)
	v_dual_lshlrev_b32 v81, 3, v40 :: v_dual_add_nc_u32 v1, v66, v1
	v_or_b32_e32 v63, 1, v65
	s_wait_kmcnt 0x0
	s_mul_i32 s26, s28, s46
	s_mul_i32 s46, s33, s45
	s_ashr_i32 s27, s26, 31
	v_dual_lshrrev_b32 v1, s21, v1 :: v_dual_add_nc_u32 v64, s34, v63
	s_ashr_i32 s47, s46, 31
	s_add_nc_u64 s[4:5], s[4:5], s[26:27]
	s_ashr_i32 s45, s44, 31
	s_delay_alu instid0(VALU_DEP_1)
	v_mul_lo_u32 v1, v1, s22
	v_mul_hi_u32 v2, v64, s20
	s_add_nc_u64 s[4:5], s[4:5], s[46:47]
	v_mov_b32_e32 v79, v45
	s_lshr_b64 s[26:27], s[44:45], 2
	s_cmp_eq_u64 s[14:15], 0
	s_delay_alu instid0(VALU_DEP_2) | instskip(NEXT) | instid1(VALU_DEP_1)
	v_dual_sub_nc_u32 v78, v66, v1 :: v_dual_add_nc_u32 v2, v64, v2
	v_lshrrev_b32_e32 v0, s21, v2
	s_delay_alu instid0(VALU_DEP_1) | instskip(SKIP_3) | instid1(VALU_DEP_2)
	v_mul_lo_u32 v2, v0, s22
	v_add_nc_u64_e32 v[0:1], s[4:5], v[44:45]
	s_mul_u64 s[4:5], s[38:39], s[36:37]
	s_mov_b32 s37, 0
	v_sub_nc_u32_e32 v44, v64, v2
	v_mul_u64_e32 v[2:3], s[26:27], v[78:79]
	s_delay_alu instid0(VALU_DEP_2) | instskip(NEXT) | instid1(VALU_DEP_2)
	v_mul_u64_e32 v[4:5], s[26:27], v[44:45]
	v_lshl_add_u64 v[8:9], v[2:3], 2, v[0:1]
	s_delay_alu instid0(VALU_DEP_2)
	v_lshl_add_u64 v[10:11], v[4:5], 2, v[0:1]
	s_clause 0x1
	global_load_b128 v[0:3], v[8:9], off
	global_load_b128 v[4:7], v[10:11], off
	s_wait_xcnt 0x1
	v_add_nc_u32_e32 v8, 0x2400, v81
	s_wait_loadcnt 0x1
	v_fma_mixlo_f16 v0, s24, v0, 0
	v_fma_mixlo_f16 v1, s24, v1, 0
	s_wait_loadcnt 0x0
	v_fma_mixlo_f16 v4, s24, v4, 0
	v_fma_mixlo_f16 v5, s24, v5, 0
	v_lshlrev_b32_e32 v41, 9, v83
	v_fma_mixlo_f16 v2, s24, v2, 0
	v_fma_mixlo_f16 v3, s24, v3, 0
	v_lshlrev_b32_e32 v1, 16, v1
	v_and_b32_e32 v0, 0xffff, v0
	v_fma_mixlo_f16 v6, s24, v6, 0
	v_fma_mixlo_f16 v7, s24, v7, 0
	v_lshlrev_b32_e32 v5, 16, v5
	v_and_b32_e32 v4, 0xffff, v4
	v_dual_add_nc_u32 v9, v8, v41 :: v_dual_lshlrev_b32 v3, 16, v3
	v_and_b32_e32 v2, 0xffff, v2
	v_dual_lshlrev_b32 v7, 16, v7 :: v_dual_bitop2_b32 v0, v1, v0 bitop3:0x54
	v_and_b32_e32 v6, 0xffff, v6
	v_or_b32_e32 v4, v5, v4
	s_delay_alu instid0(VALU_DEP_4) | instskip(NEXT) | instid1(VALU_DEP_4)
	v_or3_b32 v1, v3, v2, 0
	v_or3_b32 v0, 0, 0, v0
	v_lshl_add_u32 v5, v63, 8, v8
	v_or3_b32 v3, v7, v6, 0
	v_or3_b32 v2, 0, 0, v4
	ds_store_b64 v9, v[0:1]
	ds_store_b64 v5, v[2:3]
	s_wait_dscnt 0x0
	s_barrier_signal -1
	s_barrier_wait -1
	s_cbranch_scc1 .LBB89_6
; %bb.5:
	s_load_b32 s2, s[0:1], 0xd0
	s_wait_kmcnt 0x0
	s_mul_i32 s2, s2, s28
	s_delay_alu instid0(SALU_CYCLE_1)
	s_add_co_i32 s2, s2, s25
	s_load_b32 s2, s[14:15], s2 offset:0x0 scale_offset
.LBB89_6:
	s_wait_xcnt 0x0
	s_clause 0x2
	s_load_b64 s[14:15], s[0:1], 0x8c
	s_load_b128 s[24:27], s[0:1], 0x98
	s_load_b64 s[44:45], s[0:1], 0xa8
	s_mul_i32 s4, s5, s3
	s_mov_b32 s36, s20
	s_sub_co_i32 s4, s38, s4
	s_ashr_i32 s40, s41, 1
	s_ashr_i32 s29, s28, 31
	s_xor_b32 s11, s10, s11
	s_add_co_i32 s20, s5, 1
	s_sub_co_i32 s39, s4, s3
	v_dual_lshlrev_b32 v79, 2, v40 :: v_dual_lshrrev_b32 v2, 3, v40
	v_mul_u32_u24_e32 v85, 0x90, v40
	v_dual_lshrrev_b32 v39, 4, v40 :: v_dual_bitop2_b32 v48, 1, v66 bitop3:0x54
	s_delay_alu instid0(VALU_DEP_3)
	v_and_b32_e32 v6, 28, v79
	v_and_b32_e32 v38, 60, v79
	v_mbcnt_lo_u32_b32 v80, -1, 0
	s_wait_kmcnt 0x0
	s_ashr_i32 s38, s14, 2
	s_ashr_i32 s10, s26, 2
	s_cmp_ge_u32 s4, s3
	s_mul_u64 s[24:25], s[24:25], s[28:29]
	s_cselect_b32 s14, s20, s5
	s_cselect_b32 s4, s39, s4
	s_add_co_i32 s20, s14, 1
	s_cmp_ge_u32 s4, s3
	s_add_nc_u64 s[4:5], s[6:7], s[24:25]
	s_cselect_b32 s3, s20, s14
	s_bfe_u32 s6, ttmp6, 0x40010
	s_xor_b32 s3, s3, s11
	s_and_b32 s14, ttmp7, 0xffff
	s_add_co_i32 s6, s6, 1
	s_sub_co_i32 s3, s3, s11
	s_bfe_u32 s7, ttmp6, 0x40004
	s_mul_i32 s11, s14, s6
	s_mul_i32 s6, s3, s15
	;; [unrolled: 1-line block ×3, first 2 shown]
	s_add_co_i32 s3, s7, s11
	s_ashr_i32 s7, s6, 31
	s_ashr_i32 s25, s24, 31
	s_cmp_eq_u32 s42, 0
	s_mul_u64 s[44:45], s[44:45], s[28:29]
	s_cselect_b32 s20, s14, s3
	s_add_nc_u64 s[4:5], s[4:5], s[6:7]
	s_sub_co_i32 s3, s2, 64
	s_lshl_b32 s14, s20, 6
	s_add_nc_u64 s[6:7], s[8:9], s[44:45]
	s_cmp_ge_i32 s14, s3
	s_add_nc_u64 s[8:9], s[6:7], s[24:25]
	s_cbranch_scc1 .LBB89_36
; %bb.7:
	v_mov_b32_e32 v55, 0
	v_lshl_add_u32 v2, v83, 2, v2
	v_dual_add_nc_u32 v3, v39, v65 :: v_dual_lshlrev_b32 v56, 2, v6
	s_ashr_i32 s39, s38, 31
	s_delay_alu instid0(VALU_DEP_3) | instskip(SKIP_3) | instid1(VALU_DEP_2)
	v_dual_mov_b32 v49, v55 :: v_dual_lshlrev_b32 v4, 2, v38
	s_lshl_b32 s6, s38, 4
	s_cmp_lg_u64 s[30:31], 0
	v_mul_lo_u32 v58, s38, v2
	v_mul_u64_e32 v[0:1], s[36:37], v[48:49]
	v_lshlrev_b32_e32 v0, 2, v6
	s_cselect_b32 s26, -1, 0
	s_lshl_b32 s7, s10, 3
	v_lshl_or_b32 v91, v3, 8, v4
	s_clause 0x1
	scratch_store_b32 off, v66, off offset:20
	scratch_store_b32 off, v64, off offset:16
	v_mad_u32_u24 v90, 0x90, v2, v0
	v_mul_lo_u32 v0, s10, v3
	v_mul_lo_u32 v87, v78, s40
	v_dual_mov_b32 v22, v55 :: v_dual_add_nc_u32 v49, 0x2400, v41
	v_ashrrev_i32_e32 v59, 31, v58
	v_lshl_add_u32 v88, v83, 8, 0x2c00
	v_dual_mov_b32 v17, 0xfeffffff :: v_dual_lshlrev_b32 v54, 2, v38
	v_mbcnt_lo_u32_b32 v89, -1, 0
	v_dual_mov_b32 v57, v55 :: v_dual_add_nc_u32 v92, 0x900, v90
	v_dual_mov_b32 v28, v55 :: v_dual_add_nc_u32 v93, 0x1200, v90
	;; [unrolled: 1-line block ×5, first 2 shown]
	v_add_nc_u32_e32 v97, 0x1800, v91
	v_mov_b32_e32 v45, v55
	s_ashr_i32 s11, s10, 31
	s_mov_b32 s27, 0xbbbac73d
	v_dual_add_nc_u32 v2, s7, v0 :: v_dual_add_nc_u32 v60, s6, v58
	v_dual_mov_b32 v16, 0xfeffffff :: v_dual_add_nc_u32 v1, v48, v1
	s_delay_alu instid0(VALU_DEP_2) | instskip(NEXT) | instid1(VALU_DEP_2)
	v_dual_add_nc_u32 v4, s7, v2 :: v_dual_add_nc_u32 v62, s6, v60
	v_dual_lshrrev_b32 v1, s21, v1 :: v_dual_ashrrev_i32 v61, 31, v60
	s_delay_alu instid0(VALU_DEP_2) | instskip(NEXT) | instid1(VALU_DEP_3)
	v_dual_ashrrev_i32 v3, 31, v2 :: v_dual_add_nc_u32 v6, s7, v4
	v_ashrrev_i32_e32 v63, 31, v62
	s_delay_alu instid0(VALU_DEP_3)
	v_mul_lo_u32 v8, v1, s22
	s_wait_xcnt 0x1
	v_dual_ashrrev_i32 v1, 31, v0 :: v_dual_add_nc_u32 v66, s6, v62
	v_dual_ashrrev_i32 v5, 31, v4 :: v_dual_ashrrev_i32 v7, 31, v6
	v_lshlrev_b64_e32 v[68:69], 2, v[2:3]
	s_wait_xcnt 0x0
	s_delay_alu instid0(VALU_DEP_3)
	v_lshlrev_b64_e32 v[64:65], 2, v[0:1]
	v_ashrrev_i32_e32 v67, 31, v66
	v_lshlrev_b64_e32 v[70:71], 2, v[4:5]
	s_add_nc_u64 s[6:7], s[0:1], 0xd0
	v_sub_nc_u32_e32 v0, v48, v8
	v_lshlrev_b64_e32 v[72:73], 2, v[6:7]
	s_delay_alu instid0(VALU_DEP_2)
	v_mul_lo_u32 v98, v0, s40
.LBB89_8:                               ; =>This Inner Loop Header: Depth=1
	s_ashr_i32 s15, s14, 31
	v_mov_b32_e32 v35, 0
	s_mul_u64 s[24:25], s[14:15], s[38:39]
	v_mov_b32_e32 v36, 0
	s_lshl_b64 s[24:25], s[24:25], 2
	s_delay_alu instid0(SALU_CYCLE_1) | instskip(NEXT) | instid1(SALU_CYCLE_1)
	s_add_nc_u64 s[24:25], s[4:5], s[24:25]
	v_lshl_add_u64 v[0:1], v[58:59], 2, s[24:25]
	v_lshl_add_u64 v[2:3], v[60:61], 2, s[24:25]
	;; [unrolled: 1-line block ×4, first 2 shown]
	s_delay_alu instid0(VALU_DEP_4) | instskip(NEXT) | instid1(VALU_DEP_4)
	v_add_nc_u64_e32 v[6:7], v[0:1], v[56:57]
	v_add_nc_u64_e32 v[4:5], v[2:3], v[56:57]
	s_delay_alu instid0(VALU_DEP_4) | instskip(NEXT) | instid1(VALU_DEP_4)
	v_add_nc_u64_e32 v[2:3], v[8:9], v[56:57]
	v_add_nc_u64_e32 v[0:1], v[10:11], v[56:57]
	s_clause 0x3
	global_load_b128 v[8:11], v[6:7], off
	global_load_b128 v[12:15], v[4:5], off
	;; [unrolled: 1-line block ×4, first 2 shown]
	s_wait_loadcnt 0x3
	ds_store_b128 v90, v[8:11]
	s_wait_loadcnt 0x2
	ds_store_b128 v92, v[12:15]
	;; [unrolled: 2-line block ×4, first 2 shown]
	s_wait_storecnt_dscnt 0x0
	s_barrier_signal -1
	s_barrier_wait -1
	ds_load_b128 v[10:13], v85
	ds_load_b128 v[18:21], v49
	ds_load_b128 v[24:27], v49 offset:256
	ds_load_b128 v[30:33], v85 offset:4608
	v_dual_mov_b32 v8, 0 :: v_dual_mov_b32 v9, 0
	s_wait_dscnt 0x2
	;;#ASMSTART
	v_dot2_f32_f16 v8, v10, v18, v8
	;;#ASMEND
	;;#ASMSTART
	v_dot2_f32_f16 v8, v11, v19, v8
	;;#ASMEND
	;;#ASMSTART
	v_dot2_f32_f16 v8, v12, v20, v8
	;;#ASMEND
	;;#ASMSTART
	v_dot2_f32_f16 v8, v13, v21, v8
	;;#ASMEND
	s_wait_dscnt 0x1
	;;#ASMSTART
	v_dot2_f32_f16 v35, v10, v24, v35
	;;#ASMEND
	;;#ASMSTART
	v_dot2_f32_f16 v35, v11, v25, v35
	;;#ASMEND
	;;#ASMSTART
	v_dot2_f32_f16 v35, v12, v26, v35
	;;#ASMEND
	;;#ASMSTART
	v_dot2_f32_f16 v35, v13, v27, v35
	;;#ASMEND
	s_wait_dscnt 0x0
	;;#ASMSTART
	v_dot2_f32_f16 v9, v30, v18, v9
	;;#ASMEND
	;;#ASMSTART
	v_dot2_f32_f16 v9, v31, v19, v9
	;;#ASMEND
	;;#ASMSTART
	v_dot2_f32_f16 v9, v32, v20, v9
	;;#ASMEND
	;;#ASMSTART
	v_dot2_f32_f16 v9, v33, v21, v9
	;;#ASMEND
	;;#ASMSTART
	v_dot2_f32_f16 v36, v30, v24, v36
	;;#ASMEND
	;;#ASMSTART
	v_dot2_f32_f16 v36, v31, v25, v36
	;;#ASMEND
	;;#ASMSTART
	v_dot2_f32_f16 v36, v32, v26, v36
	;;#ASMEND
	;;#ASMSTART
	v_dot2_f32_f16 v36, v33, v27, v36
	;;#ASMEND
	ds_load_b128 v[10:13], v85 offset:16
	ds_load_b128 v[18:21], v49 offset:16
	ds_load_b128 v[24:27], v49 offset:272
	ds_load_b128 v[30:33], v85 offset:4624
	s_wait_dscnt 0x2
	;;#ASMSTART
	v_dot2_f32_f16 v8, v10, v18, v8
	;;#ASMEND
	;;#ASMSTART
	v_dot2_f32_f16 v8, v11, v19, v8
	;;#ASMEND
	;;#ASMSTART
	v_dot2_f32_f16 v8, v12, v20, v8
	;;#ASMEND
	;;#ASMSTART
	v_dot2_f32_f16 v8, v13, v21, v8
	;;#ASMEND
	s_wait_dscnt 0x1
	;;#ASMSTART
	v_dot2_f32_f16 v35, v10, v24, v35
	;;#ASMEND
	;;#ASMSTART
	v_dot2_f32_f16 v35, v11, v25, v35
	;;#ASMEND
	;;#ASMSTART
	v_dot2_f32_f16 v35, v12, v26, v35
	;;#ASMEND
	;;#ASMSTART
	v_dot2_f32_f16 v35, v13, v27, v35
	;;#ASMEND
	s_wait_dscnt 0x0
	;;#ASMSTART
	v_dot2_f32_f16 v9, v30, v18, v9
	;;#ASMEND
	;;#ASMSTART
	v_dot2_f32_f16 v9, v31, v19, v9
	;;#ASMEND
	;;#ASMSTART
	v_dot2_f32_f16 v9, v32, v20, v9
	;;#ASMEND
	;;#ASMSTART
	v_dot2_f32_f16 v9, v33, v21, v9
	;;#ASMEND
	;;#ASMSTART
	v_dot2_f32_f16 v36, v30, v24, v36
	;;#ASMEND
	;;#ASMSTART
	v_dot2_f32_f16 v36, v31, v25, v36
	;;#ASMEND
	;;#ASMSTART
	v_dot2_f32_f16 v36, v32, v26, v36
	;;#ASMEND
	;;#ASMSTART
	v_dot2_f32_f16 v36, v33, v27, v36
	;;#ASMEND
	ds_load_b128 v[10:13], v85 offset:32
	ds_load_b128 v[18:21], v49 offset:32
	ds_load_b128 v[24:27], v49 offset:288
	ds_load_b128 v[30:33], v85 offset:4640
	;; [unrolled: 55-line block ×7, first 2 shown]
	s_wait_dscnt 0x2
	;;#ASMSTART
	v_dot2_f32_f16 v8, v10, v18, v8
	;;#ASMEND
	;;#ASMSTART
	v_dot2_f32_f16 v8, v11, v19, v8
	;;#ASMEND
	;;#ASMSTART
	v_dot2_f32_f16 v8, v12, v20, v8
	;;#ASMEND
	;;#ASMSTART
	v_dot2_f32_f16 v8, v13, v21, v8
	;;#ASMEND
	s_wait_dscnt 0x1
	;;#ASMSTART
	v_dot2_f32_f16 v35, v10, v24, v35
	;;#ASMEND
	;;#ASMSTART
	v_dot2_f32_f16 v35, v11, v25, v35
	;;#ASMEND
	;;#ASMSTART
	v_dot2_f32_f16 v35, v12, v26, v35
	;;#ASMEND
	;;#ASMSTART
	v_dot2_f32_f16 v35, v13, v27, v35
	;;#ASMEND
	s_wait_dscnt 0x0
	;;#ASMSTART
	v_dot2_f32_f16 v9, v30, v18, v9
	;;#ASMEND
	;;#ASMSTART
	v_dot2_f32_f16 v9, v31, v19, v9
	;;#ASMEND
	;;#ASMSTART
	v_dot2_f32_f16 v9, v32, v20, v9
	;;#ASMEND
	;;#ASMSTART
	v_dot2_f32_f16 v9, v33, v21, v9
	;;#ASMEND
	;;#ASMSTART
	v_dot2_f32_f16 v36, v30, v24, v36
	;;#ASMEND
	;;#ASMSTART
	v_dot2_f32_f16 v36, v31, v25, v36
	;;#ASMEND
	;; [unrolled: 3-line block ×4, first 2 shown]
	s_barrier_signal -1
	s_barrier_wait -1
	s_clause 0x3
	global_load_b128 v[10:13], v[6:7], off offset:128
	global_load_b128 v[4:7], v[4:5], off offset:128
	;; [unrolled: 1-line block ×4, first 2 shown]
	s_wait_loadcnt 0x3
	ds_store_b128 v90, v[10:13]
	s_wait_loadcnt 0x2
	ds_store_b128 v92, v[4:7]
	;; [unrolled: 2-line block ×4, first 2 shown]
	s_wait_dscnt 0x0
	s_barrier_signal -1
	s_barrier_wait -1
	ds_load_b128 v[0:3], v85
	ds_load_b128 v[4:7], v49 offset:128
	ds_load_b128 v[10:13], v49 offset:384
	ds_load_b128 v[18:21], v85 offset:4608
	s_wait_dscnt 0x2
	;;#ASMSTART
	v_dot2_f32_f16 v8, v0, v4, v8
	;;#ASMEND
	;;#ASMSTART
	v_dot2_f32_f16 v8, v1, v5, v8
	;;#ASMEND
	;;#ASMSTART
	v_dot2_f32_f16 v8, v2, v6, v8
	;;#ASMEND
	;;#ASMSTART
	v_dot2_f32_f16 v8, v3, v7, v8
	;;#ASMEND
	s_wait_dscnt 0x1
	;;#ASMSTART
	v_dot2_f32_f16 v35, v0, v10, v35
	;;#ASMEND
	;;#ASMSTART
	v_dot2_f32_f16 v35, v1, v11, v35
	;;#ASMEND
	;;#ASMSTART
	v_dot2_f32_f16 v35, v2, v12, v35
	;;#ASMEND
	;;#ASMSTART
	v_dot2_f32_f16 v35, v3, v13, v35
	;;#ASMEND
	s_wait_dscnt 0x0
	;;#ASMSTART
	v_dot2_f32_f16 v9, v18, v4, v9
	;;#ASMEND
	;;#ASMSTART
	v_dot2_f32_f16 v9, v19, v5, v9
	;;#ASMEND
	;;#ASMSTART
	v_dot2_f32_f16 v9, v20, v6, v9
	;;#ASMEND
	;;#ASMSTART
	v_dot2_f32_f16 v9, v21, v7, v9
	;;#ASMEND
	;;#ASMSTART
	v_dot2_f32_f16 v36, v18, v10, v36
	;;#ASMEND
	;;#ASMSTART
	v_dot2_f32_f16 v36, v19, v11, v36
	;;#ASMEND
	;;#ASMSTART
	v_dot2_f32_f16 v36, v20, v12, v36
	;;#ASMEND
	;;#ASMSTART
	v_dot2_f32_f16 v36, v21, v13, v36
	;;#ASMEND
	ds_load_b128 v[0:3], v85 offset:16
	ds_load_b128 v[4:7], v49 offset:144
	ds_load_b128 v[10:13], v49 offset:400
	ds_load_b128 v[18:21], v85 offset:4624
	s_wait_dscnt 0x2
	;;#ASMSTART
	v_dot2_f32_f16 v8, v0, v4, v8
	;;#ASMEND
	;;#ASMSTART
	v_dot2_f32_f16 v8, v1, v5, v8
	;;#ASMEND
	;;#ASMSTART
	v_dot2_f32_f16 v8, v2, v6, v8
	;;#ASMEND
	;;#ASMSTART
	v_dot2_f32_f16 v8, v3, v7, v8
	;;#ASMEND
	s_wait_dscnt 0x1
	;;#ASMSTART
	v_dot2_f32_f16 v35, v0, v10, v35
	;;#ASMEND
	;;#ASMSTART
	v_dot2_f32_f16 v35, v1, v11, v35
	;;#ASMEND
	;;#ASMSTART
	v_dot2_f32_f16 v35, v2, v12, v35
	;;#ASMEND
	;;#ASMSTART
	v_dot2_f32_f16 v35, v3, v13, v35
	;;#ASMEND
	s_wait_dscnt 0x0
	;;#ASMSTART
	v_dot2_f32_f16 v9, v18, v4, v9
	;;#ASMEND
	;;#ASMSTART
	v_dot2_f32_f16 v9, v19, v5, v9
	;;#ASMEND
	;;#ASMSTART
	v_dot2_f32_f16 v9, v20, v6, v9
	;;#ASMEND
	;;#ASMSTART
	v_dot2_f32_f16 v9, v21, v7, v9
	;;#ASMEND
	;;#ASMSTART
	v_dot2_f32_f16 v36, v18, v10, v36
	;;#ASMEND
	;;#ASMSTART
	v_dot2_f32_f16 v36, v19, v11, v36
	;;#ASMEND
	;;#ASMSTART
	v_dot2_f32_f16 v36, v20, v12, v36
	;;#ASMEND
	;;#ASMSTART
	v_dot2_f32_f16 v36, v21, v13, v36
	;;#ASMEND
	ds_load_b128 v[0:3], v85 offset:32
	;; [unrolled: 55-line block ×7, first 2 shown]
	ds_load_b128 v[4:7], v49 offset:240
	ds_load_b128 v[10:13], v49 offset:496
	;; [unrolled: 1-line block ×3, first 2 shown]
	s_wait_dscnt 0x2
	;;#ASMSTART
	v_dot2_f32_f16 v8, v0, v4, v8
	;;#ASMEND
	;;#ASMSTART
	v_dot2_f32_f16 v8, v1, v5, v8
	;;#ASMEND
	;; [unrolled: 3-line block ×4, first 2 shown]
	s_wait_dscnt 0x1
	;;#ASMSTART
	v_dot2_f32_f16 v35, v0, v10, v35
	;;#ASMEND
	;;#ASMSTART
	v_dot2_f32_f16 v35, v1, v11, v35
	;;#ASMEND
	;; [unrolled: 3-line block ×4, first 2 shown]
	s_wait_dscnt 0x0
	;;#ASMSTART
	v_dot2_f32_f16 v9, v18, v4, v9
	;;#ASMEND
	v_cmp_ngt_f32_e64 s24, 0x3f200000, |v8|
	;;#ASMSTART
	v_dot2_f32_f16 v9, v19, v5, v9
	;;#ASMEND
	;;#ASMSTART
	v_dot2_f32_f16 v9, v20, v6, v9
	;;#ASMEND
	;; [unrolled: 3-line block ×7, first 2 shown]
                                        ; implicit-def: $vgpr1
	s_and_saveexec_b32 s25, s24
	s_delay_alu instid0(SALU_CYCLE_1)
	s_xor_b32 s24, exec_lo, s25
	s_cbranch_execz .LBB89_10
; %bb.9:                                ;   in Loop: Header=BB89_8 Depth=1
	v_add_f32_e64 v0, |v8|, |v8|
	s_delay_alu instid0(VALU_DEP_1) | instskip(SKIP_1) | instid1(VALU_DEP_2)
	v_mul_f32_e32 v1, 0x3fb8aa3b, v0
	v_cmp_ngt_f32_e32 vcc_lo, 0xc2ce8ed0, v0
	v_rndne_f32_e32 v2, v1
	v_fma_f32 v3, 0x3fb8aa3b, v0, -v1
	s_delay_alu instid0(VALU_DEP_2) | instskip(NEXT) | instid1(VALU_DEP_2)
	v_sub_f32_e32 v1, v1, v2
	v_fmac_f32_e32 v3, 0x32a5705f, v0
	v_cvt_i32_f32_e32 v2, v2
	s_delay_alu instid0(VALU_DEP_2) | instskip(NEXT) | instid1(VALU_DEP_1)
	v_add_f32_e32 v1, v1, v3
	v_exp_f32_e32 v1, v1
	v_nop
	s_delay_alu instid0(TRANS32_DEP_1) | instskip(NEXT) | instid1(VALU_DEP_1)
	v_ldexp_f32 v1, v1, v2
	v_cndmask_b32_e32 v1, 0, v1, vcc_lo
	v_cmp_nlt_f32_e32 vcc_lo, 0x42b17218, v0
	s_delay_alu instid0(VALU_DEP_2) | instskip(NEXT) | instid1(VALU_DEP_1)
	v_cndmask_b32_e32 v0, 0x7f800000, v1, vcc_lo
	v_add_f32_e32 v0, 1.0, v0
	s_delay_alu instid0(VALU_DEP_1) | instskip(SKIP_1) | instid1(TRANS32_DEP_1)
	v_rcp_f32_e32 v0, v0
	v_nop
	v_fma_f32 v1, v0, -2.0, 1.0
.LBB89_10:                              ;   in Loop: Header=BB89_8 Depth=1
	s_and_not1_saveexec_b32 s24, s24
	s_cbranch_execz .LBB89_12
; %bb.11:                               ;   in Loop: Header=BB89_8 Depth=1
	v_mul_f32_e32 v0, v8, v8
	s_delay_alu instid0(VALU_DEP_1) | instskip(NEXT) | instid1(VALU_DEP_1)
	v_fmaak_f32 v1, s27, v0, 0x3ca908c9
	v_fmaak_f32 v1, v0, v1, 0xbd5c1c4e
	s_delay_alu instid0(VALU_DEP_1) | instskip(NEXT) | instid1(VALU_DEP_1)
	v_fmaak_f32 v1, v0, v1, 0x3e088382
	v_fmaak_f32 v1, v0, v1, 0xbeaaaa99
	s_delay_alu instid0(VALU_DEP_1) | instskip(NEXT) | instid1(VALU_DEP_1)
	v_mul_f32_e64 v1, |v8|, v1
	v_fma_f32 v1, v0, v1, |v8|
.LBB89_12:                              ;   in Loop: Header=BB89_8 Depth=1
	s_or_b32 exec_lo, exec_lo, s24
	v_add_nc_u32_e32 v0, s14, v40
	s_and_not1_b32 vcc_lo, exec_lo, s26
	s_delay_alu instid0(VALU_DEP_1)
	v_add_nc_u32_e32 v2, v0, v87
	s_cbranch_vccnz .LBB89_35
; %bb.13:                               ;   in Loop: Header=BB89_8 Depth=1
	global_load_u16 v3, v2, s[30:31] scale_offset
	s_wait_loadcnt 0x0
	v_cvt_f32_f16_e32 v3, v3
	s_delay_alu instid0(VALU_DEP_1) | instskip(SKIP_2) | instid1(SALU_CYCLE_1)
	v_mul_f32_e32 v18, v84, v3
	v_cmp_ngt_f32_e64 s24, 0x3f200000, |v9|
                                        ; implicit-def: $vgpr3
	s_and_saveexec_b32 s25, s24
	s_xor_b32 s24, exec_lo, s25
	s_cbranch_execz .LBB89_15
.LBB89_14:                              ;   in Loop: Header=BB89_8 Depth=1
	v_add_f32_e64 v3, |v9|, |v9|
	s_delay_alu instid0(VALU_DEP_1) | instskip(SKIP_1) | instid1(VALU_DEP_2)
	v_mul_f32_e32 v4, 0x3fb8aa3b, v3
	v_cmp_ngt_f32_e32 vcc_lo, 0xc2ce8ed0, v3
	v_rndne_f32_e32 v5, v4
	v_fma_f32 v6, 0x3fb8aa3b, v3, -v4
	s_delay_alu instid0(VALU_DEP_2) | instskip(NEXT) | instid1(VALU_DEP_2)
	v_sub_f32_e32 v4, v4, v5
	v_fmac_f32_e32 v6, 0x32a5705f, v3
	v_cvt_i32_f32_e32 v5, v5
	s_delay_alu instid0(VALU_DEP_2) | instskip(NEXT) | instid1(VALU_DEP_1)
	v_add_f32_e32 v4, v4, v6
	v_exp_f32_e32 v4, v4
	v_nop
	s_delay_alu instid0(TRANS32_DEP_1) | instskip(NEXT) | instid1(VALU_DEP_1)
	v_ldexp_f32 v4, v4, v5
	v_cndmask_b32_e32 v4, 0, v4, vcc_lo
	v_cmp_nlt_f32_e32 vcc_lo, 0x42b17218, v3
	s_delay_alu instid0(VALU_DEP_2) | instskip(NEXT) | instid1(VALU_DEP_1)
	v_cndmask_b32_e32 v3, 0x7f800000, v4, vcc_lo
	v_add_f32_e32 v3, 1.0, v3
	s_delay_alu instid0(VALU_DEP_1) | instskip(SKIP_1) | instid1(TRANS32_DEP_1)
	v_rcp_f32_e32 v3, v3
	v_nop
	v_fma_f32 v3, v3, -2.0, 1.0
.LBB89_15:                              ;   in Loop: Header=BB89_8 Depth=1
	s_and_not1_saveexec_b32 s24, s24
	s_cbranch_execz .LBB89_18
; %bb.16:                               ;   in Loop: Header=BB89_8 Depth=1
	v_mul_f32_e32 v3, v9, v9
	s_delay_alu instid0(VALU_DEP_1) | instskip(NEXT) | instid1(VALU_DEP_1)
	v_fmaak_f32 v4, s27, v3, 0x3ca908c9
	v_fmaak_f32 v4, v3, v4, 0xbd5c1c4e
	s_delay_alu instid0(VALU_DEP_1) | instskip(NEXT) | instid1(VALU_DEP_1)
	v_fmaak_f32 v4, v3, v4, 0x3e088382
	v_fmaak_f32 v4, v3, v4, 0xbeaaaa99
	s_delay_alu instid0(VALU_DEP_1) | instskip(NEXT) | instid1(VALU_DEP_1)
	v_mul_f32_e64 v4, |v9|, v4
	v_fma_f32 v3, v3, v4, |v9|
	s_or_b32 exec_lo, exec_lo, s24
	s_delay_alu instid0(SALU_CYCLE_1)
	s_and_not1_b32 vcc_lo, exec_lo, s26
	s_cbranch_vccz .LBB89_19
.LBB89_17:                              ;   in Loop: Header=BB89_8 Depth=1
	v_mov_b32_e32 v19, 0
	s_branch .LBB89_20
.LBB89_18:                              ;   in Loop: Header=BB89_8 Depth=1
	s_or_b32 exec_lo, exec_lo, s24
	s_delay_alu instid0(SALU_CYCLE_1)
	s_and_not1_b32 vcc_lo, exec_lo, s26
	s_cbranch_vccnz .LBB89_17
.LBB89_19:                              ;   in Loop: Header=BB89_8 Depth=1
	global_load_u16 v2, v2, s[30:31] offset:64 scale_offset
	s_wait_loadcnt 0x0
	v_cvt_f32_f16_e32 v2, v2
	s_delay_alu instid0(VALU_DEP_1)
	v_mul_f32_e32 v19, v84, v2
.LBB89_20:                              ;   in Loop: Header=BB89_8 Depth=1
	v_bfi_b32 v1, 0x7fffffff, v1, v8
	v_bfi_b32 v2, 0x7fffffff, v3, v9
	v_xor_b32_e32 v3, 16, v89
	v_cmp_ngt_f32_e64 s24, 0x3f200000, |v35|
                                        ; implicit-def: $vgpr33
	s_delay_alu instid0(VALU_DEP_3) | instskip(NEXT) | instid1(VALU_DEP_3)
	v_fmac_f32_e32 v19, s35, v2
	v_cmp_gt_i32_e32 vcc_lo, 32, v3
	v_dual_fmac_f32 v18, s35, v1 :: v_dual_cndmask_b32 v1, v89, v3
	s_delay_alu instid0(VALU_DEP_1) | instskip(NEXT) | instid1(VALU_DEP_2)
	v_dual_add_f32 v2, 0x40051340, v18 :: v_dual_add_f32 v3, 0x40051340, v19
	v_lshlrev_b32_e32 v21, 2, v1
	s_delay_alu instid0(VALU_DEP_2) | instskip(SKIP_1) | instid1(VALU_DEP_1)
	v_max3_num_f32 v1, v17, v2, v3
	v_xor_b32_e32 v3, 8, v89
	v_cmp_gt_i32_e32 vcc_lo, 32, v3
	v_cndmask_b32_e32 v3, v89, v3, vcc_lo
	ds_bpermute_b32 v2, v21, v1
	s_wait_dscnt 0x0
	v_dual_max_num_f32 v2, v2, v2 :: v_dual_lshlrev_b32 v26, 2, v3
	s_delay_alu instid0(VALU_DEP_1) | instskip(SKIP_3) | instid1(VALU_DEP_1)
	v_max_num_f32_e32 v1, v1, v2
	ds_bpermute_b32 v2, v26, v1
	s_wait_dscnt 0x0
	v_dual_max_num_f32 v2, v2, v2 :: v_dual_bitop2_b32 v3, 4, v89 bitop3:0x14
	v_cmp_gt_i32_e32 vcc_lo, 32, v3
	s_delay_alu instid0(VALU_DEP_2) | instskip(SKIP_1) | instid1(VALU_DEP_1)
	v_max_num_f32_e32 v1, v1, v2
	v_cndmask_b32_e32 v3, v89, v3, vcc_lo
	v_lshlrev_b32_e32 v27, 2, v3
	ds_bpermute_b32 v2, v27, v1
	s_wait_dscnt 0x0
	v_dual_max_num_f32 v2, v2, v2 :: v_dual_bitop2_b32 v3, 2, v89 bitop3:0x14
	s_delay_alu instid0(VALU_DEP_1) | instskip(NEXT) | instid1(VALU_DEP_2)
	v_max_num_f32_e32 v1, v1, v2
	v_cmp_gt_i32_e32 vcc_lo, 32, v3
	v_cndmask_b32_e32 v3, v89, v3, vcc_lo
	s_delay_alu instid0(VALU_DEP_1) | instskip(SKIP_4) | instid1(VALU_DEP_1)
	v_dual_lshlrev_b32 v30, 2, v3 :: v_dual_bitop2_b32 v3, 1, v89 bitop3:0x14
	ds_bpermute_b32 v2, v30, v1
	v_cmp_gt_i32_e32 vcc_lo, 32, v3
	s_wait_dscnt 0x0
	v_dual_cndmask_b32 v3, v89, v3 :: v_dual_max_num_f32 v2, v2, v2
	v_dual_max_num_f32 v31, v1, v2 :: v_dual_lshlrev_b32 v20, 2, v3
	ds_bpermute_b32 v32, v20, v31
	s_and_saveexec_b32 s25, s24
	s_delay_alu instid0(SALU_CYCLE_1)
	s_xor_b32 s24, exec_lo, s25
	s_cbranch_execz .LBB89_28
; %bb.21:                               ;   in Loop: Header=BB89_8 Depth=1
	v_add_f32_e64 v1, |v35|, |v35|
	s_delay_alu instid0(VALU_DEP_1) | instskip(SKIP_1) | instid1(VALU_DEP_2)
	v_mul_f32_e32 v2, 0x3fb8aa3b, v1
	v_cmp_ngt_f32_e32 vcc_lo, 0xc2ce8ed0, v1
	v_rndne_f32_e32 v3, v2
	v_fma_f32 v4, 0x3fb8aa3b, v1, -v2
	s_delay_alu instid0(VALU_DEP_2) | instskip(NEXT) | instid1(VALU_DEP_2)
	v_sub_f32_e32 v2, v2, v3
	v_fmac_f32_e32 v4, 0x32a5705f, v1
	v_cvt_i32_f32_e32 v3, v3
	s_delay_alu instid0(VALU_DEP_2) | instskip(NEXT) | instid1(VALU_DEP_1)
	v_add_f32_e32 v2, v2, v4
	v_exp_f32_e32 v2, v2
	v_nop
	s_delay_alu instid0(TRANS32_DEP_1) | instskip(NEXT) | instid1(VALU_DEP_1)
	v_ldexp_f32 v2, v2, v3
	v_cndmask_b32_e32 v2, 0, v2, vcc_lo
	v_cmp_nlt_f32_e32 vcc_lo, 0x42b17218, v1
	s_delay_alu instid0(VALU_DEP_2) | instskip(NEXT) | instid1(VALU_DEP_1)
	v_cndmask_b32_e32 v1, 0x7f800000, v2, vcc_lo
	v_add_f32_e32 v1, 1.0, v1
	s_delay_alu instid0(VALU_DEP_1) | instskip(SKIP_1) | instid1(TRANS32_DEP_1)
	v_rcp_f32_e32 v1, v1
	v_nop
	v_fma_f32 v33, v1, -2.0, 1.0
	s_and_not1_saveexec_b32 s24, s24
	s_cbranch_execnz .LBB89_29
.LBB89_22:                              ;   in Loop: Header=BB89_8 Depth=1
	s_or_b32 exec_lo, exec_lo, s24
	v_add_nc_u32_e32 v0, v0, v98
	s_and_not1_b32 vcc_lo, exec_lo, s26
	s_cbranch_vccnz .LBB89_30
.LBB89_23:                              ;   in Loop: Header=BB89_8 Depth=1
	global_load_u16 v1, v0, s[30:31] scale_offset
	s_wait_loadcnt 0x0
	v_cvt_f32_f16_e32 v1, v1
	s_delay_alu instid0(VALU_DEP_1) | instskip(SKIP_2) | instid1(SALU_CYCLE_1)
	v_mul_f32_e32 v24, v84, v1
	v_cmp_ngt_f32_e64 s24, 0x3f200000, |v36|
                                        ; implicit-def: $vgpr34
	s_and_saveexec_b32 s25, s24
	s_xor_b32 s24, exec_lo, s25
	s_cbranch_execz .LBB89_25
.LBB89_24:                              ;   in Loop: Header=BB89_8 Depth=1
	v_add_f32_e64 v1, |v36|, |v36|
	s_delay_alu instid0(VALU_DEP_1) | instskip(SKIP_1) | instid1(VALU_DEP_2)
	v_mul_f32_e32 v2, 0x3fb8aa3b, v1
	v_cmp_ngt_f32_e32 vcc_lo, 0xc2ce8ed0, v1
	v_rndne_f32_e32 v3, v2
	v_fma_f32 v4, 0x3fb8aa3b, v1, -v2
	s_delay_alu instid0(VALU_DEP_2) | instskip(NEXT) | instid1(VALU_DEP_2)
	v_sub_f32_e32 v2, v2, v3
	v_fmac_f32_e32 v4, 0x32a5705f, v1
	v_cvt_i32_f32_e32 v3, v3
	s_delay_alu instid0(VALU_DEP_2) | instskip(NEXT) | instid1(VALU_DEP_1)
	v_add_f32_e32 v2, v2, v4
	v_exp_f32_e32 v2, v2
	v_nop
	s_delay_alu instid0(TRANS32_DEP_1) | instskip(NEXT) | instid1(VALU_DEP_1)
	v_ldexp_f32 v2, v2, v3
	v_cndmask_b32_e32 v2, 0, v2, vcc_lo
	v_cmp_nlt_f32_e32 vcc_lo, 0x42b17218, v1
	s_delay_alu instid0(VALU_DEP_2) | instskip(NEXT) | instid1(VALU_DEP_1)
	v_cndmask_b32_e32 v1, 0x7f800000, v2, vcc_lo
	v_add_f32_e32 v1, 1.0, v1
	s_delay_alu instid0(VALU_DEP_1) | instskip(SKIP_1) | instid1(TRANS32_DEP_1)
	v_rcp_f32_e32 v1, v1
	v_nop
	v_fma_f32 v34, v1, -2.0, 1.0
.LBB89_25:                              ;   in Loop: Header=BB89_8 Depth=1
	s_and_not1_saveexec_b32 s24, s24
	s_cbranch_execz .LBB89_31
; %bb.26:                               ;   in Loop: Header=BB89_8 Depth=1
	v_mul_f32_e32 v1, v36, v36
	s_delay_alu instid0(VALU_DEP_1) | instskip(NEXT) | instid1(VALU_DEP_1)
	v_fmaak_f32 v2, s27, v1, 0x3ca908c9
	v_fmaak_f32 v2, v1, v2, 0xbd5c1c4e
	s_delay_alu instid0(VALU_DEP_1) | instskip(NEXT) | instid1(VALU_DEP_1)
	v_fmaak_f32 v2, v1, v2, 0x3e088382
	v_fmaak_f32 v2, v1, v2, 0xbeaaaa99
	s_delay_alu instid0(VALU_DEP_1) | instskip(NEXT) | instid1(VALU_DEP_1)
	v_mul_f32_e64 v2, |v36|, v2
	v_fma_f32 v34, v1, v2, |v36|
	s_or_b32 exec_lo, exec_lo, s24
	s_delay_alu instid0(SALU_CYCLE_1)
	s_and_not1_b32 vcc_lo, exec_lo, s26
	s_cbranch_vccz .LBB89_32
.LBB89_27:                              ;   in Loop: Header=BB89_8 Depth=1
	v_mov_b32_e32 v25, 0
	s_branch .LBB89_33
.LBB89_28:                              ;   in Loop: Header=BB89_8 Depth=1
	s_and_not1_saveexec_b32 s24, s24
	s_cbranch_execz .LBB89_22
.LBB89_29:                              ;   in Loop: Header=BB89_8 Depth=1
	v_mul_f32_e32 v1, v35, v35
	s_delay_alu instid0(VALU_DEP_1) | instskip(NEXT) | instid1(VALU_DEP_1)
	v_fmaak_f32 v2, s27, v1, 0x3ca908c9
	v_fmaak_f32 v2, v1, v2, 0xbd5c1c4e
	s_delay_alu instid0(VALU_DEP_1) | instskip(NEXT) | instid1(VALU_DEP_1)
	v_fmaak_f32 v2, v1, v2, 0x3e088382
	v_fmaak_f32 v2, v1, v2, 0xbeaaaa99
	s_delay_alu instid0(VALU_DEP_1) | instskip(NEXT) | instid1(VALU_DEP_1)
	v_mul_f32_e64 v2, |v35|, v2
	v_fma_f32 v33, v1, v2, |v35|
	s_or_b32 exec_lo, exec_lo, s24
	v_add_nc_u32_e32 v0, v0, v98
	s_and_not1_b32 vcc_lo, exec_lo, s26
	s_cbranch_vccz .LBB89_23
.LBB89_30:                              ;   in Loop: Header=BB89_8 Depth=1
	v_mov_b32_e32 v24, 0
	v_cmp_ngt_f32_e64 s24, 0x3f200000, |v36|
                                        ; implicit-def: $vgpr34
	s_and_saveexec_b32 s25, s24
	s_delay_alu instid0(SALU_CYCLE_1)
	s_xor_b32 s24, exec_lo, s25
	s_cbranch_execz .LBB89_25
	s_branch .LBB89_24
.LBB89_31:                              ;   in Loop: Header=BB89_8 Depth=1
	s_or_b32 exec_lo, exec_lo, s24
	s_delay_alu instid0(SALU_CYCLE_1)
	s_and_not1_b32 vcc_lo, exec_lo, s26
	s_cbranch_vccnz .LBB89_27
.LBB89_32:                              ;   in Loop: Header=BB89_8 Depth=1
	global_load_u16 v0, v0, s[30:31] offset:64 scale_offset
	s_wait_loadcnt 0x0
	v_cvt_f32_f16_e32 v0, v0
	s_delay_alu instid0(VALU_DEP_1)
	v_mul_f32_e32 v25, v84, v0
.LBB89_33:                              ;   in Loop: Header=BB89_8 Depth=1
	s_mul_u64 s[24:25], s[14:15], s[10:11]
	s_wait_dscnt 0x0
	s_lshl_b64 s[24:25], s[24:25], 2
	s_barrier_signal -1
	s_add_nc_u64 s[24:25], s[8:9], s[24:25]
	s_barrier_wait -1
	v_add_nc_u64_e32 v[0:1], s[24:25], v[64:65]
	v_add_nc_u64_e32 v[2:3], s[24:25], v[68:69]
	;; [unrolled: 1-line block ×4, first 2 shown]
	v_bfi_b32 v33, 0x7fffffff, v33, v35
	v_bfi_b32 v34, 0x7fffffff, v34, v36
	v_add_nc_u64_e32 v[0:1], v[0:1], v[54:55]
	v_add_nc_u64_e32 v[8:9], v[2:3], v[54:55]
	;; [unrolled: 1-line block ×4, first 2 shown]
	v_dual_fmac_f32 v24, s35, v33 :: v_dual_fmac_f32 v25, s35, v34
	s_or_b32 s24, s14, 32
	s_clause 0x3
	global_load_b128 v[0:3], v[0:1], off
	global_load_b128 v[4:7], v[8:9], off
	;; [unrolled: 1-line block ×4, first 2 shown]
	s_ashr_i32 s25, s24, 31
	v_dual_add_f32 v33, 0x40051340, v24 :: v_dual_add_f32 v34, 0x40051340, v25
	s_mul_u64 s[24:25], s[24:25], s[10:11]
	v_max_num_f32_e32 v31, v31, v31
	s_lshl_b64 s[24:25], s[24:25], 2
	s_delay_alu instid0(VALU_DEP_2) | instskip(SKIP_4) | instid1(VALU_DEP_1)
	v_max3_num_f32 v33, v16, v33, v34
	s_add_nc_u64 s[24:25], s[8:9], s[24:25]
	ds_bpermute_b32 v21, v21, v33
	s_wait_dscnt 0x0
	v_max_num_f32_e32 v21, v21, v21
	v_max_num_f32_e32 v21, v33, v21
	ds_bpermute_b32 v26, v26, v21
	s_wait_dscnt 0x0
	v_max_num_f32_e32 v26, v26, v26
	s_delay_alu instid0(VALU_DEP_1) | instskip(SKIP_3) | instid1(VALU_DEP_1)
	v_max_num_f32_e32 v21, v21, v26
	ds_bpermute_b32 v26, v27, v21
	s_wait_dscnt 0x0
	v_max_num_f32_e32 v26, v26, v26
	v_max_num_f32_e32 v21, v21, v26
	ds_bpermute_b32 v27, v30, v21
	v_max_num_f32_e32 v30, v32, v32
	v_add_nc_u32_e32 v26, v88, v79
	v_add_nc_u32_e32 v100, 0x1000, v81
	s_delay_alu instid0(VALU_DEP_3) | instskip(NEXT) | instid1(VALU_DEP_1)
	v_dual_max_num_f32 v46, v31, v30 :: v_dual_add_nc_u32 v99, 0x1800, v81
	v_dual_sub_f32 v18, v18, v46 :: v_dual_add_nc_u32 v101, 0x800, v81
	v_sub_f32_e32 v30, v17, v46
	s_delay_alu instid0(VALU_DEP_2) | instskip(SKIP_2) | instid1(VALU_DEP_1)
	v_cmp_ngt_f32_e32 vcc_lo, 0xc2ce8ed0, v18
	s_wait_dscnt 0x0
	v_max_num_f32_e32 v27, v27, v27
	v_dual_sub_f32 v19, v19, v46 :: v_dual_max_num_f32 v17, v21, v27
	ds_bpermute_b32 v20, v20, v17
	s_wait_dscnt 0x0
	v_dual_mul_f32 v21, 0x3fb8aa3b, v18 :: v_dual_max_num_f32 v20, v20, v20
	s_delay_alu instid0(VALU_DEP_1) | instskip(SKIP_1) | instid1(VALU_DEP_2)
	v_fma_f32 v32, 0x3fb8aa3b, v18, -v21
	v_rndne_f32_e32 v33, v21
	v_dual_max_num_f32 v47, v17, v20 :: v_dual_fmac_f32 v32, 0x32a5705f, v18
	s_delay_alu instid0(VALU_DEP_2) | instskip(NEXT) | instid1(VALU_DEP_1)
	v_sub_f32_e32 v21, v21, v33
	v_add_f32_e32 v21, v21, v32
	v_cvt_i32_f32_e32 v32, v33
	s_delay_alu instid0(VALU_DEP_2) | instskip(SKIP_2) | instid1(TRANS32_DEP_1)
	v_exp_f32_e32 v33, v21
	v_nop
	v_add_nc_u64_e32 v[20:21], s[24:25], v[64:65]
	v_ldexp_f32 v17, v33, v32
	s_delay_alu instid0(VALU_DEP_1) | instskip(SKIP_3) | instid1(VALU_DEP_3)
	v_cndmask_b32_e32 v17, 0, v17, vcc_lo
	v_dual_mul_f32 v31, 0x3fb8aa3b, v30 :: v_dual_sub_f32 v24, v24, v47
	v_mul_f32_e32 v27, 0x3fb8aa3b, v19
	v_dual_sub_f32 v33, v16, v47 :: v_dual_sub_f32 v25, v25, v47
	v_fma_f32 v36, 0x3fb8aa3b, v30, -v31
	v_rndne_f32_e32 v37, v31
	v_mul_f32_e32 v16, 0x3fb8aa3b, v24
	v_fma_f32 v34, 0x3fb8aa3b, v19, -v27
	v_rndne_f32_e32 v35, v27
	s_delay_alu instid0(VALU_DEP_4) | instskip(SKIP_1) | instid1(VALU_DEP_4)
	v_dual_fmac_f32 v36, 0x32a5705f, v30 :: v_dual_sub_f32 v31, v31, v37
	v_mul_f32_e32 v32, 0x3fb8aa3b, v25
	v_fmac_f32_e32 v34, 0x32a5705f, v19
	s_delay_alu instid0(VALU_DEP_4)
	v_sub_f32_e32 v27, v27, v35
	v_cmp_ngt_f32_e32 vcc_lo, 0xc2ce8ed0, v19
	v_add_f32_e32 v31, v31, v36
	v_rndne_f32_e32 v36, v16
	v_rndne_f32_e32 v38, v32
	v_add_f32_e32 v27, v27, v34
	v_cvt_i32_f32_e32 v34, v35
	v_exp_f32_e32 v31, v31
	v_cvt_i32_f32_e32 v35, v37
	v_fma_f32 v37, 0x3fb8aa3b, v25, -v32
	v_exp_f32_e32 v27, v27
	v_sub_f32_e32 v32, v32, v38
	s_delay_alu instid0(TRANS32_DEP_2) | instid1(VALU_DEP_3)
	v_ldexp_f32 v31, v31, v35
	v_fma_f32 v35, 0x3fb8aa3b, v24, -v16
	v_dual_sub_f32 v16, v16, v36 :: v_dual_fmac_f32 v37, 0x32a5705f, v25
	s_delay_alu instid0(TRANS32_DEP_1) | instskip(SKIP_1) | instid1(VALU_DEP_3)
	v_ldexp_f32 v27, v27, v34
	v_mul_f32_e32 v34, 0x3fb8aa3b, v33
	v_dual_fmac_f32 v35, 0x32a5705f, v24 :: v_dual_add_f32 v32, v32, v37
	s_delay_alu instid0(VALU_DEP_3) | instskip(SKIP_1) | instid1(VALU_DEP_3)
	v_cndmask_b32_e32 v27, 0, v27, vcc_lo
	v_cmp_ngt_f32_e32 vcc_lo, 0xc2ce8ed0, v30
	v_add_f32_e32 v16, v16, v35
	v_fma_f32 v39, 0x3fb8aa3b, v33, -v34
	v_rndne_f32_e32 v42, v34
	v_exp_f32_e32 v32, v32
	v_cndmask_b32_e32 v31, 0, v31, vcc_lo
	v_cmp_nlt_f32_e32 vcc_lo, 0x42b17218, v18
	v_exp_f32_e32 v35, v16
	v_dual_fmac_f32 v39, 0x32a5705f, v33 :: v_dual_sub_f32 v34, v34, v42
	v_cvt_i32_f32_e32 v37, v42
	v_cndmask_b32_e32 v16, 0x7f800000, v17, vcc_lo
	v_cvt_i32_f32_e32 v17, v36
	v_cmp_nlt_f32_e32 vcc_lo, 0x42b17218, v19
	v_cvt_i32_f32_e32 v36, v38
	s_delay_alu instid0(VALU_DEP_3) | instskip(SKIP_2) | instid1(VALU_DEP_4)
	v_ldexp_f32 v17, v35, v17
	v_cndmask_b32_e32 v18, 0x7f800000, v27, vcc_lo
	v_cmp_ngt_f32_e32 vcc_lo, 0xc2ce8ed0, v24
	v_ldexp_f32 v19, v32, v36
	s_delay_alu instid0(VALU_DEP_4) | instskip(SKIP_1) | instid1(VALU_DEP_2)
	v_dual_cndmask_b32 v17, 0, v17 :: v_dual_add_f32 v34, v34, v39
	v_cmp_ngt_f32_e32 vcc_lo, 0xc2ce8ed0, v25
	v_exp_f32_e32 v34, v34
	s_delay_alu instid0(VALU_DEP_3) | instskip(SKIP_1) | instid1(TRANS32_DEP_1)
	v_cndmask_b32_e32 v19, 0, v19, vcc_lo
	v_cmp_ngt_f32_e32 vcc_lo, 0xc2ce8ed0, v33
	v_ldexp_f32 v27, v34, v37
	s_delay_alu instid0(VALU_DEP_1)
	v_cndmask_b32_e32 v27, 0, v27, vcc_lo
	v_cmp_nlt_f32_e32 vcc_lo, 0x42b17218, v24
	v_cndmask_b32_e32 v17, 0x7f800000, v17, vcc_lo
	v_cmp_nlt_f32_e32 vcc_lo, 0x42b17218, v25
	v_add_nc_u64_e32 v[24:25], s[24:25], v[68:69]
	v_cndmask_b32_e32 v19, 0x7f800000, v19, vcc_lo
	v_cmp_nlt_f32_e32 vcc_lo, 0x42b17218, v30
	s_delay_alu instid0(VALU_DEP_3) | instskip(NEXT) | instid1(VALU_DEP_3)
	v_add_nc_u64_e32 v[38:39], v[24:25], v[54:55]
	v_cvt_pk_f16_f32 v34, v18, v19
	v_cndmask_b32_e32 v32, 0x7f800000, v31, vcc_lo
	v_cmp_nlt_f32_e32 vcc_lo, 0x42b17218, v33
	v_add_nc_u64_e32 v[30:31], s[24:25], v[70:71]
	s_delay_alu instid0(VALU_DEP_3)
	v_cvt_f16_f32_e32 v35, v32
	v_cndmask_b32_e32 v33, 0x7f800000, v27, vcc_lo
	v_cvt_pk_f16_f32 v27, v16, v17
	ds_store_2addr_b32 v26, v27, v34 offset1:32
	s_wait_loadcnt 0x3
	ds_store_b128 v91, v[0:3]
	s_wait_loadcnt 0x2
	ds_store_b128 v95, v[4:7]
	;; [unrolled: 2-line block ×4, first 2 shown]
	v_cvt_f16_f32_e32 v36, v33
	s_wait_dscnt 0x0
	s_barrier_signal -1
	s_barrier_wait -1
	ds_load_b128 v[0:3], v88
	v_and_b32_e32 v6, 0xffff, v35
	v_and_b32_e32 v7, 0xffff, v36
	v_add_nc_u64_e32 v[74:75], v[30:31], v[54:55]
	v_add_nc_u64_e32 v[4:5], s[24:25], v[72:73]
	;; [unrolled: 1-line block ×3, first 2 shown]
	v_mul_u32_u24_e32 v26, 0x10001, v6
	v_mul_u32_u24_e32 v27, 0x10001, v7
	ds_load_2addr_b64 v[6:9], v81 offset1:32
	v_add_nc_u64_e32 v[76:77], v[4:5], v[54:55]
	v_pk_mul_f16 v4, v23, v26
	v_pk_mul_f16 v5, v22, v27
	s_wait_dscnt 0x1
	v_and_b32_e32 v30, 0xffff, v0
	v_lshrrev_b32_e32 v0, 16, v0
	v_and_b32_e32 v31, 0xffff, v1
	v_lshrrev_b32_e32 v1, 16, v1
	v_and_b32_e32 v51, 0xffff, v3
	v_mul_u32_u24_e32 v30, 0x10001, v30
	v_mul_u32_u24_e32 v0, 0x10001, v0
	;; [unrolled: 1-line block ×5, first 2 shown]
	s_wait_dscnt 0x0
	v_pk_mul_f16 v42, v6, v30
	v_pk_mul_f16 v43, v6, v0
	v_pk_fma_f16 v30, v7, v30, v4
	v_pk_fma_f16 v0, v7, v0, v5
	s_delay_alu instid0(VALU_DEP_4) | instskip(NEXT) | instid1(VALU_DEP_4)
	v_pk_fma_f16 v26, v29, v26, v42
	v_pk_fma_f16 v27, v28, v27, v43
	v_and_b32_e32 v42, 0xffff, v2
	v_pk_fma_f16 v43, v9, v31, v30
	v_pk_fma_f16 v9, v9, v1, v0
	;; [unrolled: 1-line block ×4, first 2 shown]
	v_lshrrev_b32_e32 v27, 16, v2
	v_pk_add_f32 v[34:35], v[16:17], v[18:19]
	ds_load_b128 v[10:13], v88 offset:16
	ds_load_b128 v[22:25], v88 offset:32
	;; [unrolled: 1-line block ×3, first 2 shown]
	ds_load_2addr_b64 v[14:17], v81 offset0:64 offset1:96
	ds_load_2addr_b64 v[18:21], v81 offset0:128 offset1:160
	;; [unrolled: 1-line block ×3, first 2 shown]
	v_mul_u32_u24_e32 v42, 0x10001, v42
	v_lshrrev_b32_e32 v50, 16, v3
	v_mul_u32_u24_e32 v27, 0x10001, v27
	ds_load_2addr_b64 v[110:113], v101 offset1:32
	ds_load_2addr_b64 v[114:117], v101 offset0:64 offset1:96
	ds_load_2addr_b64 v[118:121], v101 offset0:128 offset1:160
	v_mul_u32_u24_e32 v50, 0x10001, v50
	ds_load_2addr_b64 v[4:7], v101 offset0:192 offset1:224
	ds_load_2addr_b64 v[28:31], v100 offset1:32
	ds_load_2addr_b64 v[0:3], v100 offset0:64 offset1:96
	s_wait_dscnt 0xb
	v_lshrrev_b32_e32 v82, 16, v13
	s_wait_dscnt 0xa
	v_lshrrev_b32_e32 v86, 16, v25
	v_and_b32_e32 v13, 0xffff, v13
	s_wait_dscnt 0x8
	v_pk_fma_f16 v43, v15, v42, v43
	v_pk_fma_f16 v26, v14, v42, v26
	v_lshrrev_b32_e32 v42, 16, v10
	v_pk_fma_f16 v9, v15, v27, v9
	v_pk_fma_f16 v8, v14, v27, v8
	v_and_b32_e32 v10, 0xffff, v10
	v_pk_fma_f16 v14, v17, v51, v43
	v_pk_fma_f16 v15, v16, v51, v26
	v_lshrrev_b32_e32 v26, 16, v11
	v_pk_fma_f16 v17, v17, v50, v9
	v_pk_fma_f16 v16, v16, v50, v8
	v_and_b32_e32 v27, 0xffff, v11
	v_mul_u32_u24_e32 v50, 0x10001, v10
	v_mul_u32_u24_e32 v42, 0x10001, v42
	v_lshrrev_b32_e32 v43, 16, v12
	v_and_b32_e32 v12, 0xffff, v12
	v_mul_u32_u24_e32 v27, 0x10001, v27
	v_mul_u32_u24_e32 v26, 0x10001, v26
	s_wait_dscnt 0x7
	v_pk_fma_f16 v14, v19, v50, v14
	v_pk_fma_f16 v17, v19, v42, v17
	;; [unrolled: 1-line block ×4, first 2 shown]
	v_mul_u32_u24_e32 v12, 0x10001, v12
	v_pk_fma_f16 v14, v21, v27, v14
	v_pk_fma_f16 v17, v21, v26, v17
	;; [unrolled: 1-line block ×4, first 2 shown]
	v_mul_u32_u24_e32 v18, 0x10001, v43
	s_wait_dscnt 0x6
	v_pk_fma_f16 v14, v107, v12, v14
	v_mul_u32_u24_e32 v13, 0x10001, v13
	v_pk_fma_f16 v12, v106, v12, v15
	v_lshrrev_b32_e32 v15, 16, v22
	v_pk_fma_f16 v17, v107, v18, v17
	v_pk_fma_f16 v16, v106, v18, v16
	v_and_b32_e32 v18, 0xffff, v22
	v_pk_fma_f16 v14, v109, v13, v14
	v_pk_fma_f16 v12, v108, v13, v12
	v_and_b32_e32 v13, 0xffff, v23
	v_lshrrev_b32_e32 v22, 16, v23
	v_mul_u32_u24_e32 v23, 0x10001, v18
	v_mul_u32_u24_e32 v19, 0x10001, v82
	v_and_b32_e32 v26, 0xffff, v24
	v_mul_u32_u24_e32 v13, 0x10001, v13
	v_mul_u32_u24_e32 v15, 0x10001, v15
	s_wait_dscnt 0x5
	v_pk_fma_f16 v14, v111, v23, v14
	v_pk_fma_f16 v12, v110, v23, v12
	;; [unrolled: 1-line block ×4, first 2 shown]
	v_mul_u32_u24_e32 v26, 0x10001, v26
	v_pk_fma_f16 v27, v113, v13, v14
	v_pk_fma_f16 v43, v112, v13, v12
	;; [unrolled: 1-line block ×4, first 2 shown]
	v_lshrrev_b32_e32 v24, 16, v24
	s_wait_dscnt 0x4
	v_pk_fma_f16 v27, v115, v26, v27
	v_pk_fma_f16 v26, v114, v26, v43
	v_lshrrev_b32_e32 v43, 16, v102
	v_mul_u32_u24_e32 v22, 0x10001, v22
	v_and_b32_e32 v25, 0xffff, v25
	v_mul_u32_u24_e32 v24, 0x10001, v24
	v_mul_u32_u24_e32 v86, 0x10001, v86
	ds_load_2addr_b64 v[8:11], v100 offset0:128 offset1:160
	v_pk_fma_f16 v42, v113, v22, v20
	v_pk_fma_f16 v82, v112, v22, v15
	v_mul_u32_u24_e32 v25, 0x10001, v25
	ds_load_b128 v[122:125], v88 offset:64
	ds_load_b128 v[50:53], v88 offset:80
	v_dual_lshrrev_b32 v107, 16, v103 :: v_dual_lshrrev_b32 v110, 16, v104
	v_pk_fma_f16 v42, v115, v24, v42
	v_pk_fma_f16 v24, v114, v24, v82
	v_and_b32_e32 v82, 0xffff, v102
	v_pk_fma_f16 v102, v117, v25, v27
	v_pk_fma_f16 v106, v116, v25, v26
	;; [unrolled: 1-line block ×4, first 2 shown]
	v_and_b32_e32 v103, 0xffff, v103
	v_mul_u32_u24_e32 v82, 0x10001, v82
	v_mul_u32_u24_e32 v43, 0x10001, v43
	v_and_b32_e32 v104, 0xffff, v104
	v_lshrrev_b32_e32 v111, 16, v105
	v_and_b32_e32 v112, 0xffff, v105
	v_mul_u32_u24_e32 v103, 0x10001, v103
	v_mul_u32_u24_e32 v105, 0x10001, v107
	s_wait_dscnt 0x6
	v_pk_fma_f16 v102, v119, v82, v102
	v_pk_fma_f16 v42, v119, v43, v42
	;; [unrolled: 1-line block ×4, first 2 shown]
	v_mul_u32_u24_e32 v86, 0x10001, v104
	v_pk_fma_f16 v113, v121, v103, v102
	v_pk_fma_f16 v42, v121, v105, v42
	;; [unrolled: 1-line block ×4, first 2 shown]
	v_mul_u32_u24_e32 v110, 0x10001, v110
	s_wait_dscnt 0x5
	v_pk_fma_f16 v113, v5, v86, v113
	v_mul_u32_u24_e32 v112, 0x10001, v112
	v_pk_fma_f16 v82, v4, v86, v82
	s_wait_dscnt 0x1
	v_lshrrev_b32_e32 v86, 16, v122
	v_mul_u32_u24_e32 v111, 0x10001, v111
	v_pk_fma_f16 v5, v5, v110, v42
	v_pk_fma_f16 v4, v4, v110, v43
	v_and_b32_e32 v42, 0xffff, v122
	v_pk_fma_f16 v43, v7, v112, v113
	v_pk_fma_f16 v82, v6, v112, v82
	v_dual_lshrrev_b32 v110, 16, v123 :: v_dual_lshrrev_b32 v114, 16, v124
	v_pk_fma_f16 v112, v7, v111, v5
	v_pk_fma_f16 v111, v6, v111, v4
	v_and_b32_e32 v113, 0xffff, v123
	v_mul_u32_u24_e32 v42, 0x10001, v42
	v_mul_u32_u24_e32 v86, 0x10001, v86
	v_and_b32_e32 v115, 0xffff, v124
	v_mul_u32_u24_e32 v110, 0x10001, v110
	v_mul_u32_u24_e32 v113, 0x10001, v113
	v_pk_fma_f16 v43, v29, v42, v43
	v_pk_fma_f16 v42, v28, v42, v82
	;; [unrolled: 1-line block ×4, first 2 shown]
	s_wait_dscnt 0x0
	v_dual_lshrrev_b32 v116, 16, v125 :: v_dual_lshrrev_b32 v82, 16, v50
	v_and_b32_e32 v117, 0xffff, v125
	v_and_b32_e32 v86, 0xffff, v50
	v_pk_fma_f16 v43, v31, v113, v43
	v_pk_fma_f16 v42, v30, v113, v42
	v_dual_lshrrev_b32 v111, 16, v51 :: v_dual_lshrrev_b32 v113, 16, v52
	v_pk_fma_f16 v50, v31, v110, v29
	v_pk_fma_f16 v110, v30, v110, v28
	v_and_b32_e32 v112, 0xffff, v51
	v_and_b32_e32 v118, 0xffff, v52
	v_mul_u32_u24_e32 v51, 0x10001, v115
	v_mul_u32_u24_e32 v52, 0x10001, v114
	ds_load_2addr_b64 v[16:19], v100 offset0:192 offset1:224
	ds_load_2addr_b64 v[20:23], v99 offset1:32
	ds_load_2addr_b64 v[12:15], v99 offset0:64 offset1:96
	ds_load_2addr_b64 v[24:27], v99 offset0:128 offset1:160
	ds_load_b128 v[102:105], v88 offset:96
	ds_load_b128 v[106:109], v88 offset:112
	v_lshrrev_b32_e32 v119, 16, v53
	v_and_b32_e32 v115, 0xffff, v53
	v_pk_fma_f16 v43, v1, v51, v43
	v_pk_fma_f16 v42, v0, v51, v42
	v_mul_u32_u24_e32 v51, 0x10001, v117
	v_mul_u32_u24_e32 v53, 0x10001, v116
	v_pk_fma_f16 v1, v1, v52, v50
	v_pk_fma_f16 v0, v0, v52, v110
	ds_load_2addr_b64 v[4:7], v99 offset0:192 offset1:224
	s_wait_dscnt 0x0
	s_barrier_signal -1
	s_barrier_wait -1
	s_clause 0x1
	global_load_b128 v[28:31], v[36:37], off
	global_load_b128 v[36:39], v[38:39], off
	v_pk_fma_f16 v43, v3, v51, v43
	v_pk_fma_f16 v42, v2, v51, v42
	;; [unrolled: 1-line block ×4, first 2 shown]
	s_clause 0x1
	global_load_b128 v[0:3], v[74:75], off
	global_load_b128 v[50:53], v[76:77], off
	s_wait_xcnt 0x1
	v_mul_u32_u24_e32 v74, 0x10001, v86
	v_mul_u32_u24_e32 v75, 0x10001, v82
	s_wait_xcnt 0x0
	v_mul_u32_u24_e32 v76, 0x10001, v112
	v_mul_u32_u24_e32 v77, 0x10001, v111
	v_lshrrev_b32_e32 v121, 16, v105
	v_pk_fma_f16 v43, v9, v74, v43
	v_pk_fma_f16 v42, v8, v74, v42
	;; [unrolled: 1-line block ×4, first 2 shown]
	v_lshrrev_b32_e32 v74, 16, v106
	v_and_b32_e32 v75, 0xffff, v106
	v_pk_fma_f16 v43, v11, v76, v43
	v_pk_fma_f16 v42, v10, v76, v42
	v_lshrrev_b32_e32 v76, 16, v107
	v_pk_fma_f16 v9, v11, v77, v9
	v_pk_fma_f16 v8, v10, v77, v8
	v_and_b32_e32 v10, 0xffff, v107
	v_mul_u32_u24_e32 v106, 0x10001, v118
	v_mul_u32_u24_e32 v107, 0x10001, v113
	v_lshrrev_b32_e32 v114, 16, v102
	v_and_b32_e32 v102, 0xffff, v102
	v_lshrrev_b32_e32 v11, 16, v108
	v_and_b32_e32 v77, 0xffff, v108
	v_and_b32_e32 v86, 0xffff, v109
	v_mul_u32_u24_e32 v108, 0x10001, v115
	v_pk_fma_f16 v43, v17, v106, v43
	v_pk_fma_f16 v9, v17, v107, v9
	;; [unrolled: 1-line block ×4, first 2 shown]
	v_dual_lshrrev_b32 v110, 16, v103 :: v_dual_lshrrev_b32 v120, 16, v104
	v_and_b32_e32 v103, 0xffff, v103
	v_mul_u32_u24_e32 v102, 0x10001, v102
	v_mul_u32_u24_e32 v111, 0x10001, v114
	v_pk_fma_f16 v42, v19, v108, v43
	v_pk_fma_f16 v17, v18, v108, v17
	v_and_b32_e32 v104, 0xffff, v104
	v_mul_u32_u24_e32 v103, 0x10001, v103
	v_mul_u32_u24_e32 v110, 0x10001, v110
	v_and_b32_e32 v105, 0xffff, v105
	v_pk_fma_f16 v17, v20, v102, v17
	v_mul_u32_u24_e32 v104, 0x10001, v104
	v_mul_u32_u24_e32 v112, 0x10001, v120
	;; [unrolled: 1-line block ×4, first 2 shown]
	v_pk_fma_f16 v17, v22, v103, v17
	v_mul_u32_u24_e32 v75, 0x10001, v75
	v_mul_u32_u24_e32 v16, 0x10001, v74
	;; [unrolled: 1-line block ×3, first 2 shown]
	v_pk_fma_f32 v[44:45], v[44:45], v[32:33], v[34:35]
	s_wait_loadcnt 0x3
	ds_store_b128 v91, v[28:31]
	s_wait_loadcnt 0x2
	ds_store_b128 v95, v[36:39]
	;; [unrolled: 2-line block ×4, first 2 shown]
	s_wait_dscnt 0x0
	s_barrier_signal -1
	s_barrier_wait -1
	ds_load_b128 v[0:3], v88 offset:128
	ds_load_b128 v[36:39], v88 offset:144
	v_lshrrev_b32_e32 v82, 16, v109
	v_mul_u32_u24_e32 v109, 0x10001, v119
	s_delay_alu instid0(VALU_DEP_1)
	v_pk_fma_f16 v9, v19, v109, v9
	v_pk_fma_f16 v8, v18, v109, v8
	v_mul_u32_u24_e32 v18, 0x10001, v10
	v_pk_fma_f16 v10, v21, v102, v42
	v_mul_u32_u24_e32 v19, 0x10001, v76
	v_pk_fma_f16 v9, v21, v111, v9
	v_pk_fma_f16 v8, v20, v111, v8
	s_delay_alu instid0(VALU_DEP_4) | instskip(SKIP_1) | instid1(VALU_DEP_4)
	v_pk_fma_f16 v20, v23, v103, v10
	v_mul_u32_u24_e32 v10, 0x10001, v77
	v_pk_fma_f16 v9, v23, v110, v9
	s_delay_alu instid0(VALU_DEP_4)
	v_pk_fma_f16 v8, v22, v110, v8
	s_wait_dscnt 0x1
	v_lshrrev_b32_e32 v50, 16, v0
	v_pk_fma_f16 v20, v13, v104, v20
	v_and_b32_e32 v0, 0xffff, v0
	v_pk_fma_f16 v9, v13, v112, v9
	v_pk_fma_f16 v13, v12, v104, v17
	;; [unrolled: 1-line block ×4, first 2 shown]
	v_dual_lshrrev_b32 v51, 16, v1 :: v_dual_lshrrev_b32 v110, 16, v2
	v_pk_fma_f16 v9, v15, v113, v9
	v_pk_fma_f16 v13, v14, v105, v13
	;; [unrolled: 1-line block ×4, first 2 shown]
	v_mul_u32_u24_e32 v8, 0x10001, v86
	v_pk_fma_f16 v15, v25, v16, v9
	v_pk_fma_f16 v13, v24, v75, v13
	;; [unrolled: 1-line block ×4, first 2 shown]
	v_mul_u32_u24_e32 v9, 0x10001, v82
	v_pk_fma_f16 v15, v27, v19, v15
	v_pk_fma_f16 v12, v26, v18, v13
	;; [unrolled: 1-line block ×4, first 2 shown]
	v_and_b32_e32 v53, 0xffff, v1
	v_pk_fma_f16 v5, v5, v11, v15
	v_pk_fma_f16 v10, v4, v10, v12
	;; [unrolled: 1-line block ×4, first 2 shown]
	s_wait_dscnt 0x0
	v_dual_lshrrev_b32 v111, 16, v3 :: v_dual_lshrrev_b32 v120, 16, v36
	v_pk_fma_f16 v102, v7, v9, v5
	v_pk_fma_f16 v104, v6, v8, v10
	;; [unrolled: 1-line block ×3, first 2 shown]
	ds_load_2addr_b64 v[24:27], v81 offset1:32
	ds_load_b128 v[32:35], v88 offset:160
	ds_load_b128 v[28:31], v88 offset:176
	ds_load_2addr_b64 v[20:23], v81 offset0:64 offset1:96
	ds_load_2addr_b64 v[16:19], v81 offset0:128 offset1:160
	;; [unrolled: 1-line block ×3, first 2 shown]
	ds_load_2addr_b64 v[8:11], v101 offset1:32
	ds_load_2addr_b64 v[4:7], v101 offset0:64 offset1:96
	ds_load_b128 v[106:109], v88 offset:192
	v_and_b32_e32 v121, 0xffff, v36
	v_dual_lshrrev_b32 v117, 16, v37 :: v_dual_lshrrev_b32 v52, 16, v38
	v_and_b32_e32 v122, 0xffff, v37
	v_and_b32_e32 v119, 0xffff, v38
	v_lshrrev_b32_e32 v43, 16, v39
	v_and_b32_e32 v82, 0xffff, v39
	v_and_b32_e32 v105, 0xffff, v2
	v_and_b32_e32 v112, 0xffff, v3
	s_wait_dscnt 0x7
	v_dual_lshrrev_b32 v125, 16, v33 :: v_dual_lshrrev_b32 v39, 16, v34
	v_and_b32_e32 v118, 0xffff, v34
	v_lshrrev_b32_e32 v37, 16, v35
	v_and_b32_e32 v38, 0xffff, v35
	s_wait_dscnt 0x6
	v_lshrrev_b32_e32 v35, 16, v28
	v_and_b32_e32 v36, 0xffff, v28
	v_dual_lshrrev_b32 v28, 16, v29 :: v_dual_lshrrev_b32 v76, 16, v30
	v_and_b32_e32 v34, 0xffff, v30
	v_mul_u32_u24_e32 v30, 0x10001, v0
	v_lshrrev_b32_e32 v74, 16, v31
	v_and_b32_e32 v75, 0xffff, v31
	v_mul_u32_u24_e32 v31, 0x10001, v50
	v_lshrrev_b32_e32 v126, 16, v32
	v_and_b32_e32 v86, 0xffff, v32
	v_and_b32_e32 v42, 0xffff, v33
	v_pk_fma_f16 v32, v24, v30, v104
	v_pk_fma_f16 v30, v25, v30, v77
	v_mul_u32_u24_e32 v33, 0x10001, v53
	v_mul_u32_u24_e32 v50, 0x10001, v51
	v_pk_fma_f16 v24, v24, v31, v103
	v_pk_fma_f16 v25, v25, v31, v102
	v_mul_u32_u24_e32 v51, 0x10001, v110
	v_pk_fma_f16 v31, v26, v33, v32
	v_pk_fma_f16 v30, v27, v33, v30
	;; [unrolled: 1-line block ×4, first 2 shown]
	v_mul_u32_u24_e32 v50, 0x10001, v105
	ds_load_b128 v[0:3], v88 offset:208
	ds_load_b128 v[24:27], v88 offset:224
	v_mul_u32_u24_e32 v53, 0x10001, v111
	s_wait_dscnt 0x2
	v_lshrrev_b32_e32 v77, 16, v106
	v_pk_fma_f16 v31, v20, v50, v31
	v_pk_fma_f16 v30, v21, v50, v30
	v_mul_u32_u24_e32 v50, 0x10001, v112
	v_pk_fma_f16 v20, v20, v51, v32
	v_pk_fma_f16 v21, v21, v51, v33
	v_mul_u32_u24_e32 v32, 0x10001, v117
	v_and_b32_e32 v102, 0xffff, v106
	v_pk_fma_f16 v31, v22, v50, v31
	v_pk_fma_f16 v30, v23, v50, v30
	v_pk_fma_f16 v20, v22, v53, v20
	v_pk_fma_f16 v21, v23, v53, v21
	v_mul_u32_u24_e32 v22, 0x10001, v121
	v_mul_u32_u24_e32 v23, 0x10001, v120
	v_dual_lshrrev_b32 v103, 16, v107 :: v_dual_lshrrev_b32 v104, 16, v108
	v_and_b32_e32 v106, 0xffff, v107
	s_delay_alu instid0(VALU_DEP_4)
	v_pk_fma_f16 v31, v16, v22, v31
	v_pk_fma_f16 v22, v17, v22, v30
	v_mul_u32_u24_e32 v30, 0x10001, v122
	v_pk_fma_f16 v16, v16, v23, v20
	v_pk_fma_f16 v17, v17, v23, v21
	v_and_b32_e32 v107, 0xffff, v108
	s_wait_dscnt 0x1
	v_dual_lshrrev_b32 v105, 16, v109 :: v_dual_lshrrev_b32 v114, 16, v0
	v_pk_fma_f16 v20, v18, v30, v31
	v_pk_fma_f16 v21, v19, v30, v22
	;; [unrolled: 1-line block ×4, first 2 shown]
	v_mul_u32_u24_e32 v18, 0x10001, v119
	v_mul_u32_u24_e32 v19, 0x10001, v52
	v_and_b32_e32 v108, 0xffff, v109
	s_wait_dscnt 0x0
	v_dual_lshrrev_b32 v109, 16, v3 :: v_dual_lshrrev_b32 v123, 16, v24
	v_and_b32_e32 v127, 0xffff, v24
	v_mul_u32_u24_e32 v22, 0x10001, v82
	v_pk_fma_f16 v20, v12, v18, v20
	v_pk_fma_f16 v18, v13, v18, v21
	v_mul_u32_u24_e32 v24, 0x10001, v43
	v_pk_fma_f16 v12, v12, v19, v16
	v_pk_fma_f16 v13, v13, v19, v17
	v_dual_lshrrev_b32 v121, 16, v25 :: v_dual_lshrrev_b32 v120, 16, v26
	v_and_b32_e32 v124, 0xffff, v25
	v_pk_fma_f16 v16, v14, v22, v20
	v_pk_fma_f16 v17, v15, v22, v18
	v_mul_u32_u24_e32 v18, 0x10001, v86
	v_pk_fma_f16 v19, v14, v24, v12
	v_pk_fma_f16 v24, v15, v24, v13
	v_mul_u32_u24_e32 v25, 0x10001, v126
	v_and_b32_e32 v115, 0xffff, v0
	v_dual_lshrrev_b32 v112, 16, v1 :: v_dual_lshrrev_b32 v111, 16, v2
	v_and_b32_e32 v116, 0xffff, v1
	v_and_b32_e32 v113, 0xffff, v2
	;; [unrolled: 1-line block ×3, first 2 shown]
	ds_load_b128 v[0:3], v88 offset:240
	v_and_b32_e32 v122, 0xffff, v26
	v_lshrrev_b32_e32 v117, 16, v27
	v_and_b32_e32 v119, 0xffff, v27
	ds_load_2addr_b64 v[30:33], v101 offset0:128 offset1:160
	v_mul_u32_u24_e32 v26, 0x10001, v42
	v_pk_fma_f16 v16, v8, v18, v16
	v_pk_fma_f16 v17, v9, v18, v17
	v_mul_u32_u24_e32 v27, 0x10001, v125
	v_pk_fma_f16 v8, v8, v25, v19
	v_pk_fma_f16 v9, v9, v25, v24
	;; [unrolled: 1-line block ×4, first 2 shown]
	v_mul_u32_u24_e32 v26, 0x10001, v118
	v_mul_u32_u24_e32 v39, 0x10001, v39
	v_pk_fma_f16 v42, v10, v27, v8
	v_pk_fma_f16 v27, v11, v27, v9
	ds_load_2addr_b64 v[20:23], v101 offset0:192 offset1:224
	v_mul_u32_u24_e32 v38, 0x10001, v38
	v_mul_u32_u24_e32 v37, 0x10001, v37
	v_pk_fma_f16 v43, v4, v26, v24
	v_pk_fma_f16 v4, v4, v39, v42
	;; [unrolled: 1-line block ×4, first 2 shown]
	v_and_b32_e32 v29, 0xffff, v29
	v_mul_u32_u24_e32 v36, 0x10001, v36
	v_mul_u32_u24_e32 v35, 0x10001, v35
	v_pk_fma_f16 v39, v6, v38, v43
	v_pk_fma_f16 v43, v6, v37, v4
	v_pk_fma_f16 v38, v7, v38, v42
	v_pk_fma_f16 v37, v7, v37, v5
	ds_load_2addr_b64 v[12:15], v100 offset1:32
	v_mul_u32_u24_e32 v42, 0x10001, v29
	v_mul_u32_u24_e32 v50, 0x10001, v28
	s_wait_dscnt 0x2
	v_pk_fma_f16 v39, v30, v36, v39
	v_pk_fma_f16 v43, v30, v35, v43
	;; [unrolled: 1-line block ×4, first 2 shown]
	v_mul_u32_u24_e32 v37, 0x10001, v34
	v_pk_fma_f16 v38, v32, v42, v39
	v_mul_u32_u24_e32 v52, 0x10001, v76
	v_pk_fma_f16 v36, v33, v42, v36
	v_pk_fma_f16 v42, v32, v50, v43
	;; [unrolled: 1-line block ×3, first 2 shown]
	ds_load_2addr_b64 v[16:19], v100 offset0:64 offset1:96
	s_wait_dscnt 0x2
	v_pk_fma_f16 v50, v20, v37, v38
	v_pk_fma_f16 v51, v21, v37, v36
	v_mul_u32_u24_e32 v53, 0x10001, v75
	v_mul_u32_u24_e32 v74, 0x10001, v74
	v_pk_fma_f16 v20, v20, v52, v42
	v_pk_fma_f16 v21, v21, v52, v43
	v_mul_u32_u24_e32 v52, 0x10001, v102
	v_pk_fma_f16 v43, v22, v53, v50
	v_pk_fma_f16 v50, v23, v53, v51
	;; [unrolled: 1-line block ×4, first 2 shown]
	v_mul_u32_u24_e32 v53, 0x10001, v77
	ds_load_2addr_b64 v[8:11], v100 offset0:128 offset1:160
	v_mul_u32_u24_e32 v74, 0x10001, v106
	v_mul_u32_u24_e32 v75, 0x10001, v103
	s_wait_dscnt 0x2
	v_pk_fma_f16 v43, v12, v52, v43
	v_pk_fma_f16 v12, v12, v53, v20
	;; [unrolled: 1-line block ×4, first 2 shown]
	v_mul_u32_u24_e32 v76, 0x10001, v107
	v_mul_u32_u24_e32 v77, 0x10001, v104
	v_pk_fma_f16 v43, v14, v74, v43
	v_pk_fma_f16 v12, v14, v75, v12
	v_pk_fma_f16 v14, v15, v74, v20
	v_pk_fma_f16 v13, v15, v75, v13
	ds_load_2addr_b64 v[24:27], v100 offset0:192 offset1:224
	v_mul_u32_u24_e32 v82, 0x10001, v108
	v_mul_u32_u24_e32 v86, 0x10001, v105
	s_wait_dscnt 0x2
	v_pk_fma_f16 v20, v16, v76, v43
	v_pk_fma_f16 v12, v16, v77, v12
	;; [unrolled: 1-line block ×4, first 2 shown]
	ds_load_2addr_b64 v[4:7], v99 offset1:32
	ds_load_2addr_b64 v[28:31], v99 offset0:64 offset1:96
	ds_load_2addr_b64 v[32:35], v99 offset0:128 offset1:160
	;; [unrolled: 1-line block ×3, first 2 shown]
	v_mul_u32_u24_e32 v99, 0x10001, v115
	v_mul_u32_u24_e32 v100, 0x10001, v114
	v_pk_fma_f16 v17, v18, v82, v20
	v_pk_fma_f16 v12, v18, v86, v12
	v_pk_fma_f16 v14, v19, v82, v14
	v_pk_fma_f16 v13, v19, v86, v13
	v_mul_u32_u24_e32 v101, 0x10001, v116
	v_mul_u32_u24_e32 v102, 0x10001, v112
	s_wait_dscnt 0x5
	v_pk_fma_f16 v17, v8, v99, v17
	v_pk_fma_f16 v8, v8, v100, v12
	v_pk_fma_f16 v12, v9, v99, v14
	v_pk_fma_f16 v9, v9, v100, v13
	v_mul_u32_u24_e32 v103, 0x10001, v113
	v_mul_u32_u24_e32 v104, 0x10001, v111
	v_pk_fma_f16 v14, v10, v101, v17
	v_pk_fma_f16 v8, v10, v102, v8
	v_pk_fma_f16 v10, v11, v101, v12
	v_pk_fma_f16 v9, v11, v102, v9
	v_mul_u32_u24_e32 v105, 0x10001, v110
	v_mul_u32_u24_e32 v106, 0x10001, v109
	s_wait_dscnt 0x4
	v_pk_fma_f16 v12, v24, v103, v14
	v_pk_fma_f16 v8, v24, v104, v8
	v_pk_fma_f16 v10, v25, v103, v10
	v_pk_fma_f16 v9, v25, v104, v9
	;; [unrolled: 13-line block ×3, first 2 shown]
	v_mul_u32_u24_e32 v16, 0x10001, v122
	v_mul_u32_u24_e32 v18, 0x10001, v120
	v_pk_fma_f16 v9, v6, v21, v12
	v_pk_fma_f16 v4, v6, v15, v4
	;; [unrolled: 1-line block ×4, first 2 shown]
	v_lshrrev_b32_e32 v42, 16, v0
	v_and_b32_e32 v0, 0xffff, v0
	v_mul_u32_u24_e32 v13, 0x10001, v119
	v_mul_u32_u24_e32 v11, 0x10001, v117
	s_wait_dscnt 0x2
	v_pk_fma_f16 v8, v28, v16, v9
	v_pk_fma_f16 v4, v28, v18, v4
	;; [unrolled: 1-line block ×4, first 2 shown]
	s_wait_dscnt 0x0
	s_barrier_signal -1
	s_barrier_wait -1
	s_load_b32 s15, s[6:7], 0x4
	v_dual_lshrrev_b32 v22, 16, v1 :: v_dual_lshrrev_b32 v23, 16, v2
	v_and_b32_e32 v1, 0xffff, v1
	v_mul_u32_u24_e32 v0, 0x10001, v0
	v_mul_u32_u24_e32 v14, 0x10001, v42
	v_pk_fma_f16 v8, v30, v13, v8
	v_pk_fma_f16 v4, v30, v11, v4
	;; [unrolled: 1-line block ×4, first 2 shown]
	v_and_b32_e32 v2, 0xffff, v2
	v_mul_u32_u24_e32 v1, 0x10001, v1
	v_mul_u32_u24_e32 v7, 0x10001, v22
	v_pk_fma_f16 v8, v32, v0, v8
	v_pk_fma_f16 v4, v32, v14, v4
	v_pk_fma_f16 v0, v33, v0, v6
	v_pk_fma_f16 v5, v33, v14, v5
	v_lshrrev_b32_e32 v51, 16, v3
	v_and_b32_e32 v3, 0xffff, v3
	v_mul_u32_u24_e32 v2, 0x10001, v2
	v_mul_u32_u24_e32 v9, 0x10001, v23
	v_pk_fma_f16 v6, v34, v1, v8
	v_pk_fma_f16 v4, v34, v7, v4
	;; [unrolled: 1-line block ×4, first 2 shown]
	v_mul_u32_u24_e32 v3, 0x10001, v3
	v_mul_u32_u24_e32 v5, 0x10001, v51
	v_pk_fma_f16 v6, v36, v2, v6
	v_pk_fma_f16 v4, v36, v9, v4
	;; [unrolled: 1-line block ×4, first 2 shown]
	s_wait_kmcnt 0x0
	s_lshl_b32 s15, s15, 6
	v_pk_fma_f16 v29, v38, v3, v6
	v_pk_fma_f16 v28, v38, v5, v4
	;; [unrolled: 1-line block ×4, first 2 shown]
	s_add_co_i32 s14, s15, s14
	s_delay_alu instid0(SALU_CYCLE_1)
	s_cmp_lt_i32 s14, s3
	s_cbranch_scc0 .LBB89_39
; %bb.34:                               ;   in Loop: Header=BB89_8 Depth=1
	v_dual_mov_b32 v17, v46 :: v_dual_mov_b32 v16, v47
	s_branch .LBB89_8
.LBB89_35:                              ;   in Loop: Header=BB89_8 Depth=1
	v_mov_b32_e32 v18, 0
	v_cmp_ngt_f32_e64 s24, 0x3f200000, |v9|
                                        ; implicit-def: $vgpr3
	s_and_saveexec_b32 s25, s24
	s_delay_alu instid0(SALU_CYCLE_1)
	s_xor_b32 s24, exec_lo, s25
	s_cbranch_execz .LBB89_15
	s_branch .LBB89_14
.LBB89_36:
	v_dual_mov_b32 v29, 0 :: v_dual_mov_b32 v44, 0
	v_mov_b64_e32 v[46:47], 0xfefffffffeffffff
	v_dual_mov_b32 v23, 0 :: v_dual_mov_b32 v28, 0
	v_mov_b32_e32 v22, 0
	s_cmp_gt_i32 s2, s14
	s_cbranch_scc0 .LBB89_40
.LBB89_37:
                                        ; implicit-def: $vgpr0
                                        ; implicit-def: $vgpr31
                                        ; implicit-def: $vgpr11
                                        ; implicit-def: $vgpr30
                                        ; implicit-def: $vgpr32
                                        ; implicit-def: $vgpr33
                                        ; implicit-def: $vgpr34
	s_branch .LBB89_41
.LBB89_38:
	v_mov_b32_e32 v80, v0
	s_branch .LBB89_77
.LBB89_39:
	s_clause 0x1
	scratch_load_b32 v64, off, off offset:16
	scratch_load_b32 v66, off, off offset:20
	v_dual_lshlrev_b32 v65, 1, v83 :: v_dual_lshrrev_b32 v39, 4, v40
	v_and_b32_e32 v38, 60, v79
	v_dual_lshrrev_b32 v2, 3, v40 :: v_dual_bitop2_b32 v6, 28, v79 bitop3:0x40
	s_delay_alu instid0(VALU_DEP_3)
	v_or_b32_e32 v63, 1, v65
	s_cmp_gt_i32 s2, s14
	s_cbranch_scc1 .LBB89_37
.LBB89_40:
	v_mbcnt_lo_u32_b32 v0, -1, 0
	v_mov_b32_e32 v31, 32
	s_delay_alu instid0(VALU_DEP_2)
	v_xor_b32_e32 v11, 16, v0
	v_xor_b32_e32 v30, 8, v0
	;; [unrolled: 1-line block ×5, first 2 shown]
	s_cbranch_execnz .LBB89_38
.LBB89_41:
	v_lshl_add_u32 v7, v83, 2, v2
	s_ashr_i32 s15, s14, 31
	s_ashr_i32 s39, s38, 31
	s_mov_b32 s24, 0
	s_mul_u64 s[6:7], s[14:15], s[38:39]
	v_mul_lo_u32 v0, s38, v7
	s_lshl_b64 s[6:7], s[6:7], 2
	v_dual_mov_b32 v2, 0 :: v_dual_lshlrev_b32 v3, 20, v80
	s_add_nc_u64 s[42:43], s[4:5], s[6:7]
	s_mov_b32 s25, s24
	s_mov_b32 s26, s24
	v_mov_b32_e32 v9, 0
	v_add_nc_u64_e32 v[10:11], src_flat_scratch_base_lo, v[2:3]
	s_sub_co_i32 s7, s2, s14
	s_lshl_b32 s3, s38, 4
	s_delay_alu instid0(VALU_DEP_4) | instskip(SKIP_1) | instid1(VALU_DEP_2)
	v_dual_ashrrev_i32 v1, 31, v0 :: v_dual_lshlrev_b32 v8, 2, v6
	v_cmp_gt_i32_e64 s4, s7, v7
	v_lshl_add_u64 v[4:5], v[0:1], 2, s[42:43]
	s_delay_alu instid0(VALU_DEP_1)
	v_add_nc_u64_e32 v[16:17], v[4:5], v[8:9]
	v_dual_mov_b32 v4, s24 :: v_dual_mov_b32 v5, s25
	v_mov_b32_e32 v6, s26
	s_clause 0x1
	scratch_store_b32 off, v9, off
	scratch_store_b96 off, v[4:6], off offset:4
	v_dual_cndmask_b32 v3, v11, v17, s4 :: v_dual_cndmask_b32 v2, v10, v16, s4
	v_add_nc_u64_e32 v[16:17], 0x80, v[16:17]
	flat_load_b128 v[18:21], v[2:3]
	s_wait_xcnt 0x0
	v_add_nc_u32_e32 v2, s3, v0
	s_clause 0x1
	scratch_store_b32 off, v9, off
	scratch_store_b96 off, v[4:6], off offset:4
	v_dual_cndmask_b32 v17, v11, v17, s4 :: v_dual_ashrrev_i32 v3, 31, v2
	s_delay_alu instid0(VALU_DEP_1) | instskip(SKIP_1) | instid1(VALU_DEP_2)
	v_lshl_add_u64 v[0:1], v[2:3], 2, s[42:43]
	v_dual_add_nc_u32 v3, 16, v7 :: v_dual_add_nc_u32 v2, s3, v2
	v_add_nc_u64_e32 v[12:13], v[0:1], v[8:9]
	s_delay_alu instid0(VALU_DEP_2) | instskip(SKIP_1) | instid1(VALU_DEP_4)
	v_cmp_gt_i32_e32 vcc_lo, s7, v3
	v_mad_u32_u24 v0, 0x90, v7, v8
	v_dual_ashrrev_i32 v3, 31, v2 :: v_dual_add_nc_u32 v1, 32, v7
	s_delay_alu instid0(VALU_DEP_4) | instskip(NEXT) | instid1(VALU_DEP_2)
	v_dual_cndmask_b32 v15, v11, v13 :: v_dual_cndmask_b32 v14, v10, v12
	v_cmp_gt_i32_e64 s2, s7, v1
	v_dual_add_nc_u32 v1, 48, v7 :: v_dual_mov_b32 v7, v9
	v_add_nc_u64_e32 v[12:13], 0x80, v[12:13]
	s_delay_alu instid0(VALU_DEP_1) | instskip(NEXT) | instid1(VALU_DEP_2)
	v_dual_cndmask_b32 v16, v10, v16, s4 :: v_dual_cndmask_b32 v13, v11, v13, vcc_lo
	v_cndmask_b32_e32 v12, v10, v12, vcc_lo
	s_wait_loadcnt_dscnt 0x0
	ds_store_b128 v0, v[18:21]
	flat_load_b128 v[18:21], v[14:15]
	s_wait_xcnt 0x0
	v_lshl_add_u64 v[14:15], v[2:3], 2, s[42:43]
	s_clause 0x1
	scratch_store_b32 off, v9, off
	scratch_store_b96 off, v[4:6], off offset:4
	v_add_nc_u32_e32 v2, s3, v2
	v_cmp_gt_i32_e64 s3, s7, v1
	v_mov_b32_e32 v1, v9
	v_add_nc_u64_e32 v[14:15], v[14:15], v[8:9]
	s_delay_alu instid0(VALU_DEP_1) | instskip(NEXT) | instid1(VALU_DEP_2)
	v_dual_ashrrev_i32 v3, 31, v2 :: v_dual_cndmask_b32 v25, v11, v15, s2
	v_cndmask_b32_e64 v24, v10, v14, s2
	s_delay_alu instid0(VALU_DEP_2)
	v_lshl_add_u64 v[2:3], v[2:3], 2, s[42:43]
	s_wait_loadcnt_dscnt 0x0
	ds_store_b128 v0, v[18:21] offset:2304
	flat_load_b128 v[24:27], v[24:25]
	v_add_nc_u64_e32 v[18:19], v[2:3], v[8:9]
	s_clause 0x1
	scratch_store_b32 off, v9, off
	scratch_store_b96 off, v[4:6], off offset:4
	v_dual_cndmask_b32 v3, v11, v19, s3 :: v_dual_cndmask_b32 v2, v10, v18, s3
	s_wait_loadcnt_dscnt 0x0
	ds_store_b128 v0, v[24:27] offset:4608
	flat_load_b128 v[24:27], v[2:3]
	s_wait_xcnt 0x0
	v_dual_mov_b32 v2, v9 :: v_dual_mov_b32 v3, v9
	s_wait_loadcnt_dscnt 0x0
	ds_store_b128 v0, v[24:27] offset:6912
	s_wait_storecnt_dscnt 0x0
	s_barrier_signal -1
	s_barrier_wait -1
	ds_load_b128 v[24:27], v85
	ds_load_b128 v[30:33], v41 offset:9216
	ds_load_b128 v[34:37], v41 offset:9472
	ds_load_b128 v[50:53], v85 offset:4608
	s_wait_dscnt 0x2
	;;#ASMSTART
	v_dot2_f32_f16 v2, v24, v30, v2
	;;#ASMEND
	;;#ASMSTART
	v_dot2_f32_f16 v2, v25, v31, v2
	;;#ASMEND
	;;#ASMSTART
	v_dot2_f32_f16 v2, v26, v32, v2
	;;#ASMEND
	;;#ASMSTART
	v_dot2_f32_f16 v2, v27, v33, v2
	;;#ASMEND
	s_wait_dscnt 0x1
	;;#ASMSTART
	v_dot2_f32_f16 v1, v24, v34, v1
	;;#ASMEND
	;;#ASMSTART
	v_dot2_f32_f16 v1, v25, v35, v1
	;;#ASMEND
	;;#ASMSTART
	v_dot2_f32_f16 v1, v26, v36, v1
	;;#ASMEND
	;;#ASMSTART
	v_dot2_f32_f16 v1, v27, v37, v1
	;;#ASMEND
	s_wait_dscnt 0x0
	;;#ASMSTART
	v_dot2_f32_f16 v7, v50, v30, v7
	;;#ASMEND
	;;#ASMSTART
	v_dot2_f32_f16 v7, v51, v31, v7
	;;#ASMEND
	;;#ASMSTART
	v_dot2_f32_f16 v7, v52, v32, v7
	;;#ASMEND
	;;#ASMSTART
	v_dot2_f32_f16 v7, v53, v33, v7
	;;#ASMEND
	;;#ASMSTART
	v_dot2_f32_f16 v3, v50, v34, v3
	;;#ASMEND
	;;#ASMSTART
	v_dot2_f32_f16 v3, v51, v35, v3
	;;#ASMEND
	;;#ASMSTART
	v_dot2_f32_f16 v3, v52, v36, v3
	;;#ASMEND
	;;#ASMSTART
	v_dot2_f32_f16 v3, v53, v37, v3
	;;#ASMEND
	ds_load_b128 v[24:27], v85 offset:16
	ds_load_b128 v[30:33], v41 offset:9232
	ds_load_b128 v[34:37], v41 offset:9488
	ds_load_b128 v[50:53], v85 offset:4624
	s_wait_dscnt 0x2
	;;#ASMSTART
	v_dot2_f32_f16 v2, v24, v30, v2
	;;#ASMEND
	;;#ASMSTART
	v_dot2_f32_f16 v2, v25, v31, v2
	;;#ASMEND
	;;#ASMSTART
	v_dot2_f32_f16 v2, v26, v32, v2
	;;#ASMEND
	;;#ASMSTART
	v_dot2_f32_f16 v2, v27, v33, v2
	;;#ASMEND
	s_wait_dscnt 0x1
	;;#ASMSTART
	v_dot2_f32_f16 v1, v24, v34, v1
	;;#ASMEND
	;;#ASMSTART
	v_dot2_f32_f16 v1, v25, v35, v1
	;;#ASMEND
	;;#ASMSTART
	v_dot2_f32_f16 v1, v26, v36, v1
	;;#ASMEND
	;;#ASMSTART
	v_dot2_f32_f16 v1, v27, v37, v1
	;;#ASMEND
	s_wait_dscnt 0x0
	;;#ASMSTART
	v_dot2_f32_f16 v7, v50, v30, v7
	;;#ASMEND
	;;#ASMSTART
	v_dot2_f32_f16 v7, v51, v31, v7
	;;#ASMEND
	;;#ASMSTART
	v_dot2_f32_f16 v7, v52, v32, v7
	;;#ASMEND
	;;#ASMSTART
	v_dot2_f32_f16 v7, v53, v33, v7
	;;#ASMEND
	;;#ASMSTART
	v_dot2_f32_f16 v3, v50, v34, v3
	;;#ASMEND
	;;#ASMSTART
	v_dot2_f32_f16 v3, v51, v35, v3
	;;#ASMEND
	;;#ASMSTART
	v_dot2_f32_f16 v3, v52, v36, v3
	;;#ASMEND
	;;#ASMSTART
	v_dot2_f32_f16 v3, v53, v37, v3
	;;#ASMEND
	ds_load_b128 v[24:27], v85 offset:32
	;; [unrolled: 55-line block ×7, first 2 shown]
	ds_load_b128 v[30:33], v41 offset:9328
	ds_load_b128 v[34:37], v41 offset:9584
	;; [unrolled: 1-line block ×3, first 2 shown]
	s_wait_dscnt 0x2
	;;#ASMSTART
	v_dot2_f32_f16 v2, v24, v30, v2
	;;#ASMEND
	;;#ASMSTART
	v_dot2_f32_f16 v2, v25, v31, v2
	;;#ASMEND
	;;#ASMSTART
	v_dot2_f32_f16 v2, v26, v32, v2
	;;#ASMEND
	;;#ASMSTART
	v_dot2_f32_f16 v2, v27, v33, v2
	;;#ASMEND
	s_wait_dscnt 0x1
	;;#ASMSTART
	v_dot2_f32_f16 v1, v24, v34, v1
	;;#ASMEND
	;;#ASMSTART
	v_dot2_f32_f16 v1, v25, v35, v1
	;;#ASMEND
	;;#ASMSTART
	v_dot2_f32_f16 v1, v26, v36, v1
	;;#ASMEND
	;;#ASMSTART
	v_dot2_f32_f16 v1, v27, v37, v1
	;;#ASMEND
	s_wait_dscnt 0x0
	;;#ASMSTART
	v_dot2_f32_f16 v7, v50, v30, v7
	;;#ASMEND
	;;#ASMSTART
	v_dot2_f32_f16 v7, v51, v31, v7
	;;#ASMEND
	;;#ASMSTART
	v_dot2_f32_f16 v7, v52, v32, v7
	;;#ASMEND
	;;#ASMSTART
	v_dot2_f32_f16 v7, v53, v33, v7
	;;#ASMEND
	;;#ASMSTART
	v_dot2_f32_f16 v3, v50, v34, v3
	;;#ASMEND
	;;#ASMSTART
	v_dot2_f32_f16 v3, v51, v35, v3
	;;#ASMEND
	;; [unrolled: 3-line block ×4, first 2 shown]
	s_barrier_signal -1
	s_barrier_wait -1
	s_clause 0x1
	scratch_store_b32 off, v9, off
	scratch_store_b96 off, v[4:6], off offset:4
	flat_load_b128 v[24:27], v[16:17]
	s_clause 0x1
	scratch_store_b32 off, v9, off
	scratch_store_b96 off, v[4:6], off offset:4
	s_wait_xcnt 0x2
	v_add_nc_u64_e32 v[16:17], 0x80, v[18:19]
	s_wait_loadcnt_dscnt 0x0
	ds_store_b128 v0, v[24:27]
	flat_load_b128 v[24:27], v[12:13]
	s_wait_xcnt 0x0
	v_add_nc_u64_e32 v[12:13], 0x80, v[14:15]
	s_clause 0x1
	scratch_store_b32 off, v9, off
	scratch_store_b96 off, v[4:6], off offset:4
	v_dual_cndmask_b32 v13, v11, v13, s2 :: v_dual_cndmask_b32 v12, v10, v12, s2
	v_dual_cndmask_b32 v11, v11, v17, s3 :: v_dual_cndmask_b32 v10, v10, v16, s3
	s_wait_loadcnt_dscnt 0x0
	ds_store_b128 v0, v[24:27] offset:2304
	flat_load_b128 v[12:15], v[12:13]
	s_clause 0x1
	scratch_store_b32 off, v9, off
	scratch_store_b96 off, v[4:6], off offset:4
	s_wait_loadcnt_dscnt 0x0
	ds_store_b128 v0, v[12:15] offset:4608
	flat_load_b128 v[8:11], v[10:11]
	s_wait_loadcnt_dscnt 0x0
	ds_store_b128 v0, v[8:11] offset:6912
	s_wait_storecnt_dscnt 0x0
	s_barrier_signal -1
	s_barrier_wait -1
	s_wait_xcnt 0x0
	ds_load_b128 v[8:11], v85
	ds_load_b128 v[12:15], v41 offset:9344
	ds_load_b128 v[16:19], v41 offset:9600
	ds_load_b128 v[24:27], v85 offset:4608
	s_wait_dscnt 0x2
	;;#ASMSTART
	v_dot2_f32_f16 v2, v8, v12, v2
	;;#ASMEND
	;;#ASMSTART
	v_dot2_f32_f16 v2, v9, v13, v2
	;;#ASMEND
	;;#ASMSTART
	v_dot2_f32_f16 v2, v10, v14, v2
	;;#ASMEND
	;;#ASMSTART
	v_dot2_f32_f16 v2, v11, v15, v2
	;;#ASMEND
	s_wait_dscnt 0x1
	;;#ASMSTART
	v_dot2_f32_f16 v1, v8, v16, v1
	;;#ASMEND
	;;#ASMSTART
	v_dot2_f32_f16 v1, v9, v17, v1
	;;#ASMEND
	;;#ASMSTART
	v_dot2_f32_f16 v1, v10, v18, v1
	;;#ASMEND
	;;#ASMSTART
	v_dot2_f32_f16 v1, v11, v19, v1
	;;#ASMEND
	s_wait_dscnt 0x0
	;;#ASMSTART
	v_dot2_f32_f16 v7, v24, v12, v7
	;;#ASMEND
	;;#ASMSTART
	v_dot2_f32_f16 v7, v25, v13, v7
	;;#ASMEND
	;;#ASMSTART
	v_dot2_f32_f16 v7, v26, v14, v7
	;;#ASMEND
	;;#ASMSTART
	v_dot2_f32_f16 v7, v27, v15, v7
	;;#ASMEND
	;;#ASMSTART
	v_dot2_f32_f16 v3, v24, v16, v3
	;;#ASMEND
	;;#ASMSTART
	v_dot2_f32_f16 v3, v25, v17, v3
	;;#ASMEND
	;;#ASMSTART
	v_dot2_f32_f16 v3, v26, v18, v3
	;;#ASMEND
	;;#ASMSTART
	v_dot2_f32_f16 v3, v27, v19, v3
	;;#ASMEND
	ds_load_b128 v[8:11], v85 offset:16
	ds_load_b128 v[12:15], v41 offset:9360
	ds_load_b128 v[16:19], v41 offset:9616
	ds_load_b128 v[24:27], v85 offset:4624
	s_wait_dscnt 0x2
	;;#ASMSTART
	v_dot2_f32_f16 v2, v8, v12, v2
	;;#ASMEND
	;;#ASMSTART
	v_dot2_f32_f16 v2, v9, v13, v2
	;;#ASMEND
	;;#ASMSTART
	v_dot2_f32_f16 v2, v10, v14, v2
	;;#ASMEND
	;;#ASMSTART
	v_dot2_f32_f16 v2, v11, v15, v2
	;;#ASMEND
	s_wait_dscnt 0x1
	;;#ASMSTART
	v_dot2_f32_f16 v1, v8, v16, v1
	;;#ASMEND
	;;#ASMSTART
	v_dot2_f32_f16 v1, v9, v17, v1
	;;#ASMEND
	;;#ASMSTART
	v_dot2_f32_f16 v1, v10, v18, v1
	;;#ASMEND
	;;#ASMSTART
	v_dot2_f32_f16 v1, v11, v19, v1
	;;#ASMEND
	s_wait_dscnt 0x0
	;;#ASMSTART
	v_dot2_f32_f16 v7, v24, v12, v7
	;;#ASMEND
	;;#ASMSTART
	v_dot2_f32_f16 v7, v25, v13, v7
	;;#ASMEND
	;;#ASMSTART
	v_dot2_f32_f16 v7, v26, v14, v7
	;;#ASMEND
	;;#ASMSTART
	v_dot2_f32_f16 v7, v27, v15, v7
	;;#ASMEND
	;;#ASMSTART
	v_dot2_f32_f16 v3, v24, v16, v3
	;;#ASMEND
	;;#ASMSTART
	v_dot2_f32_f16 v3, v25, v17, v3
	;;#ASMEND
	;;#ASMSTART
	v_dot2_f32_f16 v3, v26, v18, v3
	;;#ASMEND
	;;#ASMSTART
	v_dot2_f32_f16 v3, v27, v19, v3
	;;#ASMEND
	ds_load_b128 v[8:11], v85 offset:32
	;; [unrolled: 55-line block ×7, first 2 shown]
	ds_load_b128 v[12:15], v41 offset:9456
	ds_load_b128 v[16:19], v41 offset:9712
	;; [unrolled: 1-line block ×3, first 2 shown]
	s_wait_dscnt 0x2
	;;#ASMSTART
	v_dot2_f32_f16 v2, v8, v12, v2
	;;#ASMEND
	;;#ASMSTART
	v_dot2_f32_f16 v2, v9, v13, v2
	;;#ASMEND
	;; [unrolled: 3-line block ×4, first 2 shown]
	s_wait_dscnt 0x1
	;;#ASMSTART
	v_dot2_f32_f16 v1, v8, v16, v1
	;;#ASMEND
	;;#ASMSTART
	v_dot2_f32_f16 v1, v9, v17, v1
	;;#ASMEND
	;; [unrolled: 3-line block ×4, first 2 shown]
	s_wait_dscnt 0x0
	;;#ASMSTART
	v_dot2_f32_f16 v7, v24, v12, v7
	;;#ASMEND
	v_cmp_ngt_f32_e64 s2, 0x3f200000, |v2|
	;;#ASMSTART
	v_dot2_f32_f16 v7, v25, v13, v7
	;;#ASMEND
	;;#ASMSTART
	v_dot2_f32_f16 v7, v26, v14, v7
	;;#ASMEND
	;; [unrolled: 3-line block ×7, first 2 shown]
                                        ; implicit-def: $vgpr0
	s_and_saveexec_b32 s3, s2
	s_delay_alu instid0(SALU_CYCLE_1)
	s_xor_b32 s2, exec_lo, s3
	s_cbranch_execz .LBB89_43
; %bb.42:
	v_add_f32_e64 v0, |v2|, |v2|
	s_delay_alu instid0(VALU_DEP_1) | instskip(SKIP_1) | instid1(VALU_DEP_2)
	v_mul_f32_e32 v4, 0x3fb8aa3b, v0
	v_cmp_ngt_f32_e32 vcc_lo, 0xc2ce8ed0, v0
	v_rndne_f32_e32 v5, v4
	v_fma_f32 v6, 0x3fb8aa3b, v0, -v4
	s_delay_alu instid0(VALU_DEP_2) | instskip(NEXT) | instid1(VALU_DEP_2)
	v_sub_f32_e32 v4, v4, v5
	v_fmamk_f32 v6, v0, 0x32a5705f, v6
	v_cvt_i32_f32_e32 v5, v5
	s_delay_alu instid0(VALU_DEP_2) | instskip(NEXT) | instid1(VALU_DEP_1)
	v_add_f32_e32 v4, v4, v6
	v_exp_f32_e32 v4, v4
	v_nop
	s_delay_alu instid0(TRANS32_DEP_1) | instskip(NEXT) | instid1(VALU_DEP_1)
	v_ldexp_f32 v4, v4, v5
	v_cndmask_b32_e32 v4, 0, v4, vcc_lo
	v_cmp_nlt_f32_e32 vcc_lo, 0x42b17218, v0
	s_delay_alu instid0(VALU_DEP_2) | instskip(NEXT) | instid1(VALU_DEP_1)
	v_cndmask_b32_e32 v0, 0x7f800000, v4, vcc_lo
	v_add_f32_e32 v0, 1.0, v0
	s_delay_alu instid0(VALU_DEP_1) | instskip(SKIP_1) | instid1(TRANS32_DEP_1)
	v_rcp_f32_e32 v0, v0
	v_nop
	v_fma_f32 v0, v0, -2.0, 1.0
.LBB89_43:
	s_and_not1_saveexec_b32 s2, s2
	s_cbranch_execz .LBB89_45
; %bb.44:
	v_mul_f32_e32 v0, v2, v2
	s_mov_b32 s3, 0xbbbac73d
	s_delay_alu instid0(VALU_DEP_1) | instid1(SALU_CYCLE_1)
	v_fmaak_f32 v4, s3, v0, 0x3ca908c9
	s_delay_alu instid0(VALU_DEP_1) | instskip(NEXT) | instid1(VALU_DEP_1)
	v_fmaak_f32 v4, v0, v4, 0xbd5c1c4e
	v_fmaak_f32 v4, v0, v4, 0x3e088382
	s_delay_alu instid0(VALU_DEP_1) | instskip(NEXT) | instid1(VALU_DEP_1)
	v_fmaak_f32 v4, v0, v4, 0xbeaaaa99
	v_mul_f32_e64 v4, |v2|, v4
	s_delay_alu instid0(VALU_DEP_1)
	v_fma_f32 v0, v0, v4, |v2|
.LBB89_45:
	s_or_b32 exec_lo, exec_lo, s2
	v_mad_u32 v6, v78, s40, s14
	s_delay_alu instid0(VALU_DEP_2)
	v_bfi_b32 v0, 0x7fffffff, v0, v2
	s_cmp_lg_u64 s[30:31], 0
	v_mov_b64_e32 v[4:5], v[46:47]
	s_cselect_b32 s4, -1, 0
	v_cmp_gt_i32_e64 s2, s7, v40
	v_mul_f32_e32 v0, s35, v0
	v_cndmask_b32_e64 v9, 0, 1, s4
	s_and_saveexec_b32 s3, s2
	s_cbranch_execz .LBB89_50
; %bb.46:
	s_and_not1_b32 vcc_lo, exec_lo, s4
	s_cbranch_vccnz .LBB89_48
; %bb.47:
	v_add_nc_u32_e32 v2, v6, v40
	global_load_u16 v2, v2, s[30:31] scale_offset
	s_wait_loadcnt 0x0
	v_cvt_f32_f16_e32 v2, v2
	s_delay_alu instid0(VALU_DEP_1)
	v_mul_f32_e32 v2, v84, v2
	s_branch .LBB89_49
.LBB89_48:
	v_mov_b32_e32 v2, 0
.LBB89_49:
	s_delay_alu instid0(VALU_DEP_1) | instskip(SKIP_1) | instid1(VALU_DEP_2)
	v_add_f32_e32 v0, v0, v2
	v_dual_max_num_f32 v2, v46, v46 :: v_dual_mov_b32 v5, v47
	v_add_f32_e32 v4, 0x40051340, v0
	s_delay_alu instid0(VALU_DEP_1)
	v_max_num_f32_e32 v4, v2, v4
.LBB89_50:
	s_or_b32 exec_lo, exec_lo, s3
	v_cmp_ngt_f32_e64 s3, 0x3f200000, |v7|
                                        ; implicit-def: $vgpr2
	s_and_saveexec_b32 s4, s3
	s_delay_alu instid0(SALU_CYCLE_1)
	s_xor_b32 s3, exec_lo, s4
	s_cbranch_execz .LBB89_52
; %bb.51:
	v_add_f32_e64 v2, |v7|, |v7|
	s_delay_alu instid0(VALU_DEP_1) | instskip(SKIP_1) | instid1(VALU_DEP_2)
	v_mul_f32_e32 v8, 0x3fb8aa3b, v2
	v_cmp_ngt_f32_e32 vcc_lo, 0xc2ce8ed0, v2
	v_rndne_f32_e32 v10, v8
	v_fma_f32 v11, 0x3fb8aa3b, v2, -v8
	s_delay_alu instid0(VALU_DEP_1) | instskip(SKIP_1) | instid1(VALU_DEP_2)
	v_dual_sub_f32 v8, v8, v10 :: v_dual_fmamk_f32 v11, v2, 0x32a5705f, v11
	v_cvt_i32_f32_e32 v10, v10
	v_add_f32_e32 v8, v8, v11
	s_delay_alu instid0(VALU_DEP_1) | instskip(SKIP_1) | instid1(TRANS32_DEP_1)
	v_exp_f32_e32 v8, v8
	v_nop
	v_ldexp_f32 v8, v8, v10
	s_delay_alu instid0(VALU_DEP_1) | instskip(SKIP_1) | instid1(VALU_DEP_2)
	v_cndmask_b32_e32 v8, 0, v8, vcc_lo
	v_cmp_nlt_f32_e32 vcc_lo, 0x42b17218, v2
	v_cndmask_b32_e32 v2, 0x7f800000, v8, vcc_lo
	s_delay_alu instid0(VALU_DEP_1) | instskip(NEXT) | instid1(VALU_DEP_1)
	v_add_f32_e32 v2, 1.0, v2
	v_rcp_f32_e32 v2, v2
	v_nop
	s_delay_alu instid0(TRANS32_DEP_1)
	v_fma_f32 v2, v2, -2.0, 1.0
.LBB89_52:
	s_and_not1_saveexec_b32 s3, s3
	s_cbranch_execz .LBB89_54
; %bb.53:
	v_mul_f32_e32 v2, v7, v7
	s_mov_b32 s4, 0xbbbac73d
	s_delay_alu instid0(VALU_DEP_1) | instid1(SALU_CYCLE_1)
	v_fmaak_f32 v8, s4, v2, 0x3ca908c9
	s_delay_alu instid0(VALU_DEP_1) | instskip(NEXT) | instid1(VALU_DEP_1)
	v_fmaak_f32 v8, v2, v8, 0xbd5c1c4e
	v_fmaak_f32 v8, v2, v8, 0x3e088382
	s_delay_alu instid0(VALU_DEP_1) | instskip(NEXT) | instid1(VALU_DEP_1)
	v_fmaak_f32 v8, v2, v8, 0xbeaaaa99
	v_mul_f32_e64 v8, |v7|, v8
	s_delay_alu instid0(VALU_DEP_1)
	v_fma_f32 v2, v2, v8, |v7|
.LBB89_54:
	s_or_b32 exec_lo, exec_lo, s3
	s_delay_alu instid0(VALU_DEP_1) | instskip(NEXT) | instid1(VALU_DEP_1)
	v_bfi_b32 v2, 0x7fffffff, v2, v7
	v_dual_add_nc_u32 v8, 32, v40 :: v_dual_mul_f32 v2, s35, v2
	s_delay_alu instid0(VALU_DEP_1)
	v_cmp_gt_i32_e64 s3, s7, v8
	s_and_saveexec_b32 s4, s3
	s_cbranch_execz .LBB89_59
; %bb.55:
	v_cmp_ne_u32_e32 vcc_lo, 1, v9
	s_cbranch_vccnz .LBB89_57
; %bb.56:
	v_dual_ashrrev_i32 v7, 31, v6 :: v_dual_mov_b32 v41, 0
	s_delay_alu instid0(VALU_DEP_1) | instskip(NEXT) | instid1(VALU_DEP_1)
	v_add_nc_u64_e32 v[6:7], v[6:7], v[40:41]
	v_lshl_add_u64 v[6:7], v[6:7], 1, s[30:31]
	global_load_u16 v6, v[6:7], off offset:64
	s_wait_loadcnt 0x0
	v_cvt_f32_f16_e32 v6, v6
	s_delay_alu instid0(VALU_DEP_1)
	v_mul_f32_e32 v6, v84, v6
	s_branch .LBB89_58
.LBB89_57:
	v_mov_b32_e32 v6, 0
.LBB89_58:
	s_delay_alu instid0(VALU_DEP_1) | instskip(NEXT) | instid1(VALU_DEP_1)
	v_dual_add_f32 v2, v2, v6 :: v_dual_max_num_f32 v4, v4, v4
	v_add_f32_e32 v6, 0x40051340, v2
	s_delay_alu instid0(VALU_DEP_1)
	v_max_num_f32_e32 v4, v4, v6
.LBB89_59:
	s_or_b32 exec_lo, exec_lo, s4
	v_dual_mov_b32 v31, 32 :: v_dual_bitop2_b32 v11, 16, v80 bitop3:0x14
	v_cmp_ngt_f32_e64 s4, 0x3f200000, |v1|
	v_xor_b32_e32 v30, 8, v80
	v_xor_b32_e32 v32, 4, v80
	s_delay_alu instid0(VALU_DEP_4) | instskip(SKIP_3) | instid1(VALU_DEP_2)
	v_cmp_gt_i32_e32 vcc_lo, 32, v11
	v_max_num_f32_e32 v12, v4, v4
	v_dual_cndmask_b32 v6, v80, v11, vcc_lo :: v_dual_bitop2_b32 v34, 1, v80 bitop3:0x14
	v_cmp_gt_i32_e32 vcc_lo, 32, v30
	v_lshlrev_b32_e32 v10, 2, v6
	v_cndmask_b32_e32 v7, v80, v30, vcc_lo
	v_cmp_gt_i32_e32 vcc_lo, 32, v32
	ds_bpermute_b32 v6, v10, v4
	s_wait_dscnt 0x0
	v_dual_max_num_f32 v6, v6, v6 :: v_dual_lshlrev_b32 v4, 2, v7
	s_delay_alu instid0(VALU_DEP_1) | instskip(SKIP_3) | instid1(VALU_DEP_1)
	v_max_num_f32_e32 v6, v12, v6
	ds_bpermute_b32 v7, v4, v6
	s_wait_dscnt 0x0
	v_dual_cndmask_b32 v12, v80, v32 :: v_dual_max_num_f32 v7, v7, v7
	v_dual_lshlrev_b32 v12, 2, v12 :: v_dual_max_num_f32 v6, v6, v7
	ds_bpermute_b32 v7, v12, v6
	s_wait_dscnt 0x0
	v_dual_max_num_f32 v7, v7, v7 :: v_dual_bitop2_b32 v33, 2, v80 bitop3:0x14
	s_delay_alu instid0(VALU_DEP_1) | instskip(NEXT) | instid1(VALU_DEP_2)
	v_cmp_gt_i32_e32 vcc_lo, 32, v33
	v_dual_max_num_f32 v6, v6, v7 :: v_dual_cndmask_b32 v13, v80, v33
	v_cmp_gt_i32_e32 vcc_lo, 32, v34
	s_delay_alu instid0(VALU_DEP_2) | instskip(SKIP_3) | instid1(VALU_DEP_1)
	v_lshlrev_b32_e32 v13, 2, v13
	ds_bpermute_b32 v7, v13, v6
	s_wait_dscnt 0x0
	v_dual_cndmask_b32 v14, v80, v34 :: v_dual_max_num_f32 v7, v7, v7
	v_lshlrev_b32_e32 v15, 2, v14
                                        ; implicit-def: $vgpr14
	s_delay_alu instid0(VALU_DEP_2) | instskip(SKIP_2) | instid1(SALU_CYCLE_1)
	v_max_num_f32_e32 v6, v6, v7
	ds_bpermute_b32 v7, v15, v6
	s_and_saveexec_b32 s5, s4
	s_xor_b32 s4, exec_lo, s5
	s_cbranch_execz .LBB89_61
; %bb.60:
	v_add_f32_e64 v14, |v1|, |v1|
	s_delay_alu instid0(VALU_DEP_1) | instskip(SKIP_1) | instid1(VALU_DEP_2)
	v_mul_f32_e32 v16, 0x3fb8aa3b, v14
	v_cmp_ngt_f32_e32 vcc_lo, 0xc2ce8ed0, v14
	v_rndne_f32_e32 v17, v16
	v_fma_f32 v18, 0x3fb8aa3b, v14, -v16
	s_delay_alu instid0(VALU_DEP_2) | instskip(NEXT) | instid1(VALU_DEP_2)
	v_sub_f32_e32 v16, v16, v17
	v_fmamk_f32 v18, v14, 0x32a5705f, v18
	v_cvt_i32_f32_e32 v17, v17
	s_delay_alu instid0(VALU_DEP_2) | instskip(NEXT) | instid1(VALU_DEP_1)
	v_add_f32_e32 v16, v16, v18
	v_exp_f32_e32 v16, v16
	v_nop
	s_delay_alu instid0(TRANS32_DEP_1) | instskip(NEXT) | instid1(VALU_DEP_1)
	v_ldexp_f32 v16, v16, v17
	v_cndmask_b32_e32 v16, 0, v16, vcc_lo
	v_cmp_nlt_f32_e32 vcc_lo, 0x42b17218, v14
	s_delay_alu instid0(VALU_DEP_2) | instskip(NEXT) | instid1(VALU_DEP_1)
	v_cndmask_b32_e32 v14, 0x7f800000, v16, vcc_lo
	v_add_f32_e32 v14, 1.0, v14
	s_delay_alu instid0(VALU_DEP_1) | instskip(SKIP_1) | instid1(TRANS32_DEP_1)
	v_rcp_f32_e32 v14, v14
	v_nop
	v_fma_f32 v14, v14, -2.0, 1.0
.LBB89_61:
	s_and_not1_saveexec_b32 s4, s4
	s_cbranch_execz .LBB89_63
; %bb.62:
	v_mul_f32_e32 v14, v1, v1
	s_mov_b32 s5, 0xbbbac73d
	s_delay_alu instid0(VALU_DEP_1) | instid1(SALU_CYCLE_1)
	v_fmaak_f32 v16, s5, v14, 0x3ca908c9
	s_delay_alu instid0(VALU_DEP_1) | instskip(NEXT) | instid1(VALU_DEP_1)
	v_fmaak_f32 v16, v14, v16, 0xbd5c1c4e
	v_fmaak_f32 v16, v14, v16, 0x3e088382
	s_delay_alu instid0(VALU_DEP_1) | instskip(NEXT) | instid1(VALU_DEP_1)
	v_fmaak_f32 v16, v14, v16, 0xbeaaaa99
	v_mul_f32_e64 v16, |v1|, v16
	s_delay_alu instid0(VALU_DEP_1)
	v_fma_f32 v14, v14, v16, |v1|
.LBB89_63:
	s_or_b32 exec_lo, exec_lo, s4
	v_mov_b32_e32 v49, 0
	s_delay_alu instid0(VALU_DEP_2) | instskip(SKIP_2) | instid1(VALU_DEP_3)
	v_bfi_b32 v1, 0x7fffffff, v14, v1
	s_wait_dscnt 0x0
	v_max_num_f32_e32 v7, v7, v7
	v_mul_u64_e32 v[16:17], s[36:37], v[48:49]
	s_delay_alu instid0(VALU_DEP_3) | instskip(NEXT) | instid1(VALU_DEP_2)
	v_mul_f32_e32 v1, s35, v1
	v_dual_max_num_f32 v17, v6, v6 :: v_dual_add_nc_u32 v16, v48, v17
	s_delay_alu instid0(VALU_DEP_1) | instskip(NEXT) | instid1(VALU_DEP_1)
	v_dual_lshrrev_b32 v16, s21, v16 :: v_dual_max_num_f32 v14, v17, v7
	v_mul_lo_u32 v16, v16, s22
	s_delay_alu instid0(VALU_DEP_1) | instskip(NEXT) | instid1(VALU_DEP_1)
	v_sub_nc_u32_e32 v16, v48, v16
	v_mad_u32 v6, v16, s40, s14
	s_and_saveexec_b32 s4, s2
	s_cbranch_execz .LBB89_67
; %bb.64:
	v_cmp_ne_u32_e32 vcc_lo, 1, v9
	s_cbranch_vccnz .LBB89_66
; %bb.65:
	s_delay_alu instid0(VALU_DEP_2) | instskip(SKIP_3) | instid1(VALU_DEP_1)
	v_add_nc_u32_e32 v7, v6, v40
	global_load_u16 v7, v7, s[30:31] scale_offset
	s_wait_loadcnt 0x0
	v_cvt_f32_f16_e32 v7, v7
	v_mul_f32_e32 v49, v84, v7
.LBB89_66:
	s_delay_alu instid0(VALU_DEP_1) | instskip(SKIP_1) | instid1(VALU_DEP_2)
	v_add_f32_e32 v1, v1, v49
	v_max_num_f32_e32 v5, v5, v5
	v_add_f32_e32 v7, 0x40051340, v1
	s_delay_alu instid0(VALU_DEP_1)
	v_max_num_f32_e32 v5, v5, v7
.LBB89_67:
	s_or_b32 exec_lo, exec_lo, s4
	v_cmp_ngt_f32_e64 s2, 0x3f200000, |v3|
                                        ; implicit-def: $vgpr7
	s_and_saveexec_b32 s4, s2
	s_delay_alu instid0(SALU_CYCLE_1)
	s_xor_b32 s2, exec_lo, s4
	s_cbranch_execz .LBB89_69
; %bb.68:
	v_add_f32_e64 v7, |v3|, |v3|
	s_delay_alu instid0(VALU_DEP_1) | instskip(SKIP_1) | instid1(VALU_DEP_2)
	v_mul_f32_e32 v16, 0x3fb8aa3b, v7
	v_cmp_ngt_f32_e32 vcc_lo, 0xc2ce8ed0, v7
	v_rndne_f32_e32 v17, v16
	v_fma_f32 v18, 0x3fb8aa3b, v7, -v16
	s_delay_alu instid0(VALU_DEP_2) | instskip(NEXT) | instid1(VALU_DEP_2)
	v_sub_f32_e32 v16, v16, v17
	v_fmamk_f32 v18, v7, 0x32a5705f, v18
	v_cvt_i32_f32_e32 v17, v17
	s_delay_alu instid0(VALU_DEP_2) | instskip(NEXT) | instid1(VALU_DEP_1)
	v_add_f32_e32 v16, v16, v18
	v_exp_f32_e32 v16, v16
	v_nop
	s_delay_alu instid0(TRANS32_DEP_1) | instskip(NEXT) | instid1(VALU_DEP_1)
	v_ldexp_f32 v16, v16, v17
	v_cndmask_b32_e32 v16, 0, v16, vcc_lo
	v_cmp_nlt_f32_e32 vcc_lo, 0x42b17218, v7
	s_delay_alu instid0(VALU_DEP_2) | instskip(NEXT) | instid1(VALU_DEP_1)
	v_cndmask_b32_e32 v7, 0x7f800000, v16, vcc_lo
	v_add_f32_e32 v7, 1.0, v7
	s_delay_alu instid0(VALU_DEP_1) | instskip(SKIP_1) | instid1(TRANS32_DEP_1)
	v_rcp_f32_e32 v7, v7
	v_nop
	v_fma_f32 v7, v7, -2.0, 1.0
.LBB89_69:
	s_and_not1_saveexec_b32 s2, s2
	s_cbranch_execz .LBB89_71
; %bb.70:
	v_mul_f32_e32 v7, v3, v3
	s_mov_b32 s4, 0xbbbac73d
	s_delay_alu instid0(VALU_DEP_1) | instid1(SALU_CYCLE_1)
	v_fmaak_f32 v16, s4, v7, 0x3ca908c9
	s_delay_alu instid0(VALU_DEP_1) | instskip(NEXT) | instid1(VALU_DEP_1)
	v_fmaak_f32 v16, v7, v16, 0xbd5c1c4e
	v_fmaak_f32 v16, v7, v16, 0x3e088382
	s_delay_alu instid0(VALU_DEP_1) | instskip(NEXT) | instid1(VALU_DEP_1)
	v_fmaak_f32 v16, v7, v16, 0xbeaaaa99
	v_mul_f32_e64 v16, |v3|, v16
	s_delay_alu instid0(VALU_DEP_1)
	v_fma_f32 v7, v7, v16, |v3|
.LBB89_71:
	s_or_b32 exec_lo, exec_lo, s2
	s_delay_alu instid0(VALU_DEP_1) | instskip(NEXT) | instid1(VALU_DEP_1)
	v_bfi_b32 v3, 0x7fffffff, v7, v3
	v_mul_f32_e32 v3, s35, v3
	s_and_saveexec_b32 s2, s3
	s_cbranch_execz .LBB89_76
; %bb.72:
	v_cmp_ne_u32_e32 vcc_lo, 1, v9
	s_cbranch_vccnz .LBB89_74
; %bb.73:
	v_dual_ashrrev_i32 v7, 31, v6 :: v_dual_mov_b32 v41, 0
	s_delay_alu instid0(VALU_DEP_1) | instskip(NEXT) | instid1(VALU_DEP_1)
	v_add_nc_u64_e32 v[6:7], v[6:7], v[40:41]
	v_lshl_add_u64 v[6:7], v[6:7], 1, s[30:31]
	global_load_u16 v6, v[6:7], off offset:64
	s_wait_loadcnt 0x0
	v_cvt_f32_f16_e32 v6, v6
	s_delay_alu instid0(VALU_DEP_1)
	v_mul_f32_e32 v6, v84, v6
	s_branch .LBB89_75
.LBB89_74:
	v_mov_b32_e32 v6, 0
.LBB89_75:
	s_delay_alu instid0(VALU_DEP_1) | instskip(NEXT) | instid1(VALU_DEP_1)
	v_dual_add_f32 v3, v3, v6 :: v_dual_max_num_f32 v5, v5, v5
	v_add_f32_e32 v6, 0x40051340, v3
	s_delay_alu instid0(VALU_DEP_1)
	v_max_num_f32_e32 v5, v5, v6
.LBB89_76:
	s_or_b32 exec_lo, exec_lo, s2
	ds_bpermute_b32 v6, v10, v5
	v_cmp_gt_u32_e32 vcc_lo, s7, v40
	s_wait_dscnt 0x0
	s_barrier_signal -1
	s_barrier_wait -1
	s_ashr_i32 s11, s10, 31
	s_mov_b32 s4, 0
	v_max_num_f32_e32 v5, v5, v5
	s_mov_b32 s6, s4
	s_mov_b32 s5, s4
	v_dual_sub_f32 v0, v0, v14 :: v_dual_lshlrev_b32 v35, 8, v83
	v_sub_f32_e32 v2, v2, v14
	v_dual_mov_b32 v19, 0 :: v_dual_lshlrev_b32 v18, 2, v38
	s_delay_alu instid0(VALU_DEP_3) | instskip(NEXT) | instid1(VALU_DEP_3)
	v_cmp_ngt_f32_e64 s2, 0xc2ce8ed0, v0
	v_cmp_ngt_f32_e64 s3, 0xc2ce8ed0, v2
	v_max_num_f32_e32 v6, v6, v6
	s_delay_alu instid0(VALU_DEP_1) | instskip(SKIP_3) | instid1(VALU_DEP_1)
	v_max_num_f32_e32 v5, v5, v6
	ds_bpermute_b32 v4, v4, v5
	s_wait_dscnt 0x0
	v_max_num_f32_e32 v4, v4, v4
	v_max_num_f32_e32 v4, v5, v4
	ds_bpermute_b32 v5, v12, v4
	s_wait_dscnt 0x0
	v_max_num_f32_e32 v5, v5, v5
	s_delay_alu instid0(VALU_DEP_1) | instskip(SKIP_3) | instid1(VALU_DEP_1)
	v_max_num_f32_e32 v4, v4, v5
	ds_bpermute_b32 v5, v13, v4
	s_wait_dscnt 0x0
	v_max_num_f32_e32 v5, v5, v5
	v_max_num_f32_e32 v4, v4, v5
	ds_bpermute_b32 v5, v15, v4
	s_wait_dscnt 0x0
	v_max_num_f32_e32 v5, v5, v5
	s_delay_alu instid0(VALU_DEP_1) | instskip(SKIP_1) | instid1(VALU_DEP_2)
	v_dual_max_num_f32 v15, v4, v5 :: v_dual_sub_f32 v4, v46, v14
	v_mul_f32_e32 v5, 0x3fb8aa3b, v0
	v_dual_sub_f32 v1, v1, v15 :: v_dual_sub_f32 v3, v3, v15
	s_delay_alu instid0(VALU_DEP_2) | instskip(SKIP_1) | instid1(VALU_DEP_1)
	v_fma_f32 v6, 0x3fb8aa3b, v0, -v5
	v_rndne_f32_e32 v7, v5
	v_dual_fmac_f32 v6, 0x32a5705f, v0 :: v_dual_sub_f32 v5, v5, v7
	s_delay_alu instid0(VALU_DEP_1) | instskip(SKIP_1) | instid1(VALU_DEP_2)
	v_add_f32_e32 v5, v5, v6
	v_cvt_i32_f32_e32 v6, v7
	v_exp_f32_e32 v5, v5
	v_nop
	s_delay_alu instid0(TRANS32_DEP_1) | instskip(NEXT) | instid1(VALU_DEP_1)
	v_ldexp_f32 v5, v5, v6
	v_cndmask_b32_e64 v5, 0, v5, s2
	v_cmp_nlt_f32_e64 s2, 0x42b17218, v0
	s_delay_alu instid0(VALU_DEP_1) | instskip(SKIP_1) | instid1(VALU_DEP_2)
	v_cndmask_b32_e64 v0, 0x7f800000, v5, s2
	v_cmp_gt_u32_e64 s2, s7, v8
	v_dual_cndmask_b32 v0, 0, v0 :: v_dual_mul_f32 v5, 0x3fb8aa3b, v2
	s_delay_alu instid0(VALU_DEP_1) | instskip(SKIP_1) | instid1(VALU_DEP_1)
	v_fma_f32 v6, 0x3fb8aa3b, v2, -v5
	v_rndne_f32_e32 v7, v5
	v_dual_fmac_f32 v6, 0x32a5705f, v2 :: v_dual_sub_f32 v5, v5, v7
	s_delay_alu instid0(VALU_DEP_1) | instskip(SKIP_1) | instid1(VALU_DEP_2)
	v_add_f32_e32 v5, v5, v6
	v_cvt_i32_f32_e32 v6, v7
	v_exp_f32_e32 v5, v5
	v_nop
	s_delay_alu instid0(TRANS32_DEP_1) | instskip(NEXT) | instid1(VALU_DEP_1)
	v_ldexp_f32 v5, v5, v6
	v_cndmask_b32_e64 v5, 0, v5, s3
	v_cmp_nlt_f32_e64 s3, 0x42b17218, v2
	s_delay_alu instid0(VALU_DEP_1) | instskip(SKIP_2) | instid1(VALU_DEP_3)
	v_cndmask_b32_e64 v2, 0x7f800000, v5, s3
	v_mul_f32_e32 v5, 0x3fb8aa3b, v4
	v_cmp_ngt_f32_e64 s3, 0xc2ce8ed0, v4
	v_cndmask_b32_e64 v2, 0, v2, s2
	s_delay_alu instid0(VALU_DEP_3) | instskip(SKIP_1) | instid1(VALU_DEP_3)
	v_fma_f32 v6, 0x3fb8aa3b, v4, -v5
	v_rndne_f32_e32 v7, v5
	v_add_f32_e32 v12, v0, v2
	s_delay_alu instid0(VALU_DEP_2) | instskip(NEXT) | instid1(VALU_DEP_1)
	v_dual_fmac_f32 v6, 0x32a5705f, v4 :: v_dual_sub_f32 v5, v5, v7
	v_add_f32_e32 v5, v5, v6
	v_cvt_i32_f32_e32 v6, v7
	s_delay_alu instid0(VALU_DEP_2) | instskip(SKIP_1) | instid1(TRANS32_DEP_1)
	v_exp_f32_e32 v5, v5
	v_nop
	v_ldexp_f32 v5, v5, v6
	s_delay_alu instid0(VALU_DEP_1) | instskip(SKIP_1) | instid1(VALU_DEP_1)
	v_cndmask_b32_e64 v5, 0, v5, s3
	v_cmp_nlt_f32_e64 s3, 0x42b17218, v4
	v_cndmask_b32_e64 v4, 0x7f800000, v5, s3
	v_mul_f32_e32 v5, 0x3fb8aa3b, v1
	v_cmp_ngt_f32_e64 s3, 0xc2ce8ed0, v1
	s_delay_alu instid0(VALU_DEP_3) | instskip(SKIP_1) | instid1(VALU_DEP_4)
	v_fmac_f32_e32 v12, v44, v4
	v_cvt_f16_f32_e32 v4, v4
	v_fma_f32 v6, 0x3fb8aa3b, v1, -v5
	v_rndne_f32_e32 v7, v5
	s_delay_alu instid0(VALU_DEP_3) | instskip(NEXT) | instid1(VALU_DEP_3)
	v_and_b32_e32 v4, 0xffff, v4
	v_fmac_f32_e32 v6, 0x32a5705f, v1
	s_delay_alu instid0(VALU_DEP_2) | instskip(SKIP_2) | instid1(VALU_DEP_3)
	v_mul_u32_u24_e32 v48, 0x10001, v4
	v_sub_f32_e32 v4, v47, v15
	v_sub_f32_e32 v5, v5, v7
	v_pk_mul_f16 v46, v23, v48
	s_delay_alu instid0(VALU_DEP_2) | instskip(SKIP_1) | instid1(VALU_DEP_2)
	v_add_f32_e32 v5, v5, v6
	v_cvt_i32_f32_e32 v6, v7
	v_exp_f32_e32 v5, v5
	v_nop
	s_delay_alu instid0(TRANS32_DEP_1) | instskip(NEXT) | instid1(VALU_DEP_1)
	v_ldexp_f32 v5, v5, v6
	v_cndmask_b32_e64 v5, 0, v5, s3
	v_cmp_nlt_f32_e64 s3, 0x42b17218, v1
	s_delay_alu instid0(VALU_DEP_1) | instskip(SKIP_1) | instid1(VALU_DEP_2)
	v_cndmask_b32_e64 v1, 0x7f800000, v5, s3
	v_mul_f32_e32 v5, 0x3fb8aa3b, v3
	v_cndmask_b32_e32 v1, 0, v1, vcc_lo
	s_delay_alu instid0(VALU_DEP_2) | instskip(SKIP_2) | instid1(VALU_DEP_4)
	v_fma_f32 v6, 0x3fb8aa3b, v3, -v5
	v_rndne_f32_e32 v7, v5
	v_cmp_ngt_f32_e32 vcc_lo, 0xc2ce8ed0, v3
	v_cvt_pk_f16_f32 v0, v0, v1
	s_delay_alu instid0(VALU_DEP_4) | instskip(NEXT) | instid1(VALU_DEP_4)
	v_fmac_f32_e32 v6, 0x32a5705f, v3
	v_sub_f32_e32 v5, v5, v7
	s_delay_alu instid0(VALU_DEP_1) | instskip(SKIP_1) | instid1(VALU_DEP_2)
	v_add_f32_e32 v5, v5, v6
	v_cvt_i32_f32_e32 v6, v7
	v_exp_f32_e32 v5, v5
	v_nop
	s_delay_alu instid0(TRANS32_DEP_1) | instskip(NEXT) | instid1(VALU_DEP_1)
	v_ldexp_f32 v5, v5, v6
	v_cndmask_b32_e32 v5, 0, v5, vcc_lo
	v_cmp_nlt_f32_e32 vcc_lo, 0x42b17218, v3
	s_delay_alu instid0(VALU_DEP_2) | instskip(SKIP_2) | instid1(VALU_DEP_3)
	v_cndmask_b32_e32 v3, 0x7f800000, v5, vcc_lo
	v_mul_f32_e32 v5, 0x3fb8aa3b, v4
	v_cmp_ngt_f32_e32 vcc_lo, 0xc2ce8ed0, v4
	v_cndmask_b32_e64 v3, 0, v3, s2
	s_delay_alu instid0(VALU_DEP_3) | instskip(SKIP_2) | instid1(VALU_DEP_2)
	v_fma_f32 v6, 0x3fb8aa3b, v4, -v5
	v_rndne_f32_e32 v7, v5
	s_lshl_b32 s2, s10, 3
	v_dual_add_f32 v13, v1, v3 :: v_dual_fmac_f32 v6, 0x32a5705f, v4
	s_delay_alu instid0(VALU_DEP_2) | instskip(SKIP_1) | instid1(VALU_DEP_2)
	v_sub_f32_e32 v5, v5, v7
	v_cvt_pk_f16_f32 v1, v2, v3
	v_add_f32_e32 v5, v5, v6
	v_cvt_i32_f32_e32 v6, v7
	s_delay_alu instid0(VALU_DEP_2) | instskip(SKIP_1) | instid1(TRANS32_DEP_1)
	v_exp_f32_e32 v5, v5
	v_nop
	v_ldexp_f32 v5, v5, v6
	s_delay_alu instid0(VALU_DEP_1) | instskip(SKIP_1) | instid1(VALU_DEP_2)
	v_cndmask_b32_e32 v5, 0, v5, vcc_lo
	v_cmp_nlt_f32_e32 vcc_lo, 0x42b17218, v4
	v_cndmask_b32_e32 v4, 0x7f800000, v5, vcc_lo
	s_delay_alu instid0(VALU_DEP_1) | instskip(NEXT) | instid1(VALU_DEP_1)
	v_dual_fmac_f32 v13, v45, v4 :: v_dual_add_nc_u32 v45, v39, v65
	v_mul_lo_u32 v6, s10, v45
	v_add_nc_u32_e32 v38, 24, v45
	v_cmp_gt_i32_e32 vcc_lo, s7, v45
	v_lshl_or_b32 v42, v45, 8, v18
	v_dual_add_nc_u32 v41, 16, v45 :: v_dual_add_nc_u32 v44, 8, v45
	s_delay_alu instid0(VALU_DEP_4) | instskip(NEXT) | instid1(VALU_DEP_2)
	v_lshl_or_b32 v36, v38, 8, v18
	v_lshl_or_b32 v37, v41, 8, v18
	s_delay_alu instid0(VALU_DEP_3) | instskip(SKIP_2) | instid1(VALU_DEP_2)
	v_lshl_or_b32 v39, v44, 8, v18
	v_ashrrev_i32_e32 v7, 31, v6
	v_cvt_f16_f32_e32 v4, v4
	v_lshlrev_b64_e32 v[20:21], 2, v[6:7]
	s_delay_alu instid0(VALU_DEP_2) | instskip(NEXT) | instid1(VALU_DEP_1)
	v_and_b32_e32 v4, 0xffff, v4
	v_mul_u32_u24_e32 v49, 0x10001, v4
	v_add_nc_u32_e32 v4, 0x2c00, v35
	s_delay_alu instid0(VALU_DEP_2) | instskip(NEXT) | instid1(VALU_DEP_2)
	v_pk_mul_f16 v47, v22, v49
	v_add_nc_u32_e32 v5, v4, v79
	ds_store_b32 v5, v0
	v_lshl_add_u32 v0, v8, 2, v4
	v_dual_add_nc_u32 v4, s2, v6 :: v_dual_mov_b32 v10, s6
	v_mov_b32_e32 v9, s5
	ds_store_b32 v0, v1
	v_mbcnt_lo_u32_b32 v0, -1, 0
	v_dual_add_nc_u32 v2, s2, v4 :: v_dual_ashrrev_i32 v5, 31, v4
	s_delay_alu instid0(VALU_DEP_2) | instskip(NEXT) | instid1(VALU_DEP_2)
	v_dual_mov_b32 v0, 0 :: v_dual_lshlrev_b32 v1, 20, v0
	v_ashrrev_i32_e32 v3, 31, v2
	s_delay_alu instid0(VALU_DEP_2) | instskip(SKIP_2) | instid1(VALU_DEP_3)
	v_add_nc_u64_e32 v[16:17], src_flat_scratch_base_lo, v[0:1]
	v_add_nc_u32_e32 v0, s2, v2
	s_mul_u64 s[2:3], s[14:15], s[10:11]
	v_lshlrev_b64_e32 v[26:27], 2, v[2:3]
	s_lshl_b64 s[2:3], s[2:3], 2
	s_delay_alu instid0(SALU_CYCLE_1) | instskip(SKIP_2) | instid1(VALU_DEP_3)
	s_add_nc_u64 s[2:3], s[8:9], s[2:3]
	v_ashrrev_i32_e32 v1, 31, v0
	v_add_nc_u64_e32 v[6:7], s[2:3], v[20:21]
	v_add_nc_u64_e32 v[2:3], s[2:3], v[26:27]
	s_delay_alu instid0(VALU_DEP_2) | instskip(SKIP_1) | instid1(VALU_DEP_3)
	v_add_nc_u64_e32 v[6:7], v[6:7], v[18:19]
	v_mov_b32_e32 v8, s4
	v_add_nc_u64_e32 v[2:3], v[2:3], v[18:19]
	s_sub_co_i32 s4, s7, 32
	s_delay_alu instid0(VALU_DEP_3)
	v_dual_cndmask_b32 v7, v17, v7 :: v_dual_cndmask_b32 v6, v16, v6
	s_clause 0x1
	scratch_store_b32 off, v19, off
	scratch_store_b96 off, v[8:10], off offset:4
	v_cmp_gt_i32_e32 vcc_lo, s7, v44
	flat_load_b128 v[22:25], v[6:7]
	s_wait_loadcnt_dscnt 0x0
	ds_store_b128 v42, v[22:25]
	v_lshlrev_b64_e32 v[24:25], 2, v[4:5]
	s_clause 0x1
	scratch_store_b32 off, v19, off
	scratch_store_b96 off, v[8:10], off offset:4
	v_lshlrev_b64_e32 v[22:23], 2, v[0:1]
	v_add_nc_u64_e32 v[4:5], s[2:3], v[24:25]
	s_delay_alu instid0(VALU_DEP_2) | instskip(SKIP_1) | instid1(SALU_CYCLE_1)
	v_add_nc_u64_e32 v[0:1], s[2:3], v[22:23]
	s_or_b32 s2, s14, 32
	s_ashr_i32 s3, s2, 31
	s_delay_alu instid0(VALU_DEP_2) | instskip(SKIP_1) | instid1(VALU_DEP_2)
	v_add_nc_u64_e32 v[4:5], v[4:5], v[18:19]
	s_mul_u64 s[2:3], s[2:3], s[10:11]
	v_add_nc_u64_e32 v[0:1], v[0:1], v[18:19]
	s_lshl_b64 s[2:3], s[2:3], 2
	s_delay_alu instid0(SALU_CYCLE_1) | instskip(NEXT) | instid1(VALU_DEP_2)
	s_add_nc_u64 s[2:3], s[8:9], s[2:3]
	v_dual_cndmask_b32 v5, v17, v5 :: v_dual_cndmask_b32 v4, v16, v4
	v_cmp_gt_i32_e32 vcc_lo, s7, v41
	v_cndmask_b32_e32 v3, v17, v3, vcc_lo
	flat_load_b128 v[4:7], v[4:5]
	v_cndmask_b32_e32 v2, v16, v2, vcc_lo
	v_cmp_gt_i32_e32 vcc_lo, s7, v38
	v_dual_cndmask_b32 v1, v17, v1 :: v_dual_cndmask_b32 v0, v16, v0
	v_cmp_gt_i32_e32 vcc_lo, s4, v45
	s_wait_loadcnt_dscnt 0x0
	ds_store_b128 v39, v[4:7]
	s_clause 0x1
	scratch_store_b32 off, v19, off
	scratch_store_b96 off, v[8:10], off offset:4
	flat_load_b128 v[2:5], v[2:3]
	s_wait_loadcnt_dscnt 0x0
	ds_store_b128 v37, v[2:5]
	s_clause 0x1
	scratch_store_b32 off, v19, off
	scratch_store_b96 off, v[8:10], off offset:4
	flat_load_b128 v[0:3], v[0:1]
	s_wait_loadcnt_dscnt 0x0
	ds_store_b128 v36, v[0:3]
	s_wait_storecnt_dscnt 0x0
	s_barrier_signal -1
	s_barrier_wait -1
	ds_load_2addr_b64 v[50:53], v81 offset1:32
	ds_load_b128 v[54:57], v35 offset:11264
	ds_load_b128 v[58:61], v35 offset:11280
	;; [unrolled: 1-line block ×3, first 2 shown]
	s_wait_xcnt 0x0
	ds_load_b128 v[0:3], v35 offset:11312
	s_wait_dscnt 0x3
	v_lshrrev_b32_e32 v43, 16, v54
	v_and_b32_e32 v54, 0xffff, v54
	s_delay_alu instid0(VALU_DEP_2) | instskip(NEXT) | instid1(VALU_DEP_2)
	v_mul_u32_u24_e32 v43, 0x10001, v43
	v_mul_u32_u24_e32 v54, 0x10001, v54
	s_delay_alu instid0(VALU_DEP_1) | instskip(SKIP_1) | instid1(VALU_DEP_2)
	v_pk_mul_f16 v62, v50, v54
	v_pk_fma_f16 v46, v51, v54, v46
	v_pk_fma_f16 v29, v29, v48, v62
	v_pk_mul_f16 v48, v50, v43
	v_pk_fma_f16 v43, v51, v43, v47
	v_dual_lshrrev_b32 v47, 16, v55 :: v_dual_lshrrev_b32 v51, 16, v56
	s_delay_alu instid0(VALU_DEP_3) | instskip(SKIP_1) | instid1(VALU_DEP_3)
	v_pk_fma_f16 v28, v28, v49, v48
	v_and_b32_e32 v48, 0xffff, v55
	v_mul_u32_u24_e32 v47, 0x10001, v47
	s_delay_alu instid0(VALU_DEP_4) | instskip(NEXT) | instid1(VALU_DEP_3)
	v_mul_u32_u24_e32 v51, 0x10001, v51
	v_mul_u32_u24_e32 v48, 0x10001, v48
	s_delay_alu instid0(VALU_DEP_3) | instskip(SKIP_1) | instid1(VALU_DEP_3)
	v_pk_fma_f16 v28, v52, v47, v28
	v_pk_fma_f16 v43, v53, v47, v43
	;; [unrolled: 1-line block ×4, first 2 shown]
	ds_load_2addr_b64 v[46:49], v81 offset0:64 offset1:96
	v_and_b32_e32 v52, 0xffff, v56
	s_delay_alu instid0(VALU_DEP_1) | instskip(SKIP_1) | instid1(VALU_DEP_1)
	v_mul_u32_u24_e32 v52, 0x10001, v52
	s_wait_dscnt 0x0
	v_pk_fma_f16 v29, v46, v52, v29
	v_pk_fma_f16 v28, v46, v51, v28
	;; [unrolled: 1-line block ×4, first 2 shown]
	v_dual_lshrrev_b32 v47, 16, v57 :: v_dual_lshrrev_b32 v51, 16, v58
	v_and_b32_e32 v50, 0xffff, v57
	v_and_b32_e32 v52, 0xffff, v58
	s_delay_alu instid0(VALU_DEP_3) | instskip(NEXT) | instid1(VALU_DEP_4)
	v_mul_u32_u24_e32 v47, 0x10001, v47
	v_mul_u32_u24_e32 v51, 0x10001, v51
	s_delay_alu instid0(VALU_DEP_4) | instskip(NEXT) | instid1(VALU_DEP_4)
	v_mul_u32_u24_e32 v50, 0x10001, v50
	v_mul_u32_u24_e32 v52, 0x10001, v52
	s_delay_alu instid0(VALU_DEP_4) | instskip(SKIP_1) | instid1(VALU_DEP_4)
	v_pk_fma_f16 v28, v48, v47, v28
	v_pk_fma_f16 v43, v49, v47, v43
	;; [unrolled: 1-line block ×4, first 2 shown]
	ds_load_2addr_b64 v[46:49], v81 offset0:128 offset1:160
	s_wait_dscnt 0x0
	v_pk_fma_f16 v29, v46, v52, v29
	v_pk_fma_f16 v28, v46, v51, v28
	;; [unrolled: 1-line block ×4, first 2 shown]
	v_dual_lshrrev_b32 v47, 16, v59 :: v_dual_lshrrev_b32 v51, 16, v60
	v_and_b32_e32 v50, 0xffff, v59
	v_and_b32_e32 v52, 0xffff, v60
	s_delay_alu instid0(VALU_DEP_3) | instskip(NEXT) | instid1(VALU_DEP_4)
	v_mul_u32_u24_e32 v47, 0x10001, v47
	v_mul_u32_u24_e32 v51, 0x10001, v51
	s_delay_alu instid0(VALU_DEP_4) | instskip(NEXT) | instid1(VALU_DEP_4)
	v_mul_u32_u24_e32 v50, 0x10001, v50
	v_mul_u32_u24_e32 v52, 0x10001, v52
	s_delay_alu instid0(VALU_DEP_4) | instskip(SKIP_1) | instid1(VALU_DEP_4)
	v_pk_fma_f16 v28, v48, v47, v28
	v_pk_fma_f16 v43, v49, v47, v43
	;; [unrolled: 1-line block ×4, first 2 shown]
	ds_load_2addr_b64 v[46:49], v81 offset0:192 offset1:224
	s_wait_dscnt 0x0
	v_pk_fma_f16 v29, v46, v52, v29
	v_pk_fma_f16 v28, v46, v51, v28
	;; [unrolled: 1-line block ×4, first 2 shown]
	v_lshrrev_b32_e32 v43, 16, v61
	v_and_b32_e32 v50, 0xffff, v61
	v_lshrrev_b32_e32 v52, 16, v4
	v_and_b32_e32 v4, 0xffff, v4
	s_delay_alu instid0(VALU_DEP_4) | instskip(NEXT) | instid1(VALU_DEP_4)
	v_mul_u32_u24_e32 v51, 0x10001, v43
	v_mul_u32_u24_e32 v50, 0x10001, v50
	s_delay_alu instid0(VALU_DEP_4) | instskip(NEXT) | instid1(VALU_DEP_4)
	v_mul_u32_u24_e32 v52, 0x10001, v52
	v_mul_u32_u24_e32 v4, 0x10001, v4
	s_delay_alu instid0(VALU_DEP_4)
	v_pk_fma_f16 v43, v48, v51, v28
	v_add_nc_u32_e32 v28, 0x800, v81
	v_pk_fma_f16 v29, v48, v50, v29
	v_pk_fma_f16 v46, v49, v50, v46
	;; [unrolled: 1-line block ×3, first 2 shown]
	ds_load_2addr_b64 v[48:51], v28 offset1:32
	s_wait_dscnt 0x0
	v_pk_fma_f16 v29, v48, v4, v29
	v_pk_fma_f16 v4, v49, v4, v46
	;; [unrolled: 1-line block ×3, first 2 shown]
	v_lshrrev_b32_e32 v47, 16, v5
	v_and_b32_e32 v5, 0xffff, v5
	v_pk_fma_f16 v43, v48, v52, v43
	s_delay_alu instid0(VALU_DEP_3) | instskip(NEXT) | instid1(VALU_DEP_3)
	v_mul_u32_u24_e32 v47, 0x10001, v47
	v_mul_u32_u24_e32 v5, 0x10001, v5
	s_delay_alu instid0(VALU_DEP_2) | instskip(NEXT) | instid1(VALU_DEP_2)
	v_pk_fma_f16 v43, v50, v47, v43
	v_pk_fma_f16 v29, v50, v5, v29
	;; [unrolled: 1-line block ×4, first 2 shown]
	ds_load_2addr_b64 v[46:49], v28 offset0:64 offset1:96
	v_lshrrev_b32_e32 v50, 16, v6
	v_and_b32_e32 v6, 0xffff, v6
	s_delay_alu instid0(VALU_DEP_2) | instskip(NEXT) | instid1(VALU_DEP_2)
	v_mul_u32_u24_e32 v50, 0x10001, v50
	v_mul_u32_u24_e32 v6, 0x10001, v6
	s_wait_dscnt 0x0
	s_delay_alu instid0(VALU_DEP_1)
	v_pk_fma_f16 v29, v46, v6, v29
	v_pk_fma_f16 v4, v47, v6, v4
	v_lshrrev_b32_e32 v6, 16, v7
	v_and_b32_e32 v7, 0xffff, v7
	v_pk_fma_f16 v43, v46, v50, v43
	v_pk_fma_f16 v5, v47, v50, v5
	s_delay_alu instid0(VALU_DEP_4) | instskip(NEXT) | instid1(VALU_DEP_4)
	v_mul_u32_u24_e32 v6, 0x10001, v6
	v_mul_u32_u24_e32 v7, 0x10001, v7
	s_delay_alu instid0(VALU_DEP_2) | instskip(NEXT) | instid1(VALU_DEP_2)
	v_pk_fma_f16 v43, v48, v6, v43
	v_pk_fma_f16 v29, v48, v7, v29
	;; [unrolled: 1-line block ×4, first 2 shown]
	ds_load_2addr_b64 v[4:7], v28 offset0:128 offset1:160
	v_lshrrev_b32_e32 v48, 16, v0
	v_and_b32_e32 v0, 0xffff, v0
	s_delay_alu instid0(VALU_DEP_2) | instskip(NEXT) | instid1(VALU_DEP_2)
	v_mul_u32_u24_e32 v48, 0x10001, v48
	v_mul_u32_u24_e32 v0, 0x10001, v0
	s_wait_dscnt 0x0
	s_delay_alu instid0(VALU_DEP_1) | instskip(NEXT) | instid1(VALU_DEP_3)
	v_pk_fma_f16 v29, v4, v0, v29
	v_pk_fma_f16 v4, v4, v48, v43
	v_lshrrev_b32_e32 v43, 16, v1
	v_and_b32_e32 v1, 0xffff, v1
	v_pk_fma_f16 v0, v5, v0, v46
	v_pk_fma_f16 v5, v5, v48, v47
	s_delay_alu instid0(VALU_DEP_4) | instskip(NEXT) | instid1(VALU_DEP_4)
	v_mul_u32_u24_e32 v43, 0x10001, v43
	v_mul_u32_u24_e32 v1, 0x10001, v1
	s_delay_alu instid0(VALU_DEP_2) | instskip(NEXT) | instid1(VALU_DEP_2)
	v_pk_fma_f16 v46, v6, v43, v4
	v_pk_fma_f16 v29, v6, v1, v29
	;; [unrolled: 1-line block ×4, first 2 shown]
	ds_load_2addr_b64 v[4:7], v28 offset0:192 offset1:224
	v_lshrrev_b32_e32 v43, 16, v2
	v_and_b32_e32 v2, 0xffff, v2
	s_delay_alu instid0(VALU_DEP_1) | instskip(SKIP_1) | instid1(VALU_DEP_1)
	v_mul_u32_u24_e32 v2, 0x10001, v2
	s_wait_dscnt 0x0
	v_pk_fma_f16 v29, v4, v2, v29
	v_pk_fma_f16 v0, v5, v2, v0
	v_lshrrev_b32_e32 v2, 16, v3
	v_mul_u32_u24_e32 v43, 0x10001, v43
	v_and_b32_e32 v3, 0xffff, v3
	s_delay_alu instid0(VALU_DEP_3) | instskip(NEXT) | instid1(VALU_DEP_3)
	v_mul_u32_u24_e32 v2, 0x10001, v2
	v_pk_fma_f16 v4, v4, v43, v46
	s_delay_alu instid0(VALU_DEP_3) | instskip(SKIP_1) | instid1(VALU_DEP_2)
	v_mul_u32_u24_e32 v3, 0x10001, v3
	v_pk_fma_f16 v1, v5, v43, v1
	v_pk_fma_f16 v5, v6, v3, v29
	s_delay_alu instid0(VALU_DEP_4)
	v_pk_fma_f16 v6, v6, v2, v4
	v_add_nc_u32_e32 v4, 0x1000, v81
	v_pk_fma_f16 v29, v7, v3, v0
	v_pk_fma_f16 v7, v7, v2, v1
	ds_load_2addr_b64 v[0:3], v4 offset1:32
	ds_load_b128 v[46:49], v35 offset:11328
	s_wait_dscnt 0x0
	v_lshrrev_b32_e32 v43, 16, v46
	v_and_b32_e32 v46, 0xffff, v46
	s_delay_alu instid0(VALU_DEP_2) | instskip(NEXT) | instid1(VALU_DEP_2)
	v_mul_u32_u24_e32 v43, 0x10001, v43
	v_mul_u32_u24_e32 v46, 0x10001, v46
	s_delay_alu instid0(VALU_DEP_1) | instskip(NEXT) | instid1(VALU_DEP_3)
	v_pk_fma_f16 v5, v0, v46, v5
	v_pk_fma_f16 v0, v0, v43, v6
	;; [unrolled: 1-line block ×4, first 2 shown]
	v_lshrrev_b32_e32 v7, 16, v47
	v_and_b32_e32 v29, 0xffff, v47
	v_and_b32_e32 v46, 0xffff, v48
	s_delay_alu instid0(VALU_DEP_3) | instskip(NEXT) | instid1(VALU_DEP_3)
	v_mul_u32_u24_e32 v7, 0x10001, v7
	v_mul_u32_u24_e32 v29, 0x10001, v29
	s_delay_alu instid0(VALU_DEP_3) | instskip(NEXT) | instid1(VALU_DEP_3)
	v_mul_u32_u24_e32 v46, 0x10001, v46
	v_pk_fma_f16 v43, v2, v7, v0
	s_delay_alu instid0(VALU_DEP_3) | instskip(SKIP_4) | instid1(VALU_DEP_1)
	v_pk_fma_f16 v5, v2, v29, v5
	v_pk_fma_f16 v6, v3, v29, v6
	;; [unrolled: 1-line block ×3, first 2 shown]
	ds_load_2addr_b64 v[0:3], v4 offset0:64 offset1:96
	v_lshrrev_b32_e32 v29, 16, v48
	v_mul_u32_u24_e32 v29, 0x10001, v29
	s_wait_dscnt 0x0
	v_pk_fma_f16 v5, v0, v46, v5
	s_delay_alu instid0(VALU_DEP_2) | instskip(SKIP_4) | instid1(VALU_DEP_2)
	v_pk_fma_f16 v0, v0, v29, v43
	v_pk_fma_f16 v6, v1, v46, v6
	;; [unrolled: 1-line block ×3, first 2 shown]
	v_lshrrev_b32_e32 v7, 16, v49
	v_and_b32_e32 v29, 0xffff, v49
	v_mul_u32_u24_e32 v7, 0x10001, v7
	s_delay_alu instid0(VALU_DEP_2) | instskip(NEXT) | instid1(VALU_DEP_2)
	v_mul_u32_u24_e32 v29, 0x10001, v29
	v_pk_fma_f16 v43, v2, v7, v0
	s_delay_alu instid0(VALU_DEP_2)
	v_pk_fma_f16 v5, v2, v29, v5
	v_pk_fma_f16 v6, v3, v29, v6
	;; [unrolled: 1-line block ×3, first 2 shown]
	ds_load_2addr_b64 v[0:3], v4 offset0:128 offset1:160
	ds_load_b128 v[46:49], v35 offset:11344
	s_wait_dscnt 0x0
	v_lshrrev_b32_e32 v29, 16, v46
	v_and_b32_e32 v46, 0xffff, v46
	s_delay_alu instid0(VALU_DEP_2) | instskip(NEXT) | instid1(VALU_DEP_2)
	v_mul_u32_u24_e32 v29, 0x10001, v29
	v_mul_u32_u24_e32 v46, 0x10001, v46
	s_delay_alu instid0(VALU_DEP_1) | instskip(NEXT) | instid1(VALU_DEP_3)
	v_pk_fma_f16 v5, v0, v46, v5
	v_pk_fma_f16 v0, v0, v29, v43
	;; [unrolled: 1-line block ×4, first 2 shown]
	v_lshrrev_b32_e32 v7, 16, v47
	v_and_b32_e32 v29, 0xffff, v47
	v_and_b32_e32 v46, 0xffff, v48
	s_delay_alu instid0(VALU_DEP_3) | instskip(NEXT) | instid1(VALU_DEP_3)
	v_mul_u32_u24_e32 v7, 0x10001, v7
	v_mul_u32_u24_e32 v29, 0x10001, v29
	s_delay_alu instid0(VALU_DEP_3) | instskip(NEXT) | instid1(VALU_DEP_3)
	v_mul_u32_u24_e32 v46, 0x10001, v46
	v_pk_fma_f16 v43, v2, v7, v0
	s_delay_alu instid0(VALU_DEP_3) | instskip(SKIP_4) | instid1(VALU_DEP_1)
	v_pk_fma_f16 v5, v2, v29, v5
	v_pk_fma_f16 v6, v3, v29, v6
	;; [unrolled: 1-line block ×3, first 2 shown]
	ds_load_2addr_b64 v[0:3], v4 offset0:192 offset1:224
	v_lshrrev_b32_e32 v29, 16, v48
	v_mul_u32_u24_e32 v29, 0x10001, v29
	s_wait_dscnt 0x0
	v_pk_fma_f16 v5, v0, v46, v5
	s_delay_alu instid0(VALU_DEP_2) | instskip(SKIP_4) | instid1(VALU_DEP_2)
	v_pk_fma_f16 v0, v0, v29, v43
	v_pk_fma_f16 v6, v1, v46, v6
	;; [unrolled: 1-line block ×3, first 2 shown]
	v_and_b32_e32 v29, 0xffff, v49
	v_lshrrev_b32_e32 v7, 16, v49
	v_mul_u32_u24_e32 v29, 0x10001, v29
	s_delay_alu instid0(VALU_DEP_2) | instskip(NEXT) | instid1(VALU_DEP_2)
	v_mul_u32_u24_e32 v7, 0x10001, v7
	v_pk_fma_f16 v43, v2, v29, v5
	v_add_nc_u32_e32 v5, 0x1800, v81
	s_delay_alu instid0(VALU_DEP_3)
	v_pk_fma_f16 v50, v2, v7, v0
	v_pk_fma_f16 v6, v3, v29, v6
	;; [unrolled: 1-line block ×3, first 2 shown]
	ds_load_2addr_b64 v[0:3], v5 offset1:32
	ds_load_b128 v[46:49], v35 offset:11360
	s_wait_dscnt 0x0
	v_lshrrev_b32_e32 v29, 16, v46
	v_and_b32_e32 v46, 0xffff, v46
	s_delay_alu instid0(VALU_DEP_2) | instskip(NEXT) | instid1(VALU_DEP_2)
	v_mul_u32_u24_e32 v29, 0x10001, v29
	v_mul_u32_u24_e32 v46, 0x10001, v46
	s_delay_alu instid0(VALU_DEP_1) | instskip(NEXT) | instid1(VALU_DEP_3)
	v_pk_fma_f16 v43, v0, v46, v43
	v_pk_fma_f16 v0, v0, v29, v50
	;; [unrolled: 1-line block ×4, first 2 shown]
	v_lshrrev_b32_e32 v7, 16, v47
	v_and_b32_e32 v29, 0xffff, v47
	v_and_b32_e32 v47, 0xffff, v48
	s_delay_alu instid0(VALU_DEP_3) | instskip(NEXT) | instid1(VALU_DEP_3)
	v_mul_u32_u24_e32 v7, 0x10001, v7
	v_mul_u32_u24_e32 v29, 0x10001, v29
	s_delay_alu instid0(VALU_DEP_3) | instskip(NEXT) | instid1(VALU_DEP_3)
	v_mul_u32_u24_e32 v47, 0x10001, v47
	v_pk_fma_f16 v46, v2, v7, v0
	s_delay_alu instid0(VALU_DEP_3) | instskip(SKIP_4) | instid1(VALU_DEP_1)
	v_pk_fma_f16 v43, v2, v29, v43
	v_pk_fma_f16 v6, v3, v29, v6
	;; [unrolled: 1-line block ×3, first 2 shown]
	ds_load_2addr_b64 v[0:3], v5 offset0:64 offset1:96
	v_lshrrev_b32_e32 v29, 16, v48
	v_mul_u32_u24_e32 v29, 0x10001, v29
	s_wait_dscnt 0x0
	v_pk_fma_f16 v43, v0, v47, v43
	s_delay_alu instid0(VALU_DEP_2) | instskip(SKIP_4) | instid1(VALU_DEP_2)
	v_pk_fma_f16 v0, v0, v29, v46
	v_pk_fma_f16 v6, v1, v47, v6
	;; [unrolled: 1-line block ×3, first 2 shown]
	v_lshrrev_b32_e32 v7, 16, v49
	v_and_b32_e32 v29, 0xffff, v49
	v_mul_u32_u24_e32 v7, 0x10001, v7
	s_delay_alu instid0(VALU_DEP_2) | instskip(NEXT) | instid1(VALU_DEP_2)
	v_mul_u32_u24_e32 v29, 0x10001, v29
	v_pk_fma_f16 v50, v2, v7, v0
	s_delay_alu instid0(VALU_DEP_2)
	v_pk_fma_f16 v43, v2, v29, v43
	v_pk_fma_f16 v6, v3, v29, v6
	;; [unrolled: 1-line block ×3, first 2 shown]
	ds_load_2addr_b64 v[0:3], v5 offset0:128 offset1:160
	ds_load_b128 v[46:49], v35 offset:11376
	s_wait_dscnt 0x0
	v_lshrrev_b32_e32 v29, 16, v46
	v_and_b32_e32 v46, 0xffff, v46
	s_delay_alu instid0(VALU_DEP_2) | instskip(NEXT) | instid1(VALU_DEP_2)
	v_mul_u32_u24_e32 v29, 0x10001, v29
	v_mul_u32_u24_e32 v46, 0x10001, v46
	s_delay_alu instid0(VALU_DEP_1) | instskip(NEXT) | instid1(VALU_DEP_3)
	v_pk_fma_f16 v43, v0, v46, v43
	v_pk_fma_f16 v0, v0, v29, v50
	;; [unrolled: 1-line block ×4, first 2 shown]
	v_lshrrev_b32_e32 v7, 16, v47
	v_and_b32_e32 v29, 0xffff, v47
	v_and_b32_e32 v47, 0xffff, v48
	s_delay_alu instid0(VALU_DEP_3) | instskip(NEXT) | instid1(VALU_DEP_3)
	v_mul_u32_u24_e32 v7, 0x10001, v7
	v_mul_u32_u24_e32 v29, 0x10001, v29
	s_delay_alu instid0(VALU_DEP_3) | instskip(NEXT) | instid1(VALU_DEP_3)
	v_mul_u32_u24_e32 v47, 0x10001, v47
	v_pk_fma_f16 v46, v2, v7, v0
	s_delay_alu instid0(VALU_DEP_3)
	v_pk_fma_f16 v43, v2, v29, v43
	v_pk_fma_f16 v6, v3, v29, v6
	;; [unrolled: 1-line block ×3, first 2 shown]
	ds_load_2addr_b64 v[0:3], v5 offset0:192 offset1:224
	v_lshrrev_b32_e32 v29, 16, v48
	s_wait_dscnt 0x0
	s_barrier_signal -1
	s_barrier_wait -1
	s_delay_alu instid0(VALU_DEP_1)
	v_mul_u32_u24_e32 v29, 0x10001, v29
	s_clause 0x1
	scratch_store_b32 off, v19, off
	scratch_store_b96 off, v[8:10], off offset:4
	v_pk_fma_f16 v43, v0, v47, v43
	v_pk_fma_f16 v0, v0, v29, v46
	;; [unrolled: 1-line block ×4, first 2 shown]
	v_lshrrev_b32_e32 v6, 16, v49
	v_and_b32_e32 v7, 0xffff, v49
	s_delay_alu instid0(VALU_DEP_2) | instskip(NEXT) | instid1(VALU_DEP_2)
	v_mul_u32_u24_e32 v47, 0x10001, v6
	v_mul_u32_u24_e32 v29, 0x10001, v7
	s_delay_alu instid0(VALU_DEP_2) | instskip(NEXT) | instid1(VALU_DEP_2)
	v_pk_fma_f16 v7, v2, v47, v0
	v_pk_fma_f16 v6, v2, v29, v43
	;; [unrolled: 1-line block ×4, first 2 shown]
	v_add_nc_u64_e32 v[0:1], s[2:3], v[20:21]
	s_delay_alu instid0(VALU_DEP_1) | instskip(NEXT) | instid1(VALU_DEP_1)
	v_add_nc_u64_e32 v[0:1], v[0:1], v[18:19]
	v_dual_cndmask_b32 v1, v17, v1 :: v_dual_cndmask_b32 v0, v16, v0
	v_cmp_gt_i32_e32 vcc_lo, s4, v44
	v_mov_b64_e32 v[44:45], v[12:13]
	flat_load_b128 v[0:3], v[0:1]
	s_wait_loadcnt_dscnt 0x0
	ds_store_b128 v42, v[0:3]
	s_wait_xcnt 0x0
	v_add_nc_u64_e32 v[0:1], s[2:3], v[24:25]
	s_clause 0x1
	scratch_store_b32 off, v19, off
	scratch_store_b96 off, v[8:10], off offset:4
	v_add_nc_u64_e32 v[0:1], v[0:1], v[18:19]
	s_delay_alu instid0(VALU_DEP_1)
	v_dual_cndmask_b32 v1, v17, v1 :: v_dual_cndmask_b32 v0, v16, v0
	v_cmp_gt_i32_e32 vcc_lo, s4, v41
	flat_load_b128 v[0:3], v[0:1]
	s_wait_loadcnt_dscnt 0x0
	ds_store_b128 v39, v[0:3]
	s_wait_xcnt 0x0
	v_add_nc_u64_e32 v[0:1], s[2:3], v[26:27]
	s_clause 0x1
	scratch_store_b32 off, v19, off
	scratch_store_b96 off, v[8:10], off offset:4
	v_add_nc_u64_e32 v[0:1], v[0:1], v[18:19]
	s_delay_alu instid0(VALU_DEP_1)
	v_dual_cndmask_b32 v1, v17, v1 :: v_dual_cndmask_b32 v0, v16, v0
	v_cmp_gt_i32_e32 vcc_lo, s4, v38
	flat_load_b128 v[0:3], v[0:1]
	s_wait_loadcnt_dscnt 0x0
	ds_store_b128 v37, v[0:3]
	s_wait_xcnt 0x0
	v_add_nc_u64_e32 v[0:1], s[2:3], v[22:23]
	s_clause 0x1
	scratch_store_b32 off, v19, off
	scratch_store_b96 off, v[8:10], off offset:4
	v_add_nc_u64_e32 v[0:1], v[0:1], v[18:19]
	s_delay_alu instid0(VALU_DEP_1)
	v_dual_cndmask_b32 v1, v17, v1 :: v_dual_cndmask_b32 v0, v16, v0
	flat_load_b128 v[0:3], v[0:1]
	s_wait_loadcnt_dscnt 0x0
	ds_store_b128 v36, v[0:3]
	s_wait_storecnt_dscnt 0x0
	s_barrier_signal -1
	s_barrier_wait -1
	s_wait_xcnt 0x2
	ds_load_2addr_b64 v[16:19], v81 offset1:32
	ds_load_b128 v[20:23], v35 offset:11392
	ds_load_b128 v[24:27], v35 offset:11408
	;; [unrolled: 1-line block ×3, first 2 shown]
	s_wait_xcnt 0x0
	ds_load_b128 v[0:3], v35 offset:11440
	s_wait_dscnt 0x3
	v_lshrrev_b32_e32 v8, 16, v20
	v_and_b32_e32 v9, 0xffff, v20
	v_lshrrev_b32_e32 v10, 16, v21
	v_and_b32_e32 v20, 0xffff, v22
	s_delay_alu instid0(VALU_DEP_4) | instskip(NEXT) | instid1(VALU_DEP_4)
	v_mul_u32_u24_e32 v8, 0x10001, v8
	v_mul_u32_u24_e32 v9, 0x10001, v9
	s_delay_alu instid0(VALU_DEP_4) | instskip(NEXT) | instid1(VALU_DEP_4)
	v_mul_u32_u24_e32 v10, 0x10001, v10
	v_mul_u32_u24_e32 v20, 0x10001, v20
	s_delay_alu instid0(VALU_DEP_4) | instskip(NEXT) | instid1(VALU_DEP_4)
	v_pk_fma_f16 v7, v16, v8, v7
	v_pk_fma_f16 v6, v16, v9, v6
	v_and_b32_e32 v16, 0xffff, v21
	v_pk_fma_f16 v9, v17, v9, v29
	v_pk_fma_f16 v8, v17, v8, v46
	v_mov_b64_e32 v[46:47], v[14:15]
	s_delay_alu instid0(VALU_DEP_4) | instskip(NEXT) | instid1(VALU_DEP_1)
	v_mul_u32_u24_e32 v16, 0x10001, v16
	v_pk_fma_f16 v17, v18, v16, v6
	v_pk_fma_f16 v18, v18, v10, v7
	v_pk_fma_f16 v16, v19, v16, v9
	v_pk_fma_f16 v10, v19, v10, v8
	ds_load_2addr_b64 v[6:9], v81 offset0:64 offset1:96
	v_lshrrev_b32_e32 v19, 16, v22
	s_delay_alu instid0(VALU_DEP_1) | instskip(SKIP_2) | instid1(VALU_DEP_2)
	v_mul_u32_u24_e32 v19, 0x10001, v19
	s_wait_dscnt 0x0
	v_pk_fma_f16 v17, v6, v20, v17
	v_pk_fma_f16 v6, v6, v19, v18
	v_and_b32_e32 v18, 0xffff, v23
	v_pk_fma_f16 v16, v7, v20, v16
	v_pk_fma_f16 v7, v7, v19, v10
	v_lshrrev_b32_e32 v10, 16, v23
	v_and_b32_e32 v20, 0xffff, v24
	v_mul_u32_u24_e32 v18, 0x10001, v18
	s_delay_alu instid0(VALU_DEP_2) | instskip(NEXT) | instid1(VALU_DEP_2)
	v_mul_u32_u24_e32 v20, 0x10001, v20
	v_pk_fma_f16 v17, v8, v18, v17
	v_pk_fma_f16 v16, v9, v18, v16
	v_lshrrev_b32_e32 v18, 16, v24
	v_mul_u32_u24_e32 v10, 0x10001, v10
	s_delay_alu instid0(VALU_DEP_2) | instskip(NEXT) | instid1(VALU_DEP_2)
	v_mul_u32_u24_e32 v18, 0x10001, v18
	v_pk_fma_f16 v19, v8, v10, v6
	v_pk_fma_f16 v10, v9, v10, v7
	ds_load_2addr_b64 v[6:9], v81 offset0:128 offset1:160
	s_wait_dscnt 0x0
	v_pk_fma_f16 v17, v6, v20, v17
	v_pk_fma_f16 v6, v6, v18, v19
	;; [unrolled: 1-line block ×4, first 2 shown]
	v_and_b32_e32 v18, 0xffff, v25
	v_lshrrev_b32_e32 v10, 16, v25
	v_and_b32_e32 v20, 0xffff, v26
	s_delay_alu instid0(VALU_DEP_3) | instskip(NEXT) | instid1(VALU_DEP_2)
	v_mul_u32_u24_e32 v18, 0x10001, v18
	v_mul_u32_u24_e32 v20, 0x10001, v20
	s_delay_alu instid0(VALU_DEP_2) | instskip(SKIP_3) | instid1(VALU_DEP_2)
	v_pk_fma_f16 v17, v8, v18, v17
	v_pk_fma_f16 v16, v9, v18, v16
	v_lshrrev_b32_e32 v18, 16, v26
	v_mul_u32_u24_e32 v10, 0x10001, v10
	v_mul_u32_u24_e32 v18, 0x10001, v18
	s_delay_alu instid0(VALU_DEP_2)
	v_pk_fma_f16 v19, v8, v10, v6
	v_pk_fma_f16 v10, v9, v10, v7
	ds_load_2addr_b64 v[6:9], v81 offset0:192 offset1:224
	s_wait_dscnt 0x0
	v_pk_fma_f16 v17, v6, v20, v17
	v_pk_fma_f16 v6, v6, v18, v19
	;; [unrolled: 1-line block ×4, first 2 shown]
	v_and_b32_e32 v18, 0xffff, v27
	v_lshrrev_b32_e32 v10, 16, v27
	v_and_b32_e32 v20, 0xffff, v36
	s_delay_alu instid0(VALU_DEP_3) | instskip(NEXT) | instid1(VALU_DEP_2)
	v_mul_u32_u24_e32 v18, 0x10001, v18
	v_mul_u32_u24_e32 v20, 0x10001, v20
	s_delay_alu instid0(VALU_DEP_2) | instskip(SKIP_3) | instid1(VALU_DEP_2)
	v_pk_fma_f16 v17, v8, v18, v17
	v_pk_fma_f16 v16, v9, v18, v16
	v_lshrrev_b32_e32 v18, 16, v36
	v_mul_u32_u24_e32 v10, 0x10001, v10
	v_mul_u32_u24_e32 v18, 0x10001, v18
	s_delay_alu instid0(VALU_DEP_2)
	v_pk_fma_f16 v19, v8, v10, v6
	v_pk_fma_f16 v10, v9, v10, v7
	ds_load_2addr_b64 v[6:9], v28 offset1:32
	s_wait_dscnt 0x0
	v_pk_fma_f16 v17, v6, v20, v17
	v_pk_fma_f16 v6, v6, v18, v19
	;; [unrolled: 1-line block ×4, first 2 shown]
	v_and_b32_e32 v18, 0xffff, v37
	v_lshrrev_b32_e32 v10, 16, v37
	v_and_b32_e32 v20, 0xffff, v38
	s_delay_alu instid0(VALU_DEP_3) | instskip(NEXT) | instid1(VALU_DEP_2)
	v_mul_u32_u24_e32 v18, 0x10001, v18
	v_mul_u32_u24_e32 v20, 0x10001, v20
	s_delay_alu instid0(VALU_DEP_2) | instskip(SKIP_3) | instid1(VALU_DEP_2)
	v_pk_fma_f16 v17, v8, v18, v17
	v_pk_fma_f16 v16, v9, v18, v16
	v_lshrrev_b32_e32 v18, 16, v38
	v_mul_u32_u24_e32 v10, 0x10001, v10
	v_mul_u32_u24_e32 v18, 0x10001, v18
	s_delay_alu instid0(VALU_DEP_2)
	v_pk_fma_f16 v19, v8, v10, v6
	v_pk_fma_f16 v10, v9, v10, v7
	ds_load_2addr_b64 v[6:9], v28 offset0:64 offset1:96
	s_wait_dscnt 0x0
	v_pk_fma_f16 v17, v6, v20, v17
	v_pk_fma_f16 v6, v6, v18, v19
	;; [unrolled: 1-line block ×4, first 2 shown]
	v_and_b32_e32 v18, 0xffff, v39
	v_lshrrev_b32_e32 v10, 16, v39
	s_delay_alu instid0(VALU_DEP_2) | instskip(NEXT) | instid1(VALU_DEP_1)
	v_mul_u32_u24_e32 v18, 0x10001, v18
	v_pk_fma_f16 v17, v8, v18, v17
	v_pk_fma_f16 v16, v9, v18, v16
	v_lshrrev_b32_e32 v18, 16, v0
	v_mul_u32_u24_e32 v10, 0x10001, v10
	v_and_b32_e32 v0, 0xffff, v0
	s_delay_alu instid0(VALU_DEP_3) | instskip(NEXT) | instid1(VALU_DEP_3)
	v_mul_u32_u24_e32 v18, 0x10001, v18
	v_pk_fma_f16 v19, v8, v10, v6
	v_pk_fma_f16 v10, v9, v10, v7
	ds_load_2addr_b64 v[6:9], v28 offset0:128 offset1:160
	v_mul_u32_u24_e32 v0, 0x10001, v0
	s_wait_dscnt 0x0
	s_delay_alu instid0(VALU_DEP_1)
	v_pk_fma_f16 v17, v6, v0, v17
	v_pk_fma_f16 v0, v7, v0, v16
	;; [unrolled: 1-line block ×3, first 2 shown]
	v_lshrrev_b32_e32 v10, 16, v1
	v_and_b32_e32 v1, 0xffff, v1
	v_pk_fma_f16 v6, v6, v18, v19
	s_delay_alu instid0(VALU_DEP_3) | instskip(NEXT) | instid1(VALU_DEP_3)
	v_mul_u32_u24_e32 v10, 0x10001, v10
	v_mul_u32_u24_e32 v1, 0x10001, v1
	s_delay_alu instid0(VALU_DEP_1) | instskip(NEXT) | instid1(VALU_DEP_3)
	v_pk_fma_f16 v16, v8, v1, v17
	v_pk_fma_f16 v17, v8, v10, v6
	;; [unrolled: 1-line block ×4, first 2 shown]
	ds_load_2addr_b64 v[6:9], v28 offset0:192 offset1:224
	v_lshrrev_b32_e32 v10, 16, v2
	v_and_b32_e32 v2, 0xffff, v2
	s_delay_alu instid0(VALU_DEP_2) | instskip(NEXT) | instid1(VALU_DEP_2)
	v_mul_u32_u24_e32 v10, 0x10001, v10
	v_mul_u32_u24_e32 v2, 0x10001, v2
	s_wait_dscnt 0x0
	s_delay_alu instid0(VALU_DEP_1)
	v_pk_fma_f16 v16, v6, v2, v16
	v_pk_fma_f16 v0, v7, v2, v0
	v_lshrrev_b32_e32 v2, 16, v3
	v_and_b32_e32 v3, 0xffff, v3
	v_pk_fma_f16 v6, v6, v10, v17
	v_pk_fma_f16 v1, v7, v10, v1
	s_delay_alu instid0(VALU_DEP_4) | instskip(NEXT) | instid1(VALU_DEP_4)
	v_mul_u32_u24_e32 v2, 0x10001, v2
	v_mul_u32_u24_e32 v3, 0x10001, v3
	s_delay_alu instid0(VALU_DEP_2) | instskip(NEXT) | instid1(VALU_DEP_2)
	v_pk_fma_f16 v18, v9, v2, v1
	v_pk_fma_f16 v10, v8, v3, v16
	;; [unrolled: 1-line block ×4, first 2 shown]
	ds_load_2addr_b64 v[0:3], v4 offset1:32
	ds_load_b128 v[6:9], v35 offset:11456
	s_wait_dscnt 0x0
	v_lshrrev_b32_e32 v19, 16, v6
	v_and_b32_e32 v6, 0xffff, v6
	s_delay_alu instid0(VALU_DEP_2) | instskip(NEXT) | instid1(VALU_DEP_2)
	v_mul_u32_u24_e32 v19, 0x10001, v19
	v_mul_u32_u24_e32 v6, 0x10001, v6
	s_delay_alu instid0(VALU_DEP_1) | instskip(NEXT) | instid1(VALU_DEP_3)
	v_pk_fma_f16 v10, v0, v6, v10
	v_pk_fma_f16 v0, v0, v19, v16
	v_lshrrev_b32_e32 v16, 16, v7
	v_and_b32_e32 v7, 0xffff, v7
	v_pk_fma_f16 v6, v1, v6, v17
	v_pk_fma_f16 v1, v1, v19, v18
	s_delay_alu instid0(VALU_DEP_4) | instskip(NEXT) | instid1(VALU_DEP_4)
	v_mul_u32_u24_e32 v16, 0x10001, v16
	v_mul_u32_u24_e32 v7, 0x10001, v7
	s_delay_alu instid0(VALU_DEP_2) | instskip(NEXT) | instid1(VALU_DEP_2)
	v_pk_fma_f16 v17, v2, v16, v0
	v_pk_fma_f16 v10, v2, v7, v10
	;; [unrolled: 1-line block ×4, first 2 shown]
	ds_load_2addr_b64 v[0:3], v4 offset0:64 offset1:96
	v_lshrrev_b32_e32 v16, 16, v8
	v_and_b32_e32 v8, 0xffff, v8
	s_delay_alu instid0(VALU_DEP_2) | instskip(NEXT) | instid1(VALU_DEP_2)
	v_mul_u32_u24_e32 v16, 0x10001, v16
	v_mul_u32_u24_e32 v8, 0x10001, v8
	s_wait_dscnt 0x0
	s_delay_alu instid0(VALU_DEP_1)
	v_pk_fma_f16 v10, v0, v8, v10
	v_pk_fma_f16 v6, v1, v8, v6
	;; [unrolled: 1-line block ×3, first 2 shown]
	v_lshrrev_b32_e32 v7, 16, v9
	v_and_b32_e32 v8, 0xffff, v9
	v_pk_fma_f16 v0, v0, v16, v17
	s_delay_alu instid0(VALU_DEP_3) | instskip(NEXT) | instid1(VALU_DEP_3)
	v_mul_u32_u24_e32 v7, 0x10001, v7
	v_mul_u32_u24_e32 v8, 0x10001, v8
	s_delay_alu instid0(VALU_DEP_2) | instskip(NEXT) | instid1(VALU_DEP_2)
	v_pk_fma_f16 v16, v2, v7, v0
	v_pk_fma_f16 v10, v2, v8, v10
	;; [unrolled: 1-line block ×4, first 2 shown]
	ds_load_2addr_b64 v[0:3], v4 offset0:128 offset1:160
	ds_load_b128 v[6:9], v35 offset:11472
	s_wait_dscnt 0x0
	v_lshrrev_b32_e32 v19, 16, v6
	v_and_b32_e32 v6, 0xffff, v6
	s_delay_alu instid0(VALU_DEP_2) | instskip(NEXT) | instid1(VALU_DEP_2)
	v_mul_u32_u24_e32 v19, 0x10001, v19
	v_mul_u32_u24_e32 v6, 0x10001, v6
	s_delay_alu instid0(VALU_DEP_1) | instskip(NEXT) | instid1(VALU_DEP_3)
	v_pk_fma_f16 v10, v0, v6, v10
	v_pk_fma_f16 v0, v0, v19, v16
	v_lshrrev_b32_e32 v16, 16, v7
	v_and_b32_e32 v7, 0xffff, v7
	v_pk_fma_f16 v6, v1, v6, v17
	v_pk_fma_f16 v1, v1, v19, v18
	s_delay_alu instid0(VALU_DEP_4) | instskip(NEXT) | instid1(VALU_DEP_4)
	v_mul_u32_u24_e32 v16, 0x10001, v16
	v_mul_u32_u24_e32 v7, 0x10001, v7
	s_delay_alu instid0(VALU_DEP_2) | instskip(NEXT) | instid1(VALU_DEP_2)
	v_pk_fma_f16 v17, v2, v16, v0
	v_pk_fma_f16 v10, v2, v7, v10
	;; [unrolled: 1-line block ×4, first 2 shown]
	ds_load_2addr_b64 v[0:3], v4 offset0:192 offset1:224
	v_lshrrev_b32_e32 v4, 16, v8
	v_and_b32_e32 v8, 0xffff, v8
	s_delay_alu instid0(VALU_DEP_2) | instskip(NEXT) | instid1(VALU_DEP_2)
	v_mul_u32_u24_e32 v4, 0x10001, v4
	v_mul_u32_u24_e32 v8, 0x10001, v8
	s_wait_dscnt 0x0
	s_delay_alu instid0(VALU_DEP_1) | instskip(NEXT) | instid1(VALU_DEP_3)
	v_pk_fma_f16 v10, v0, v8, v10
	v_pk_fma_f16 v0, v0, v4, v17
	;; [unrolled: 1-line block ×4, first 2 shown]
	v_lshrrev_b32_e32 v4, 16, v9
	v_and_b32_e32 v7, 0xffff, v9
	s_delay_alu instid0(VALU_DEP_2) | instskip(NEXT) | instid1(VALU_DEP_2)
	v_mul_u32_u24_e32 v4, 0x10001, v4
	v_mul_u32_u24_e32 v7, 0x10001, v7
	s_delay_alu instid0(VALU_DEP_2) | instskip(NEXT) | instid1(VALU_DEP_2)
	v_pk_fma_f16 v16, v2, v4, v0
	v_pk_fma_f16 v10, v2, v7, v10
	;; [unrolled: 1-line block ×4, first 2 shown]
	ds_load_2addr_b64 v[0:3], v5 offset1:32
	ds_load_b128 v[6:9], v35 offset:11488
	s_wait_dscnt 0x0
	v_lshrrev_b32_e32 v18, 16, v6
	v_and_b32_e32 v6, 0xffff, v6
	s_delay_alu instid0(VALU_DEP_2) | instskip(NEXT) | instid1(VALU_DEP_2)
	v_mul_u32_u24_e32 v18, 0x10001, v18
	v_mul_u32_u24_e32 v6, 0x10001, v6
	s_delay_alu instid0(VALU_DEP_1) | instskip(SKIP_1) | instid1(VALU_DEP_4)
	v_pk_fma_f16 v10, v0, v6, v10
	v_pk_fma_f16 v6, v1, v6, v17
	;; [unrolled: 1-line block ×3, first 2 shown]
	v_lshrrev_b32_e32 v4, 16, v7
	v_and_b32_e32 v7, 0xffff, v7
	v_pk_fma_f16 v0, v0, v18, v16
	s_delay_alu instid0(VALU_DEP_2) | instskip(NEXT) | instid1(VALU_DEP_1)
	v_mul_u32_u24_e32 v7, 0x10001, v7
	v_pk_fma_f16 v10, v2, v7, v10
	v_pk_fma_f16 v6, v3, v7, v6
	v_lshrrev_b32_e32 v7, 16, v8
	v_mul_u32_u24_e32 v4, 0x10001, v4
	v_and_b32_e32 v8, 0xffff, v8
	s_delay_alu instid0(VALU_DEP_3) | instskip(NEXT) | instid1(VALU_DEP_3)
	v_mul_u32_u24_e32 v7, 0x10001, v7
	v_pk_fma_f16 v16, v2, v4, v0
	v_pk_fma_f16 v4, v3, v4, v1
	ds_load_2addr_b64 v[0:3], v5 offset0:64 offset1:96
	v_mul_u32_u24_e32 v8, 0x10001, v8
	s_wait_dscnt 0x0
	s_delay_alu instid0(VALU_DEP_1)
	v_pk_fma_f16 v10, v0, v8, v10
	v_pk_fma_f16 v0, v0, v7, v16
	;; [unrolled: 1-line block ×4, first 2 shown]
	v_lshrrev_b32_e32 v4, 16, v9
	v_and_b32_e32 v7, 0xffff, v9
	s_delay_alu instid0(VALU_DEP_2) | instskip(NEXT) | instid1(VALU_DEP_2)
	v_mul_u32_u24_e32 v4, 0x10001, v4
	v_mul_u32_u24_e32 v7, 0x10001, v7
	s_delay_alu instid0(VALU_DEP_2) | instskip(NEXT) | instid1(VALU_DEP_2)
	v_pk_fma_f16 v16, v2, v4, v0
	v_pk_fma_f16 v10, v2, v7, v10
	;; [unrolled: 1-line block ×4, first 2 shown]
	ds_load_2addr_b64 v[0:3], v5 offset0:128 offset1:160
	ds_load_b128 v[6:9], v35 offset:11504
	s_wait_dscnt 0x0
	v_lshrrev_b32_e32 v18, 16, v6
	v_and_b32_e32 v6, 0xffff, v6
	s_delay_alu instid0(VALU_DEP_2) | instskip(NEXT) | instid1(VALU_DEP_2)
	v_mul_u32_u24_e32 v18, 0x10001, v18
	v_mul_u32_u24_e32 v6, 0x10001, v6
	s_delay_alu instid0(VALU_DEP_1) | instskip(SKIP_1) | instid1(VALU_DEP_4)
	v_pk_fma_f16 v10, v0, v6, v10
	v_pk_fma_f16 v6, v1, v6, v17
	;; [unrolled: 1-line block ×3, first 2 shown]
	v_lshrrev_b32_e32 v4, 16, v7
	v_and_b32_e32 v7, 0xffff, v7
	v_pk_fma_f16 v0, v0, v18, v16
	s_delay_alu instid0(VALU_DEP_3) | instskip(NEXT) | instid1(VALU_DEP_3)
	v_mul_u32_u24_e32 v4, 0x10001, v4
	v_mul_u32_u24_e32 v7, 0x10001, v7
	s_delay_alu instid0(VALU_DEP_2) | instskip(NEXT) | instid1(VALU_DEP_2)
	v_pk_fma_f16 v16, v2, v4, v0
	v_pk_fma_f16 v10, v2, v7, v10
	;; [unrolled: 1-line block ×4, first 2 shown]
	ds_load_2addr_b64 v[0:3], v5 offset0:192 offset1:224
	v_lshrrev_b32_e32 v5, 16, v8
	v_and_b32_e32 v7, 0xffff, v8
	s_wait_dscnt 0x0
	s_barrier_signal -1
	s_barrier_wait -1
	v_mul_u32_u24_e32 v5, 0x10001, v5
	v_mul_u32_u24_e32 v7, 0x10001, v7
	s_delay_alu instid0(VALU_DEP_1) | instskip(NEXT) | instid1(VALU_DEP_3)
	v_pk_fma_f16 v8, v0, v7, v10
	v_pk_fma_f16 v0, v0, v5, v16
	;; [unrolled: 1-line block ×4, first 2 shown]
	v_lshrrev_b32_e32 v4, 16, v9
	v_and_b32_e32 v5, 0xffff, v9
	s_delay_alu instid0(VALU_DEP_2) | instskip(NEXT) | instid1(VALU_DEP_2)
	v_mul_u32_u24_e32 v4, 0x10001, v4
	v_mul_u32_u24_e32 v5, 0x10001, v5
	s_delay_alu instid0(VALU_DEP_2) | instskip(NEXT) | instid1(VALU_DEP_2)
	v_pk_fma_f16 v28, v2, v4, v0
	v_pk_fma_f16 v29, v2, v5, v8
	;; [unrolled: 1-line block ×4, first 2 shown]
.LBB89_77:
	v_cmp_lt_i32_e32 vcc_lo, v11, v31
	s_cmp_eq_u64 s[12:13], 0
	s_cselect_b32 s2, -1, 0
	s_cmp_lg_u32 s20, 0
	v_cndmask_b32_e32 v0, v80, v11, vcc_lo
	v_cmp_lt_i32_e32 vcc_lo, v30, v31
	s_cselect_b32 s3, -1, 0
	s_delay_alu instid0(SALU_CYCLE_1) | instskip(NEXT) | instid1(VALU_DEP_2)
	s_or_b32 s2, s3, s2
	v_dual_cndmask_b32 v2, v80, v30 :: v_dual_lshlrev_b32 v1, 2, v0
	v_cmp_lt_i32_e32 vcc_lo, v32, v31
	s_delay_alu instid0(VALU_DEP_2) | instskip(SKIP_4) | instid1(VALU_DEP_2)
	v_lshlrev_b32_e32 v3, 2, v2
	ds_bpermute_b32 v0, v1, v44
	ds_bpermute_b32 v1, v1, v45
	v_cndmask_b32_e32 v4, v80, v32, vcc_lo
	v_cmp_lt_i32_e32 vcc_lo, v33, v31
	v_lshlrev_b32_e32 v4, 2, v4
	s_wait_dscnt 0x0
	v_pk_add_f32 v[0:1], v[44:45], v[0:1]
	ds_bpermute_b32 v2, v3, v0
	ds_bpermute_b32 v3, v3, v1
	s_wait_dscnt 0x0
	v_pk_add_f32 v[0:1], v[0:1], v[2:3]
	ds_bpermute_b32 v2, v4, v0
	ds_bpermute_b32 v3, v4, v1
	v_cndmask_b32_e32 v4, v80, v33, vcc_lo
	v_cmp_lt_i32_e32 vcc_lo, v34, v31
	s_delay_alu instid0(VALU_DEP_2)
	v_lshlrev_b32_e32 v4, 2, v4
	s_wait_dscnt 0x0
	v_pk_add_f32 v[0:1], v[0:1], v[2:3]
	ds_bpermute_b32 v2, v4, v0
	ds_bpermute_b32 v3, v4, v1
	v_cndmask_b32_e32 v4, v80, v34, vcc_lo
	s_and_b32 vcc_lo, exec_lo, s2
	s_delay_alu instid0(VALU_DEP_1)
	v_lshlrev_b32_e32 v4, 2, v4
	s_wait_dscnt 0x0
	v_pk_add_f32 v[0:1], v[0:1], v[2:3]
	ds_bpermute_b32 v2, v4, v0
	ds_bpermute_b32 v3, v4, v1
	s_wait_dscnt 0x0
	v_pk_add_f32 v[0:1], v[0:1], v[2:3]
	s_cbranch_vccnz .LBB89_79
; %bb.78:
	v_dual_mov_b32 v2, s33 :: v_dual_max_num_f32 v5, v47, v47
	global_load_b32 v4, v2, s[12:13] scale_offset
	s_wait_loadcnt 0x0
	v_dual_max_num_f32 v2, v46, v46 :: v_dual_max_num_f32 v3, v4, v4
	s_delay_alu instid0(VALU_DEP_1) | instskip(NEXT) | instid1(VALU_DEP_1)
	v_dual_max_num_f32 v2, v2, v3 :: v_dual_max_num_f32 v3, v5, v3
	v_dual_sub_f32 v5, v46, v2 :: v_dual_sub_f32 v6, v4, v2
	s_delay_alu instid0(VALU_DEP_2) | instskip(SKIP_1) | instid1(VALU_DEP_3)
	v_dual_sub_f32 v7, v47, v3 :: v_dual_sub_f32 v8, v4, v3
	v_mov_b64_e32 v[46:47], v[2:3]
	v_dual_mul_f32 v4, 0x3fb8aa3b, v5 :: v_dual_mul_f32 v9, 0x3fb8aa3b, v6
	s_delay_alu instid0(VALU_DEP_3) | instskip(SKIP_1) | instid1(VALU_DEP_3)
	v_dual_mul_f32 v10, 0x3fb8aa3b, v7 :: v_dual_mul_f32 v11, 0x3fb8aa3b, v8
	v_cmp_ngt_f32_e32 vcc_lo, 0xc2ce8ed0, v5
	v_fma_f32 v12, 0x3fb8aa3b, v5, -v4
	s_delay_alu instid0(VALU_DEP_4) | instskip(SKIP_4) | instid1(VALU_DEP_4)
	v_fma_f32 v14, 0x3fb8aa3b, v6, -v9
	v_rndne_f32_e32 v15, v9
	v_rndne_f32_e32 v13, v4
	v_fma_f32 v16, 0x3fb8aa3b, v7, -v10
	v_rndne_f32_e32 v17, v10
	v_dual_fmac_f32 v12, 0x32a5705f, v5 :: v_dual_sub_f32 v9, v9, v15
	v_rndne_f32_e32 v19, v11
	v_fmac_f32_e32 v14, 0x32a5705f, v6
	v_fma_f32 v18, 0x3fb8aa3b, v8, -v11
	s_delay_alu instid0(VALU_DEP_3) | instskip(NEXT) | instid1(VALU_DEP_3)
	v_dual_sub_f32 v10, v10, v17 :: v_dual_sub_f32 v11, v11, v19
	v_dual_fmac_f32 v16, 0x32a5705f, v7 :: v_dual_add_f32 v9, v9, v14
	v_sub_f32_e32 v4, v4, v13
	v_cvt_i32_f32_e32 v13, v13
	v_cvt_i32_f32_e32 v14, v17
	s_delay_alu instid0(VALU_DEP_4)
	v_add_f32_e32 v10, v10, v16
	v_exp_f32_e32 v9, v9
	v_add_f32_e32 v4, v4, v12
	v_cvt_i32_f32_e32 v12, v15
	v_cvt_i32_f32_e32 v15, v19
	v_exp_f32_e32 v10, v10
	s_delay_alu instid0(VALU_DEP_3)
	v_exp_f32_e32 v4, v4
	s_delay_alu instid0(TRANS32_DEP_3) | instid1(VALU_DEP_2)
	v_ldexp_f32 v9, v9, v12
	s_delay_alu instid0(TRANS32_DEP_2) | instskip(NEXT) | instid1(TRANS32_DEP_1)
	v_ldexp_f32 v10, v10, v14
	v_ldexp_f32 v4, v4, v13
	s_delay_alu instid0(VALU_DEP_1) | instskip(SKIP_1) | instid1(VALU_DEP_4)
	v_cndmask_b32_e32 v4, 0, v4, vcc_lo
	v_cmp_ngt_f32_e32 vcc_lo, 0xc2ce8ed0, v7
	v_cndmask_b32_e32 v10, 0, v10, vcc_lo
	v_cmp_nlt_f32_e32 vcc_lo, 0x42b17218, v5
	s_delay_alu instid0(VALU_DEP_4) | instskip(SKIP_1) | instid1(VALU_DEP_4)
	v_cndmask_b32_e32 v4, 0x7f800000, v4, vcc_lo
	v_cmp_nlt_f32_e32 vcc_lo, 0x42b17218, v7
	v_cndmask_b32_e32 v5, 0x7f800000, v10, vcc_lo
	v_cmp_ngt_f32_e32 vcc_lo, 0xc2ce8ed0, v6
	v_fmac_f32_e32 v18, 0x32a5705f, v8
	v_cvt_f16_f32_e32 v10, v4
	v_cndmask_b32_e32 v9, 0, v9, vcc_lo
	v_cmp_ngt_f32_e32 vcc_lo, 0xc2ce8ed0, v8
	s_delay_alu instid0(VALU_DEP_4) | instskip(NEXT) | instid1(VALU_DEP_4)
	v_add_f32_e32 v11, v11, v18
	v_and_b32_e32 v10, 0xffff, v10
	s_delay_alu instid0(VALU_DEP_2) | instskip(SKIP_1) | instid1(TRANS32_DEP_1)
	v_exp_f32_e32 v11, v11
	v_nop
	v_ldexp_f32 v7, v11, v15
	v_cvt_f16_f32_e32 v11, v5
	s_delay_alu instid0(VALU_DEP_2) | instskip(SKIP_2) | instid1(VALU_DEP_4)
	v_cndmask_b32_e32 v7, 0, v7, vcc_lo
	v_cmp_nlt_f32_e32 vcc_lo, 0x42b17218, v6
	v_cndmask_b32_e32 v6, 0x7f800000, v9, vcc_lo
	v_and_b32_e32 v9, 0xffff, v11
	v_cmp_nlt_f32_e32 vcc_lo, 0x42b17218, v8
	v_mul_u32_u24_e32 v8, 0x10001, v10
	s_delay_alu instid0(VALU_DEP_3) | instskip(SKIP_1) | instid1(VALU_DEP_3)
	v_mul_u32_u24_e32 v9, 0x10001, v9
	v_cndmask_b32_e32 v7, 0x7f800000, v7, vcc_lo
	v_pk_mul_f16 v29, v29, v8
	v_pk_mul_f16 v23, v23, v8
	s_delay_alu instid0(VALU_DEP_4) | instskip(NEXT) | instid1(VALU_DEP_4)
	v_pk_mul_f16 v28, v28, v9
	v_pk_fma_f32 v[0:1], v[0:1], v[4:5], v[6:7]
	v_pk_mul_f16 v22, v22, v9
.LBB89_79:
	s_mov_b32 s2, exec_lo
	s_wait_loadcnt 0x0
	v_cmpx_gt_i32_e64 s22, v66
	s_cbranch_execz .LBB89_89
; %bb.80:
	s_load_b32 s0, s[0:1], 0xd4
	v_mov_b32_e32 v2, 1.0
	s_wait_kmcnt 0x0
	s_cmp_lg_u32 s0, 1
	s_cselect_b32 s3, -1, 0
	s_cmp_eq_u32 s0, 1
	s_cselect_b32 s1, -1, 0
	s_and_b32 vcc_lo, exec_lo, s3
	s_cbranch_vccnz .LBB89_82
; %bb.81:
	v_div_scale_f32 v2, null, v0, v0, 1.0
	s_delay_alu instid0(VALU_DEP_1) | instskip(SKIP_1) | instid1(TRANS32_DEP_1)
	v_rcp_f32_e32 v3, v2
	v_nop
	v_fma_f32 v4, -v2, v3, 1.0
	s_delay_alu instid0(VALU_DEP_1) | instskip(SKIP_1) | instid1(VALU_DEP_1)
	v_fmac_f32_e32 v3, v4, v3
	v_div_scale_f32 v4, vcc_lo, 1.0, v0, 1.0
	v_mul_f32_e32 v5, v4, v3
	s_delay_alu instid0(VALU_DEP_1) | instskip(NEXT) | instid1(VALU_DEP_1)
	v_fma_f32 v6, -v2, v5, v4
	v_fmac_f32_e32 v5, v6, v3
	s_delay_alu instid0(VALU_DEP_1) | instskip(NEXT) | instid1(VALU_DEP_1)
	v_fma_f32 v2, -v2, v5, v4
	v_div_fmas_f32 v2, v2, v3, v5
	s_delay_alu instid0(VALU_DEP_1)
	v_div_fixup_f32 v2, v2, v0, 1.0
.LBB89_82:
	s_mul_i32 s2, s28, s22
	v_dual_lshrrev_b32 v5, 16, v29 :: v_dual_lshrrev_b32 v9, 16, v23
	s_add_co_i32 s2, s2, s34
	s_delay_alu instid0(SALU_CYCLE_1)
	v_dual_mov_b32 v7, 0 :: v_dual_add_nc_u32 v3, s2, v65
	v_cvt_f32_f16_e32 v4, v29
	v_cvt_f32_f16_e32 v8, v23
	;; [unrolled: 1-line block ×4, first 2 shown]
	v_mad_u32 v3, v3, s23, s33
	v_cmp_eq_u32_e32 vcc_lo, 0, v40
	s_and_b32 s3, vcc_lo, s3
	s_delay_alu instid0(VALU_DEP_2) | instskip(NEXT) | instid1(VALU_DEP_1)
	v_mad_u32 v3, s0, v3, s20
	v_lshl_add_u32 v6, v3, 7, v79
	v_pk_mul_f32 v[4:5], v[2:3], v[4:5] op_sel_hi:[0,1]
	s_delay_alu instid0(VALU_DEP_2)
	v_lshl_add_u64 v[10:11], v[6:7], 2, s[16:17]
	v_pk_mul_f32 v[6:7], v[2:3], v[8:9] op_sel_hi:[0,1]
	global_store_b128 v[10:11], v[4:7], off
	s_wait_xcnt 0x0
	s_and_saveexec_b32 s4, s3
	s_cbranch_execz .LBB89_84
; %bb.83:
	v_dual_mov_b32 v4, v46 :: v_dual_mov_b32 v5, v0
	global_store_b64 v3, v[4:5], s[18:19] scale_offset
.LBB89_84:
	s_wait_xcnt 0x0
	s_or_b32 exec_lo, exec_lo, s4
	v_cmp_gt_i32_e32 vcc_lo, s22, v64
	s_and_b32 exec_lo, exec_lo, vcc_lo
	s_cbranch_execz .LBB89_89
; %bb.85:
	v_mov_b32_e32 v0, 1.0
	s_and_not1_b32 vcc_lo, exec_lo, s1
	s_cbranch_vccnz .LBB89_87
; %bb.86:
	v_div_scale_f32 v0, null, v1, v1, 1.0
	s_delay_alu instid0(VALU_DEP_1) | instskip(SKIP_1) | instid1(TRANS32_DEP_1)
	v_rcp_f32_e32 v2, v0
	v_nop
	v_fma_f32 v3, -v0, v2, 1.0
	s_delay_alu instid0(VALU_DEP_1) | instskip(SKIP_1) | instid1(VALU_DEP_1)
	v_fmac_f32_e32 v2, v3, v2
	v_div_scale_f32 v3, vcc_lo, 1.0, v1, 1.0
	v_mul_f32_e32 v4, v3, v2
	s_delay_alu instid0(VALU_DEP_1) | instskip(NEXT) | instid1(VALU_DEP_1)
	v_fma_f32 v5, -v0, v4, v3
	v_fmac_f32_e32 v4, v5, v2
	s_delay_alu instid0(VALU_DEP_1) | instskip(NEXT) | instid1(VALU_DEP_1)
	v_fma_f32 v0, -v0, v4, v3
	v_div_fmas_f32 v0, v0, v2, v4
	s_delay_alu instid0(VALU_DEP_1)
	v_div_fixup_f32 v0, v0, v1, 1.0
.LBB89_87:
	v_dual_add_nc_u32 v2, s2, v63 :: v_dual_lshrrev_b32 v3, 16, v28
	v_dual_mov_b32 v7, 0 :: v_dual_lshrrev_b32 v9, 16, v22
	v_cvt_f32_f16_e32 v4, v28
	s_delay_alu instid0(VALU_DEP_3) | instskip(SKIP_3) | instid1(VALU_DEP_2)
	v_mad_u32 v2, v2, s23, s33
	v_cvt_f32_f16_e32 v8, v22
	v_cvt_f32_f16_e32 v5, v3
	;; [unrolled: 1-line block ×3, first 2 shown]
	v_pk_mul_f32 v[4:5], v[0:1], v[4:5] op_sel_hi:[0,1]
	v_mad_u32 v2, s0, v2, s20
	s_delay_alu instid0(VALU_DEP_1) | instskip(NEXT) | instid1(VALU_DEP_1)
	v_lshl_add_u32 v6, v2, 7, v79
	v_lshl_add_u64 v[10:11], v[6:7], 2, s[16:17]
	v_pk_mul_f32 v[6:7], v[0:1], v[8:9] op_sel_hi:[0,1]
	global_store_b128 v[10:11], v[4:7], off
	s_wait_xcnt 0x0
	s_and_b32 exec_lo, exec_lo, s3
	s_cbranch_execz .LBB89_89
; %bb.88:
	v_mov_b32_e32 v0, v47
	global_store_b64 v2, v[0:1], s[18:19] scale_offset
.LBB89_89:
	s_sendmsg sendmsg(MSG_DEALLOC_VGPRS)
	s_endpgm
	.section	.rodata,"a",@progbits
	.p2align	6, 0x0
	.amdhsa_kernel _ZL15flash_attn_tileILi128ELi128ELi8ELi1ELb1EEvPKcS1_S1_S1_S1_PKiPfP15HIP_vector_typeIfLj2EEffffjfiS5_IjLj3EEiiiiiiiiiiiliiliiiiil
		.amdhsa_group_segment_fixed_size 12288
		.amdhsa_private_segment_fixed_size 32
		.amdhsa_kernarg_size 464
		.amdhsa_user_sgpr_count 2
		.amdhsa_user_sgpr_dispatch_ptr 0
		.amdhsa_user_sgpr_queue_ptr 0
		.amdhsa_user_sgpr_kernarg_segment_ptr 1
		.amdhsa_user_sgpr_dispatch_id 0
		.amdhsa_user_sgpr_kernarg_preload_length 0
		.amdhsa_user_sgpr_kernarg_preload_offset 0
		.amdhsa_user_sgpr_private_segment_size 0
		.amdhsa_wavefront_size32 1
		.amdhsa_uses_dynamic_stack 0
		.amdhsa_enable_private_segment 1
		.amdhsa_system_sgpr_workgroup_id_x 1
		.amdhsa_system_sgpr_workgroup_id_y 1
		.amdhsa_system_sgpr_workgroup_id_z 1
		.amdhsa_system_sgpr_workgroup_info 0
		.amdhsa_system_vgpr_workitem_id 1
		.amdhsa_next_free_vgpr 128
		.amdhsa_next_free_sgpr 48
		.amdhsa_named_barrier_count 0
		.amdhsa_reserve_vcc 1
		.amdhsa_float_round_mode_32 0
		.amdhsa_float_round_mode_16_64 0
		.amdhsa_float_denorm_mode_32 3
		.amdhsa_float_denorm_mode_16_64 3
		.amdhsa_fp16_overflow 0
		.amdhsa_memory_ordered 1
		.amdhsa_forward_progress 1
		.amdhsa_inst_pref_size 184
		.amdhsa_round_robin_scheduling 0
		.amdhsa_exception_fp_ieee_invalid_op 0
		.amdhsa_exception_fp_denorm_src 0
		.amdhsa_exception_fp_ieee_div_zero 0
		.amdhsa_exception_fp_ieee_overflow 0
		.amdhsa_exception_fp_ieee_underflow 0
		.amdhsa_exception_fp_ieee_inexact 0
		.amdhsa_exception_int_div_zero 0
	.end_amdhsa_kernel
	.section	.text._ZL15flash_attn_tileILi128ELi128ELi8ELi1ELb1EEvPKcS1_S1_S1_S1_PKiPfP15HIP_vector_typeIfLj2EEffffjfiS5_IjLj3EEiiiiiiiiiiiliiliiiiil,"axG",@progbits,_ZL15flash_attn_tileILi128ELi128ELi8ELi1ELb1EEvPKcS1_S1_S1_S1_PKiPfP15HIP_vector_typeIfLj2EEffffjfiS5_IjLj3EEiiiiiiiiiiiliiliiiiil,comdat
.Lfunc_end89:
	.size	_ZL15flash_attn_tileILi128ELi128ELi8ELi1ELb1EEvPKcS1_S1_S1_S1_PKiPfP15HIP_vector_typeIfLj2EEffffjfiS5_IjLj3EEiiiiiiiiiiiliiliiiiil, .Lfunc_end89-_ZL15flash_attn_tileILi128ELi128ELi8ELi1ELb1EEvPKcS1_S1_S1_S1_PKiPfP15HIP_vector_typeIfLj2EEffffjfiS5_IjLj3EEiiiiiiiiiiiliiliiiiil
                                        ; -- End function
	.set _ZL15flash_attn_tileILi128ELi128ELi8ELi1ELb1EEvPKcS1_S1_S1_S1_PKiPfP15HIP_vector_typeIfLj2EEffffjfiS5_IjLj3EEiiiiiiiiiiiliiliiiiil.num_vgpr, 128
	.set _ZL15flash_attn_tileILi128ELi128ELi8ELi1ELb1EEvPKcS1_S1_S1_S1_PKiPfP15HIP_vector_typeIfLj2EEffffjfiS5_IjLj3EEiiiiiiiiiiiliiliiiiil.num_agpr, 0
	.set _ZL15flash_attn_tileILi128ELi128ELi8ELi1ELb1EEvPKcS1_S1_S1_S1_PKiPfP15HIP_vector_typeIfLj2EEffffjfiS5_IjLj3EEiiiiiiiiiiiliiliiiiil.numbered_sgpr, 48
	.set _ZL15flash_attn_tileILi128ELi128ELi8ELi1ELb1EEvPKcS1_S1_S1_S1_PKiPfP15HIP_vector_typeIfLj2EEffffjfiS5_IjLj3EEiiiiiiiiiiiliiliiiiil.num_named_barrier, 0
	.set _ZL15flash_attn_tileILi128ELi128ELi8ELi1ELb1EEvPKcS1_S1_S1_S1_PKiPfP15HIP_vector_typeIfLj2EEffffjfiS5_IjLj3EEiiiiiiiiiiiliiliiiiil.private_seg_size, 32
	.set _ZL15flash_attn_tileILi128ELi128ELi8ELi1ELb1EEvPKcS1_S1_S1_S1_PKiPfP15HIP_vector_typeIfLj2EEffffjfiS5_IjLj3EEiiiiiiiiiiiliiliiiiil.uses_vcc, 1
	.set _ZL15flash_attn_tileILi128ELi128ELi8ELi1ELb1EEvPKcS1_S1_S1_S1_PKiPfP15HIP_vector_typeIfLj2EEffffjfiS5_IjLj3EEiiiiiiiiiiiliiliiiiil.uses_flat_scratch, 1
	.set _ZL15flash_attn_tileILi128ELi128ELi8ELi1ELb1EEvPKcS1_S1_S1_S1_PKiPfP15HIP_vector_typeIfLj2EEffffjfiS5_IjLj3EEiiiiiiiiiiiliiliiiiil.has_dyn_sized_stack, 0
	.set _ZL15flash_attn_tileILi128ELi128ELi8ELi1ELb1EEvPKcS1_S1_S1_S1_PKiPfP15HIP_vector_typeIfLj2EEffffjfiS5_IjLj3EEiiiiiiiiiiiliiliiiiil.has_recursion, 0
	.set _ZL15flash_attn_tileILi128ELi128ELi8ELi1ELb1EEvPKcS1_S1_S1_S1_PKiPfP15HIP_vector_typeIfLj2EEffffjfiS5_IjLj3EEiiiiiiiiiiiliiliiiiil.has_indirect_call, 0
	.section	.AMDGPU.csdata,"",@progbits
; Kernel info:
; codeLenInByte = 23460
; TotalNumSgprs: 50
; NumVgprs: 128
; ScratchSize: 32
; MemoryBound: 0
; FloatMode: 240
; IeeeMode: 1
; LDSByteSize: 12288 bytes/workgroup (compile time only)
; SGPRBlocks: 0
; VGPRBlocks: 7
; NumSGPRsForWavesPerEU: 50
; NumVGPRsForWavesPerEU: 128
; NamedBarCnt: 0
; Occupancy: 8
; WaveLimiterHint : 1
; COMPUTE_PGM_RSRC2:SCRATCH_EN: 1
; COMPUTE_PGM_RSRC2:USER_SGPR: 2
; COMPUTE_PGM_RSRC2:TRAP_HANDLER: 0
; COMPUTE_PGM_RSRC2:TGID_X_EN: 1
; COMPUTE_PGM_RSRC2:TGID_Y_EN: 1
; COMPUTE_PGM_RSRC2:TGID_Z_EN: 1
; COMPUTE_PGM_RSRC2:TIDIG_COMP_CNT: 1
	.section	.text._ZL15flash_attn_tileILi128ELi128ELi4ELi1ELb1EEvPKcS1_S1_S1_S1_PKiPfP15HIP_vector_typeIfLj2EEffffjfiS5_IjLj3EEiiiiiiiiiiiliiliiiiil,"axG",@progbits,_ZL15flash_attn_tileILi128ELi128ELi4ELi1ELb1EEvPKcS1_S1_S1_S1_PKiPfP15HIP_vector_typeIfLj2EEffffjfiS5_IjLj3EEiiiiiiiiiiiliiliiiiil,comdat
	.globl	_ZL15flash_attn_tileILi128ELi128ELi4ELi1ELb1EEvPKcS1_S1_S1_S1_PKiPfP15HIP_vector_typeIfLj2EEffffjfiS5_IjLj3EEiiiiiiiiiiiliiliiiiil ; -- Begin function _ZL15flash_attn_tileILi128ELi128ELi4ELi1ELb1EEvPKcS1_S1_S1_S1_PKiPfP15HIP_vector_typeIfLj2EEffffjfiS5_IjLj3EEiiiiiiiiiiiliiliiiiil
	.p2align	8
	.type	_ZL15flash_attn_tileILi128ELi128ELi4ELi1ELb1EEvPKcS1_S1_S1_S1_PKiPfP15HIP_vector_typeIfLj2EEffffjfiS5_IjLj3EEiiiiiiiiiiiliiliiiiil,@function
_ZL15flash_attn_tileILi128ELi128ELi4ELi1ELb1EEvPKcS1_S1_S1_S1_PKiPfP15HIP_vector_typeIfLj2EEffffjfiS5_IjLj3EEiiiiiiiiiiiliiliiiiil: ; @_ZL15flash_attn_tileILi128ELi128ELi4ELi1ELb1EEvPKcS1_S1_S1_S1_PKiPfP15HIP_vector_typeIfLj2EEffffjfiS5_IjLj3EEiiiiiiiiiiiliiliiiiil
; %bb.0:
	s_clause 0x1
	s_load_b128 s[20:23], s[0:1], 0x5c
	s_load_b64 s[2:3], s[0:1], 0x80
	s_bfe_u32 s6, ttmp6, 0x40014
	s_lshr_b32 s5, ttmp7, 16
	s_add_co_i32 s6, s6, 1
	s_bfe_u32 s7, ttmp6, 0x40008
	s_mul_i32 s6, s5, s6
	s_getreg_b32 s42, hwreg(HW_REG_IB_STS2, 6, 4)
	s_add_co_i32 s7, s7, s6
	s_load_b64 s[38:39], s[0:1], 0xb8
	s_mov_b32 s37, 0
	s_mov_b64 s[30:31], 0
	s_wait_kmcnt 0x0
	s_cvt_f32_u32 s4, s23
	s_sub_co_i32 s8, 0, s23
	s_delay_alu instid0(SALU_CYCLE_2) | instskip(SKIP_1) | instid1(TRANS32_DEP_1)
	v_rcp_iflag_f32_e32 v1, s4
	v_nop
	v_readfirstlane_b32 s4, v1
	s_mul_f32 s4, s4, 0x4f7ffffe
	s_delay_alu instid0(SALU_CYCLE_3) | instskip(NEXT) | instid1(SALU_CYCLE_3)
	s_cvt_u32_f32 s4, s4
	s_mul_i32 s8, s8, s4
	s_delay_alu instid0(SALU_CYCLE_1) | instskip(NEXT) | instid1(SALU_CYCLE_1)
	s_mul_hi_u32 s8, s4, s8
	s_add_co_i32 s4, s4, s8
	s_cmp_eq_u32 s42, 0
	s_cselect_b32 s5, s5, s7
	s_delay_alu instid0(SALU_CYCLE_1) | instskip(NEXT) | instid1(SALU_CYCLE_1)
	s_mul_hi_u32 s4, s5, s4
	s_mul_i32 s6, s4, s23
	s_add_co_i32 s7, s4, 1
	s_sub_co_i32 s6, s5, s6
	s_delay_alu instid0(SALU_CYCLE_1)
	s_sub_co_i32 s8, s6, s23
	s_cmp_ge_u32 s6, s23
	s_cselect_b32 s4, s7, s4
	s_cselect_b32 s6, s8, s6
	s_add_co_i32 s7, s4, 1
	s_cmp_ge_u32 s6, s23
	s_cselect_b32 s28, s7, s4
	s_abs_i32 s4, s3
	s_mul_i32 s8, s28, s23
	s_cvt_f32_u32 s6, s4
	s_sub_co_i32 s7, 0, s4
	s_abs_i32 s9, s23
	s_sub_co_i32 s33, s5, s8
	v_rcp_iflag_f32_e32 v1, s6
	s_xor_b32 s3, s23, s3
	s_delay_alu instid0(SALU_CYCLE_1) | instskip(SKIP_1) | instid1(TRANS32_DEP_1)
	s_ashr_i32 s3, s3, 31
	v_nop
	v_readfirstlane_b32 s6, v1
	s_mul_f32 s6, s6, 0x4f7ffffe
	s_delay_alu instid0(SALU_CYCLE_3) | instskip(NEXT) | instid1(SALU_CYCLE_3)
	s_cvt_u32_f32 s6, s6
	s_mul_i32 s7, s7, s6
	s_delay_alu instid0(SALU_CYCLE_1) | instskip(NEXT) | instid1(SALU_CYCLE_1)
	s_mul_hi_u32 s7, s6, s7
	s_add_co_i32 s6, s6, s7
	s_delay_alu instid0(SALU_CYCLE_1) | instskip(NEXT) | instid1(SALU_CYCLE_1)
	s_mul_hi_u32 s5, s9, s6
	s_mul_i32 s6, s5, s4
	s_add_co_i32 s7, s5, 1
	s_sub_co_i32 s6, s9, s6
	s_delay_alu instid0(SALU_CYCLE_1)
	s_sub_co_i32 s8, s6, s4
	s_cmp_ge_u32 s6, s4
	s_cselect_b32 s5, s7, s5
	s_cselect_b32 s6, s8, s6
	s_add_co_i32 s7, s5, 1
	s_cmp_ge_u32 s6, s4
	s_cselect_b32 s4, s7, s5
	s_abs_i32 s36, s33
	s_xor_b32 s4, s4, s3
	s_delay_alu instid0(SALU_CYCLE_1) | instskip(NEXT) | instid1(SALU_CYCLE_1)
	s_sub_co_i32 s29, s4, s3
	s_abs_i32 s3, s29
	s_delay_alu instid0(SALU_CYCLE_1) | instskip(SKIP_1) | instid1(SALU_CYCLE_2)
	s_cvt_f32_u32 s4, s3
	s_sub_co_i32 s25, 0, s3
	v_rcp_iflag_f32_e32 v1, s4
	s_load_b512 s[4:19], s[0:1], 0x0
	v_nop
	s_delay_alu instid0(TRANS32_DEP_1) | instskip(SKIP_1) | instid1(SALU_CYCLE_3)
	v_readfirstlane_b32 s24, v1
	s_mul_f32 s24, s24, 0x4f7ffffe
	s_cvt_u32_f32 s24, s24
	s_delay_alu instid0(SALU_CYCLE_3) | instskip(NEXT) | instid1(SALU_CYCLE_1)
	s_mul_i32 s25, s25, s24
	s_mul_hi_u32 s25, s24, s25
	s_delay_alu instid0(SALU_CYCLE_1)
	s_add_co_i32 s40, s24, s25
	s_wait_kmcnt 0x0
	s_cmp_eq_u64 s[10:11], 0
	s_cbranch_scc1 .LBB90_2
; %bb.1:
	s_abs_i32 s26, s38
	s_abs_i32 s27, s28
	s_cvt_f32_u32 s24, s26
	s_sub_co_i32 s25, 0, s26
	s_delay_alu instid0(SALU_CYCLE_2) | instskip(SKIP_1) | instid1(TRANS32_DEP_1)
	v_rcp_iflag_f32_e32 v1, s24
	v_nop
	v_readfirstlane_b32 s24, v1
	s_mul_f32 s24, s24, 0x4f7ffffe
	s_delay_alu instid0(SALU_CYCLE_3) | instskip(NEXT) | instid1(SALU_CYCLE_3)
	s_cvt_u32_f32 s24, s24
	s_mul_i32 s25, s25, s24
	s_delay_alu instid0(SALU_CYCLE_1) | instskip(NEXT) | instid1(SALU_CYCLE_1)
	s_mul_hi_u32 s25, s24, s25
	s_add_co_i32 s24, s24, s25
	s_delay_alu instid0(SALU_CYCLE_1) | instskip(SKIP_2) | instid1(SALU_CYCLE_1)
	s_mul_hi_u32 s30, s27, s24
	s_load_b64 s[24:25], s[0:1], 0xc8
	s_mul_i32 s30, s30, s26
	s_sub_co_i32 s27, s27, s30
	s_ashr_i32 s30, s28, 31
	s_sub_co_i32 s31, s27, s26
	s_cmp_ge_u32 s27, s26
	s_cselect_b32 s27, s31, s27
	s_delay_alu instid0(SALU_CYCLE_1) | instskip(SKIP_2) | instid1(SALU_CYCLE_1)
	s_sub_co_i32 s31, s27, s26
	s_cmp_ge_u32 s27, s26
	s_cselect_b32 s26, s31, s27
	s_xor_b32 s26, s26, s30
	s_delay_alu instid0(SALU_CYCLE_1) | instskip(NEXT) | instid1(SALU_CYCLE_1)
	s_sub_co_i32 s26, s26, s30
	s_ashr_i32 s27, s26, 31
	s_wait_kmcnt 0x0
	s_mul_u64 s[24:25], s[24:25], s[26:27]
	s_delay_alu instid0(SALU_CYCLE_1)
	s_add_nc_u64 s[30:31], s[10:11], s[24:25]
.LBB90_2:
	s_clause 0x1
	s_load_b128 s[24:27], s[0:1], 0x40
	s_load_b64 s[34:35], s[0:1], 0x50
	v_mov_b32_e32 v31, 1.0
	s_mov_b32 s41, s37
	s_wait_kmcnt 0x0
	s_cmp_le_f32 s25, 0
	s_cbranch_scc1 .LBB90_4
; %bb.3:
	v_sub_co_u32 v1, s10, s33, s34
	s_and_b32 s34, s10, exec_lo
	s_cselect_b32 s26, s26, s27
	s_add_co_i32 s27, s33, 1
	v_readfirstlane_b32 s11, v1
	s_lshl_b32 s11, s11, 1
	s_delay_alu instid0(SALU_CYCLE_1) | instskip(SKIP_4) | instid1(SALU_CYCLE_3)
	s_or_b32 s11, s11, 1
	s_and_b32 s10, s10, exec_lo
	s_cselect_b32 s10, s27, s11
	s_cmp_neq_f32 s26, 1.0
	s_cvt_f32_i32 s10, s10
	s_cselect_b32 s11, s10, 1.0
	s_delay_alu instid0(SALU_CYCLE_1) | instskip(SKIP_1) | instid1(SALU_CYCLE_1)
	s_cmp_neq_f32 s11, 0
	s_cselect_b32 s10, s26, 1.0
	v_cvt_f64_f32_e64 v[2:3], |s10|
	s_delay_alu instid0(VALU_DEP_1) | instskip(SKIP_1) | instid1(VALU_DEP_1)
	v_frexp_exp_i32_f64_e32 v1, v[2:3]
	v_frexp_mant_f32_e64 v2, |s10|
	v_readfirstlane_b32 s26, v2
	s_cmp_lt_f32 s26, 0x3f2aaaab
	s_cselect_b32 vcc_lo, -1, 0
	s_delay_alu instid0(SALU_CYCLE_1) | instskip(SKIP_1) | instid1(SALU_CYCLE_1)
	s_and_b32 s27, vcc_lo, exec_lo
	s_cselect_b32 s27, 2.0, 1.0
	s_mul_f32 s26, s26, s27
	s_delay_alu instid0(SALU_CYCLE_3) | instskip(SKIP_1) | instid1(SALU_CYCLE_2)
	s_add_f32 s27, s26, 1.0
	s_add_f32 s38, s26, -1.0
	v_s_rcp_f32 s34, s27
	s_add_f32 s45, s27, -1.0
	v_subrev_co_ci_u32_e64 v1, null, 0, v1, vcc_lo
	s_delay_alu instid0(SALU_CYCLE_2) | instskip(NEXT) | instid1(TRANS32_DEP_1)
	s_sub_f32 s26, s26, s45
	s_mul_f32 s43, s38, s34
	v_cvt_f32_i32_e32 v1, v1
	s_delay_alu instid0(SALU_CYCLE_2) | instskip(NEXT) | instid1(SALU_CYCLE_3)
	s_mul_f32 s44, s27, s43
	v_dual_mov_b32 v3, s38 :: v_dual_mov_b32 v4, s44
	s_xor_b32 s46, s44, 0x80000000
	s_delay_alu instid0(SALU_CYCLE_1) | instskip(NEXT) | instid1(SALU_CYCLE_3)
	s_fmac_f32 s46, s43, s27
	s_fmac_f32 s46, s43, s26
	s_delay_alu instid0(SALU_CYCLE_3) | instskip(NEXT) | instid1(SALU_CYCLE_3)
	s_add_f32 s26, s44, s46
	v_dual_mov_b32 v6, s46 :: v_dual_mov_b32 v7, s26
	s_sub_f32 s27, s38, s26
	s_delay_alu instid0(SALU_CYCLE_3) | instskip(NEXT) | instid1(VALU_DEP_1)
	v_dual_mov_b32 v2, s26 :: v_dual_mov_b32 v5, s27
	v_pk_add_f32 v[2:3], v[2:3], v[4:5] neg_lo:[0,1] neg_hi:[0,1]
	s_delay_alu instid0(VALU_DEP_1) | instskip(NEXT) | instid1(VALU_DEP_1)
	v_pk_add_f32 v[2:3], v[2:3], v[6:7] neg_lo:[0,1] neg_hi:[0,1]
	v_readfirstlane_b32 s26, v3
	s_delay_alu instid0(VALU_DEP_2) | instskip(SKIP_1) | instid1(SALU_CYCLE_3)
	v_readfirstlane_b32 s38, v2
	s_add_f32 s26, s38, s26
	s_add_f32 s26, s27, s26
	s_delay_alu instid0(SALU_CYCLE_3) | instskip(NEXT) | instid1(SALU_CYCLE_3)
	s_mul_f32 s27, s34, s26
	s_add_f32 s26, s43, s27
	s_delay_alu instid0(SALU_CYCLE_3) | instskip(SKIP_1) | instid1(SALU_CYCLE_2)
	s_sub_f32 s34, s26, s43
	s_mul_f32 s38, s26, s26
	s_sub_f32 s34, s27, s34
	s_delay_alu instid0(SALU_CYCLE_2) | instskip(NEXT) | instid1(SALU_CYCLE_1)
	s_xor_b32 s27, s38, 0x80000000
	s_fmac_f32 s27, s26, s26
	s_delay_alu instid0(SALU_CYCLE_1) | instskip(NEXT) | instid1(SALU_CYCLE_3)
	s_add_f32 s43, s34, s34
	s_fmac_f32 s27, s26, s43
	s_mov_b32 s43, 0x3e76c4e1
	s_delay_alu instid0(SALU_CYCLE_2) | instskip(NEXT) | instid1(SALU_CYCLE_3)
	s_add_f32 s44, s38, s27
	s_fmaak_f32 s43, s44, s43, 0x3e91f4c4
	s_sub_f32 s38, s44, s38
	s_delay_alu instid0(SALU_CYCLE_2) | instskip(NEXT) | instid1(SALU_CYCLE_2)
	s_fmaak_f32 s43, s44, s43, 0x3ecccdef
	s_sub_f32 s38, s27, s38
	s_delay_alu instid0(SALU_CYCLE_2) | instskip(NEXT) | instid1(SALU_CYCLE_3)
	s_mul_f32 s45, s44, s43
	s_xor_b32 s46, s45, 0x80000000
	s_delay_alu instid0(SALU_CYCLE_1) | instskip(NEXT) | instid1(SALU_CYCLE_3)
	s_fmac_f32 s46, s44, s43
	s_fmac_f32 s46, s38, s43
	s_delay_alu instid0(SALU_CYCLE_3) | instskip(NEXT) | instid1(SALU_CYCLE_3)
	s_add_f32 s43, s45, s46
	s_sub_f32 s27, s43, s45
	s_add_f32 s47, s43, 0x3f2aaaaa
	s_delay_alu instid0(SALU_CYCLE_2) | instskip(NEXT) | instid1(SALU_CYCLE_2)
	s_sub_f32 s27, s46, s27
	s_add_f32 s45, s47, 0xbf2aaaaa
	s_delay_alu instid0(SALU_CYCLE_2) | instskip(NEXT) | instid1(SALU_CYCLE_2)
	s_add_f32 s27, s27, 0x31739010
	s_sub_f32 s45, s43, s45
	s_delay_alu instid0(SALU_CYCLE_2) | instskip(NEXT) | instid1(SALU_CYCLE_2)
	v_mov_b64_e32 v[2:3], s[26:27]
	v_mov_b64_e32 v[4:5], s[44:45]
	s_delay_alu instid0(VALU_DEP_1) | instskip(SKIP_2) | instid1(VALU_DEP_3)
	v_pk_mul_f32 v[6:7], v[2:3], v[4:5]
	v_pk_add_f32 v[2:3], v[2:3], v[4:5]
	v_mov_b32_e32 v9, s47
	v_xor_b32_e32 v8, 0x80000000, v6
	s_delay_alu instid0(VALU_DEP_3) | instskip(NEXT) | instid1(VALU_DEP_2)
	v_mov_b32_e32 v7, v3
	v_fmac_f32_e64 v8, s44, s26
	s_delay_alu instid0(VALU_DEP_1) | instskip(NEXT) | instid1(VALU_DEP_1)
	v_fmac_f32_e64 v8, s44, s34
	v_fmac_f32_e64 v8, s38, s26
	s_delay_alu instid0(VALU_DEP_1) | instskip(NEXT) | instid1(VALU_DEP_1)
	v_pk_add_f32 v[4:5], v[6:7], v[8:9]
	v_dual_mov_b32 v2, v5 :: v_dual_sub_f32 v7, s47, v5
	v_mul_f32_e32 v12, 0x3f317218, v1
	s_delay_alu instid0(VALU_DEP_2) | instskip(NEXT) | instid1(VALU_DEP_3)
	v_pk_mul_f32 v[10:11], v[4:5], v[2:3]
	v_add_f32_e32 v3, v3, v7
	s_delay_alu instid0(VALU_DEP_3) | instskip(NEXT) | instid1(VALU_DEP_3)
	v_xor_b32_e32 v7, 0x80000000, v12
	v_xor_b32_e32 v2, 0x80000000, v10
	s_delay_alu instid0(VALU_DEP_2) | instskip(NEXT) | instid1(VALU_DEP_2)
	v_dual_sub_f32 v6, v4, v6 :: v_dual_fmac_f32 v7, 0x3f317218, v1
	v_fmac_f32_e32 v2, v4, v5
	s_delay_alu instid0(VALU_DEP_2) | instskip(NEXT) | instid1(VALU_DEP_2)
	v_sub_f32_e32 v6, v8, v6
	v_fmac_f32_e32 v2, v4, v3
	s_delay_alu instid0(VALU_DEP_1) | instskip(SKIP_3) | instid1(VALU_DEP_2)
	v_fmac_f32_e32 v2, v6, v5
	v_fmamk_f32 v4, v1, 0xb102e308, v7
	v_ldexp_f32 v5, s26, 1
	v_ldexp_f32 v1, s34, 1
	v_dual_add_f32 v13, v10, v2 :: v_dual_mov_b32 v11, v5
	s_delay_alu instid0(VALU_DEP_1) | instskip(SKIP_1) | instid1(VALU_DEP_2)
	v_pk_add_f32 v[6:7], v[12:13], v[4:5]
	v_dual_mov_b32 v8, v13 :: v_dual_mov_b32 v3, v13
	v_dual_mov_b32 v9, v7 :: v_dual_mov_b32 v5, v6
	v_mov_b32_e32 v14, v7
	s_delay_alu instid0(VALU_DEP_2) | instskip(NEXT) | instid1(VALU_DEP_1)
	v_pk_add_f32 v[8:9], v[8:9], v[10:11] neg_lo:[0,1] neg_hi:[0,1]
	v_pk_add_f32 v[2:3], v[2:3], v[8:9] neg_lo:[0,1] neg_hi:[0,1]
	s_delay_alu instid0(VALU_DEP_1) | instskip(NEXT) | instid1(VALU_DEP_1)
	v_add_f32_e32 v1, v1, v2
	v_add_f32_e32 v13, v1, v3
	s_delay_alu instid0(VALU_DEP_1) | instskip(SKIP_1) | instid1(VALU_DEP_2)
	v_pk_add_f32 v[2:3], v[6:7], v[12:13]
	v_pk_add_f32 v[8:9], v[6:7], v[12:13] neg_lo:[0,1] neg_hi:[0,1]
	v_mov_b32_e32 v9, v3
	s_delay_alu instid0(VALU_DEP_1) | instskip(SKIP_2) | instid1(VALU_DEP_3)
	v_pk_add_f32 v[10:11], v[4:5], v[8:9]
	v_pk_add_f32 v[4:5], v[4:5], v[8:9] neg_lo:[0,1] neg_hi:[0,1]
	v_dual_mov_b32 v16, v3 :: v_dual_mov_b32 v5, v6
	v_dual_mov_b32 v12, v11 :: v_dual_mov_b32 v17, v11
	s_delay_alu instid0(VALU_DEP_3) | instskip(NEXT) | instid1(VALU_DEP_2)
	v_readfirstlane_b32 s26, v4
	v_pk_add_f32 v[8:9], v[12:13], v[6:7] neg_lo:[0,1] neg_hi:[0,1]
	s_delay_alu instid0(VALU_DEP_2) | instskip(NEXT) | instid1(VALU_DEP_2)
	v_dual_mov_b32 v4, v13 :: v_dual_mov_b32 v10, s26
	v_dual_mov_b32 v15, v8 :: v_dual_mov_b32 v1, v8
	s_delay_alu instid0(VALU_DEP_1) | instskip(NEXT) | instid1(VALU_DEP_2)
	v_pk_add_f32 v[6:7], v[16:17], v[14:15] neg_lo:[0,1] neg_hi:[0,1]
	v_pk_add_f32 v[2:3], v[2:3], v[0:1] neg_lo:[0,1] neg_hi:[0,1]
	v_mov_b32_e32 v2, s26
	s_delay_alu instid0(VALU_DEP_3) | instskip(NEXT) | instid1(VALU_DEP_1)
	v_pk_add_f32 v[4:5], v[4:5], v[6:7] neg_lo:[0,1] neg_hi:[0,1]
	v_pk_add_f32 v[2:3], v[2:3], v[4:5]
	s_delay_alu instid0(VALU_DEP_1) | instskip(NEXT) | instid1(VALU_DEP_2)
	v_readfirstlane_b32 s27, v2
	v_mov_b32_e32 v6, v3
	s_delay_alu instid0(VALU_DEP_1) | instskip(NEXT) | instid1(VALU_DEP_3)
	v_pk_add_f32 v[6:7], v[2:3], v[6:7]
	v_mov_b32_e32 v2, s27
	s_delay_alu instid0(VALU_DEP_2) | instskip(SKIP_1) | instid1(VALU_DEP_2)
	v_pk_add_f32 v[8:9], v[12:13], v[6:7]
	v_mov_b32_e32 v5, v6
	v_readfirstlane_b32 s34, v8
	s_delay_alu instid0(VALU_DEP_1) | instskip(NEXT) | instid1(VALU_DEP_1)
	v_mov_b32_e32 v3, s34
	v_pk_add_f32 v[2:3], v[2:3], v[10:11] neg_lo:[0,1] neg_hi:[0,1]
	s_delay_alu instid0(VALU_DEP_1) | instskip(NEXT) | instid1(VALU_DEP_2)
	v_readfirstlane_b32 s38, v2
	v_pk_add_f32 v[2:3], v[4:5], v[2:3] neg_lo:[0,1] neg_hi:[0,1]
	s_sub_f32 s27, s27, s38
	s_delay_alu instid0(VALU_DEP_1) | instskip(NEXT) | instid1(SALU_CYCLE_2)
	v_readfirstlane_b32 s38, v2
	s_sub_f32 s26, s26, s27
	v_readfirstlane_b32 s27, v3
	s_delay_alu instid0(SALU_CYCLE_2) | instskip(NEXT) | instid1(SALU_CYCLE_3)
	s_add_f32 s26, s38, s26
	s_add_f32 s26, s26, s27
	s_delay_alu instid0(SALU_CYCLE_3) | instskip(NEXT) | instid1(SALU_CYCLE_3)
	s_add_f32 s27, s34, s26
	s_mul_f32 s38, s11, s27
	s_sub_f32 s34, s27, s34
	s_delay_alu instid0(SALU_CYCLE_2) | instskip(NEXT) | instid1(SALU_CYCLE_2)
	s_xor_b32 s43, s38, 0x80000000
	s_sub_f32 s26, s26, s34
	s_fmac_f32 s43, s11, s27
	s_delay_alu instid0(SALU_CYCLE_3) | instskip(SKIP_1) | instid1(SALU_CYCLE_2)
	s_fmac_f32 s43, s11, s26
	v_cmp_class_f32_e64 s26, s38, 0x204
	s_add_f32 s27, s38, s43
	s_and_b32 s26, s26, exec_lo
	s_delay_alu instid0(SALU_CYCLE_2) | instskip(SKIP_1) | instid1(SALU_CYCLE_1)
	s_sub_f32 s26, s27, s38
	s_cselect_b32 s27, s38, s27
	s_and_b32 s34, s27, 0x7fffffff
	s_delay_alu instid0(SALU_CYCLE_1) | instskip(SKIP_1) | instid1(SALU_CYCLE_2)
	s_sub_f32 s26, s43, s26
	s_cmp_neq_f32 s34, 0x7f800000
	s_cselect_b32 s26, s26, 0
	s_cmp_eq_f32 s27, 0x42b17218
	s_cselect_b32 s34, 0x37000000, 0
	s_delay_alu instid0(SALU_CYCLE_1) | instskip(SKIP_1) | instid1(SALU_CYCLE_2)
	s_sub_f32 s27, s27, s34
	s_add_f32 s26, s34, s26
	s_mul_f32 s38, s27, 0x3fb8aa3b
	s_delay_alu instid0(SALU_CYCLE_3) | instskip(SKIP_3) | instid1(SALU_CYCLE_1)
	s_xor_b32 s43, s38, 0x80000000
	s_rndne_f32 s44, s38
	s_fmamk_f32 s43, s27, 0x3fb8aa3b, s43
	s_cmp_nlt_f32 s27, 0xc2ce8ed0
	s_sub_f32 s38, s38, s44
	s_delay_alu instid0(SALU_CYCLE_1)
	s_fmamk_f32 s43, s27, 0x32a5705f, s43
	s_cselect_b32 vcc_lo, -1, 0
	s_cmp_ngt_f32 s27, 0x42b17218
	s_trunc_f32 s27, s11
	s_add_f32 s38, s38, s43
	s_cvt_i32_f32 s43, s44
	s_delay_alu instid0(SALU_CYCLE_2)
	v_s_exp_f32 s38, s38
	v_nop
	s_delay_alu instid0(TRANS32_DEP_1) | instid1(SALU_CYCLE_1)
	v_ldexp_f32 v1, s38, s43
	s_mul_f32 s38, s11, 0.5
	s_delay_alu instid0(VALU_DEP_1) | instskip(SKIP_3) | instid1(VALU_DEP_1)
	v_cndmask_b32_e32 v1, 0, v1, vcc_lo
	s_cselect_b32 vcc_lo, -1, 0
	s_cmp_eq_f32 s27, s11
	s_trunc_f32 s43, s38
	v_cndmask_b32_e32 v1, 0x7f800000, v1, vcc_lo
	s_cselect_b32 s44, -1, 0
	s_delay_alu instid0(SALU_CYCLE_1) | instskip(NEXT) | instid1(VALU_DEP_1)
	s_cmp_neq_f32 s43, s38
	v_fma_f32 v2, s26, v1, v1
	v_cmp_class_f32_e64 vcc_lo, v1, 0x204
	s_cselect_b32 s34, -1, 0
	s_delay_alu instid0(SALU_CYCLE_1)
	s_and_b32 s26, s44, s34
	v_cndmask_b32_e32 v1, v2, v1, vcc_lo
	s_and_b32 s34, s26, exec_lo
	s_cselect_b32 s34, s10, 1.0
	s_cmp_eq_f32 s27, s11
	v_cmp_class_f32_e64 s27, s10, 0x204
	v_bfi_b32 v1, 0x7fffffff, v1, s34
	s_cselect_b32 vcc_lo, -1, 0
	s_cmp_lt_f32 s10, 0
	s_delay_alu instid0(VALU_DEP_1) | instskip(SKIP_2) | instid1(VALU_DEP_1)
	v_cndmask_b32_e32 v2, 0x7fc00000, v1, vcc_lo
	s_cselect_b32 vcc_lo, -1, 0
	s_cmp_eq_f32 s10, 0
	v_cndmask_b32_e32 v1, v1, v2, vcc_lo
	s_cselect_b32 s34, -1, 0
	s_delay_alu instid0(SALU_CYCLE_1) | instskip(SKIP_2) | instid1(SALU_CYCLE_1)
	s_or_b32 vcc_lo, s34, s27
	s_cmp_lt_f32 s11, 0
	s_cselect_b32 s11, -1, 0
	s_xor_b32 s11, s11, s34
	s_delay_alu instid0(SALU_CYCLE_1)
	s_and_b32 s11, s11, exec_lo
	s_cselect_b32 s11, 0, 0x7f800000
	s_and_b32 s26, s26, exec_lo
	s_cselect_b32 s26, s10, 0
	s_cmp_o_f32 s10, s10
	v_mov_b32_e32 v2, s26
	s_delay_alu instid0(VALU_DEP_1) | instskip(NEXT) | instid1(VALU_DEP_1)
	v_bfi_b32 v2, 0x7fffffff, s11, v2
	v_cndmask_b32_e32 v1, v1, v2, vcc_lo
	s_cselect_b32 vcc_lo, -1, 0
	s_delay_alu instid0(VALU_DEP_1)
	v_cndmask_b32_e32 v31, 0x7fc00000, v1, vcc_lo
.LBB90_4:
	s_bfe_u32 s11, ttmp6, 0x4000c
	s_and_b32 s26, ttmp6, 15
	s_add_co_i32 s11, s11, 1
	s_ashr_i32 s10, s33, 31
	s_mul_i32 s27, ttmp9, s11
	s_ashr_i32 s11, s29, 31
	s_add_co_i32 s26, s26, s27
	v_bfe_u32 v29, v0, 10, 10
	s_cmp_eq_u32 s42, 0
	s_load_b96 s[44:46], s[0:1], 0x70
	s_cselect_b32 s26, ttmp9, s26
	v_and_b32_e32 v84, 0x3ff, v0
	v_lshl_add_u32 v100, s26, 2, v29
	v_lshl_add_u32 v55, v29, 8, 0x2400
	s_delay_alu instid0(VALU_DEP_3) | instskip(NEXT) | instid1(VALU_DEP_3)
	v_dual_mov_b32 v87, 0 :: v_dual_lshlrev_b32 v0, 4, v84
	v_mul_hi_u32 v1, s20, v100
	s_delay_alu instid0(VALU_DEP_1) | instskip(SKIP_3) | instid1(SALU_CYCLE_1)
	v_dual_lshlrev_b32 v102, 3, v84 :: v_dual_add_nc_u32 v1, v100, v1
	s_wait_kmcnt 0x0
	s_mul_i32 s20, s33, s45
	s_ashr_i32 s45, s44, 31
	s_lshr_b64 s[44:45], s[44:45], 2
	v_lshrrev_b32_e32 v1, s21, v1
	s_ashr_i32 s21, s20, 31
	s_delay_alu instid0(VALU_DEP_1) | instskip(NEXT) | instid1(VALU_DEP_1)
	v_mul_lo_u32 v1, v1, s22
	v_dual_mov_b32 v1, v87 :: v_dual_sub_nc_u32 v86, v100, v1
	s_delay_alu instid0(VALU_DEP_1) | instskip(SKIP_1) | instid1(SALU_CYCLE_1)
	v_mul_u64_e32 v[2:3], s[44:45], v[86:87]
	s_mul_i32 s44, s28, s46
	s_ashr_i32 s45, s44, 31
	s_cmp_eq_u64 s[14:15], 0
	s_add_nc_u64 s[4:5], s[4:5], s[44:45]
	s_delay_alu instid0(SALU_CYCLE_1)
	s_add_nc_u64 s[4:5], s[4:5], s[20:21]
	s_delay_alu instid0(VALU_DEP_1) | instid1(SALU_CYCLE_1)
	v_lshl_add_u64 v[2:3], v[2:3], 2, s[4:5]
	s_mul_u64 s[4:5], s[36:37], s[40:41]
	s_delay_alu instid0(VALU_DEP_1) | instskip(SKIP_4) | instid1(VALU_DEP_1)
	v_add_nc_u64_e32 v[0:1], v[2:3], v[0:1]
	global_load_b128 v[0:3], v[0:1], off
	s_wait_loadcnt 0x0
	v_fma_mixlo_f16 v4, s24, v0, 0
	v_mov_b32_e32 v0, v3
	v_pk_mul_f32 v[0:1], s[24:25], v[0:1] op_sel_hi:[0,1]
	s_delay_alu instid0(VALU_DEP_1) | instskip(SKIP_2) | instid1(VALU_DEP_3)
	v_cvt_pk_f16_f32 v0, v0, v1
	v_fma_mixlo_f16 v1, s24, v2, 0
	v_and_b32_e32 v2, 0xffff, v4
	v_and_b32_e32 v3, 0xffff0000, v0
	s_delay_alu instid0(VALU_DEP_3) | instskip(NEXT) | instid1(VALU_DEP_2)
	v_and_b32_e32 v1, 0xffff, v1
	v_dual_lshlrev_b32 v0, 16, v0 :: v_dual_bitop2_b32 v2, v3, v2 bitop3:0x54
	v_add_nc_u32_e32 v3, v55, v102
	s_delay_alu instid0(VALU_DEP_2) | instskip(NEXT) | instid1(VALU_DEP_3)
	v_or3_b32 v1, v0, v1, 0
	v_or3_b32 v0, 0, 0, v2
	ds_store_b64 v3, v[0:1]
	s_wait_dscnt 0x0
	s_barrier_signal -1
	s_barrier_wait -1
	s_cbranch_scc1 .LBB90_6
; %bb.5:
	s_load_b32 s2, s[0:1], 0xd0
	s_wait_kmcnt 0x0
	s_mul_i32 s2, s2, s28
	s_delay_alu instid0(SALU_CYCLE_1)
	s_add_co_i32 s2, s2, s26
	s_load_b32 s2, s[14:15], s2 offset:0x0 scale_offset
.LBB90_6:
	s_wait_xcnt 0x0
	s_clause 0x2
	s_load_b64 s[14:15], s[0:1], 0x8c
	s_load_b128 s[24:27], s[0:1], 0x98
	s_load_b64 s[20:21], s[0:1], 0xa8
	s_mul_i32 s4, s5, s3
	s_ashr_i32 s34, s39, 1
	s_sub_co_i32 s36, s36, s4
	s_ashr_i32 s29, s28, 31
	s_xor_b32 s11, s10, s11
	s_add_co_i32 s37, s5, 1
	s_sub_co_i32 s38, s36, s3
	v_dual_lshlrev_b32 v101, 2, v84 :: v_dual_lshrrev_b32 v57, 3, v84
	v_mul_u32_u24_e32 v56, 0x90, v84
	v_lshrrev_b32_e32 v54, 4, v84
	v_mbcnt_lo_u32_b32 v89, -1, 0
	s_delay_alu instid0(VALU_DEP_4)
	v_and_b32_e32 v30, 28, v101
	v_and_b32_e32 v28, 60, v101
	s_wait_kmcnt 0x0
	s_ashr_i32 s4, s14, 2
	s_ashr_i32 s10, s26, 2
	s_cmp_ge_u32 s36, s3
	s_mul_u64 s[24:25], s[24:25], s[28:29]
	s_cselect_b32 s5, s37, s5
	s_cselect_b32 s14, s38, s36
	s_add_co_i32 s26, s5, 1
	s_cmp_ge_u32 s14, s3
	s_add_nc_u64 s[6:7], s[6:7], s[24:25]
	s_cselect_b32 s3, s26, s5
	s_bfe_u32 s14, ttmp6, 0x40010
	s_xor_b32 s3, s3, s11
	s_and_b32 s5, ttmp7, 0xffff
	s_add_co_i32 s14, s14, 1
	s_sub_co_i32 s3, s3, s11
	s_bfe_u32 s25, ttmp6, 0x40004
	s_mul_i32 s11, s5, s14
	s_mul_i32 s14, s3, s15
	;; [unrolled: 1-line block ×3, first 2 shown]
	s_add_co_i32 s3, s25, s11
	s_ashr_i32 s15, s14, 31
	s_ashr_i32 s25, s24, 31
	s_cmp_eq_u32 s42, 0
	s_mul_u64 s[20:21], s[20:21], s[28:29]
	s_cselect_b32 s26, s5, s3
	s_add_nc_u64 s[6:7], s[6:7], s[14:15]
	s_sub_co_i32 s3, s2, 64
	s_lshl_b32 s14, s26, 6
	s_add_nc_u64 s[8:9], s[8:9], s[20:21]
	s_cmp_ge_i32 s14, s3
	s_add_nc_u64 s[8:9], s[8:9], s[24:25]
	s_cbranch_scc1 .LBB90_23
; %bb.7:
	v_lshl_add_u32 v1, v29, 2, v57
	v_lshl_add_u32 v3, v29, 1, v54
	s_ashr_i32 s5, s4, 31
	v_dual_mov_b32 v33, 0 :: v_dual_lshlrev_b32 v2, 2, v30
	s_delay_alu instid0(VALU_DEP_3) | instskip(NEXT) | instid1(VALU_DEP_3)
	v_mul_lo_u32 v34, s4, v1
	v_mul_lo_u32 v0, s10, v3
	s_lshl_b32 s11, s4, 4
	s_cmp_lg_u64 s[30:31], 0
	v_lshlrev_b32_e32 v4, 2, v28
	s_cselect_b32 s27, -1, 0
	s_lshl_b32 s15, s10, 3
	v_mad_u32_u24 v60, 0x90, v1, v2
	v_mad_u32 v58, v86, s34, v84
	v_lshl_add_u32 v59, v29, 7, 0x2800
	v_dual_lshlrev_b32 v42, 2, v30 :: v_dual_lshlrev_b32 v32, 2, v28
	v_dual_add_nc_u32 v36, s11, v34 :: v_dual_add_nc_u32 v2, s15, v0
	v_ashrrev_i32_e32 v35, 31, v34
	v_lshl_or_b32 v62, v3, 8, v4
	v_lshl_add_u32 v61, v84, 1, v59
	s_delay_alu instid0(VALU_DEP_4) | instskip(SKIP_1) | instid1(VALU_DEP_2)
	v_dual_add_nc_u32 v38, s11, v36 :: v_dual_add_nc_u32 v4, s15, v2
	v_dual_mov_b32 v104, v33 :: v_dual_add_nc_u32 v63, 0x900, v60
	v_dual_ashrrev_i32 v1, 31, v0 :: v_dual_add_nc_u32 v40, s11, v38
	s_delay_alu instid0(VALU_DEP_3) | instskip(SKIP_1) | instid1(VALU_DEP_2)
	v_dual_add_nc_u32 v6, s15, v4 :: v_dual_ashrrev_i32 v3, 31, v2
	v_dual_mov_b32 v8, 0xfeffffff :: v_dual_ashrrev_i32 v5, 31, v4
	v_dual_ashrrev_i32 v41, 31, v40 :: v_dual_ashrrev_i32 v7, 31, v6
	s_delay_alu instid0(VALU_DEP_4) | instskip(NEXT) | instid1(VALU_DEP_4)
	v_lshlrev_b64_e32 v[44:45], 2, v[0:1]
	v_lshlrev_b64_e32 v[46:47], 2, v[2:3]
	s_delay_alu instid0(VALU_DEP_4)
	v_lshlrev_b64_e32 v[48:49], 2, v[4:5]
	v_dual_mov_b32 v43, v33 :: v_dual_add_nc_u32 v64, 0x1200, v60
	v_lshlrev_b64_e32 v[50:51], 2, v[6:7]
	v_dual_mov_b32 v70, v33 :: v_dual_add_nc_u32 v65, 0x1b00, v60
	v_dual_mov_b32 v103, v33 :: v_dual_add_nc_u32 v66, 0x800, v62
	v_dual_ashrrev_i32 v37, 31, v36 :: v_dual_ashrrev_i32 v39, 31, v38
	v_add_nc_u32_e32 v67, 0x1000, v62
	v_add_nc_u32_e32 v68, 0x1800, v62
	v_mbcnt_lo_u32_b32 v69, -1, 0
	s_ashr_i32 s11, s10, 31
	s_add_nc_u64 s[20:21], s[0:1], 0xd0
	s_mov_b32 s29, 0xbbbac73d
.LBB90_8:                               ; =>This Inner Loop Header: Depth=1
	s_ashr_i32 s15, s14, 31
	v_mov_b32_e32 v9, 0
	s_mul_u64 s[24:25], s[14:15], s[4:5]
	s_delay_alu instid0(SALU_CYCLE_1) | instskip(NEXT) | instid1(SALU_CYCLE_1)
	s_lshl_b64 s[24:25], s[24:25], 2
	s_add_nc_u64 s[24:25], s[6:7], s[24:25]
	s_delay_alu instid0(SALU_CYCLE_1) | instskip(SKIP_3) | instid1(VALU_DEP_4)
	v_lshl_add_u64 v[0:1], v[34:35], 2, s[24:25]
	v_lshl_add_u64 v[2:3], v[36:37], 2, s[24:25]
	;; [unrolled: 1-line block ×4, first 2 shown]
	v_add_nc_u64_e32 v[6:7], v[0:1], v[42:43]
	s_delay_alu instid0(VALU_DEP_4) | instskip(NEXT) | instid1(VALU_DEP_4)
	v_add_nc_u64_e32 v[4:5], v[2:3], v[42:43]
	v_add_nc_u64_e32 v[2:3], v[10:11], v[42:43]
	s_delay_alu instid0(VALU_DEP_4)
	v_add_nc_u64_e32 v[0:1], v[12:13], v[42:43]
	s_clause 0x3
	global_load_b128 v[10:13], v[6:7], off
	global_load_b128 v[14:17], v[4:5], off
	;; [unrolled: 1-line block ×4, first 2 shown]
	s_wait_loadcnt 0x3
	ds_store_b128 v60, v[10:13]
	s_wait_loadcnt 0x2
	ds_store_b128 v63, v[14:17]
	;; [unrolled: 2-line block ×4, first 2 shown]
	s_wait_dscnt 0x0
	s_barrier_signal -1
	s_barrier_wait -1
	ds_load_b128 v[12:15], v56
	ds_load_b128 v[16:19], v55
	ds_load_b128 v[20:23], v56 offset:4608
	v_mov_b32_e32 v10, 0
	s_wait_dscnt 0x1
	;;#ASMSTART
	v_dot2_f32_f16 v9, v12, v16, v9
	;;#ASMEND
	;;#ASMSTART
	v_dot2_f32_f16 v9, v13, v17, v9
	;;#ASMEND
	;;#ASMSTART
	v_dot2_f32_f16 v9, v14, v18, v9
	;;#ASMEND
	;;#ASMSTART
	v_dot2_f32_f16 v9, v15, v19, v9
	;;#ASMEND
	s_wait_dscnt 0x0
	;;#ASMSTART
	v_dot2_f32_f16 v10, v20, v16, v10
	;;#ASMEND
	;;#ASMSTART
	v_dot2_f32_f16 v10, v21, v17, v10
	;;#ASMEND
	;;#ASMSTART
	v_dot2_f32_f16 v10, v22, v18, v10
	;;#ASMEND
	;;#ASMSTART
	v_dot2_f32_f16 v10, v23, v19, v10
	;;#ASMEND
	ds_load_b128 v[12:15], v56 offset:16
	ds_load_b128 v[16:19], v55 offset:16
	ds_load_b128 v[20:23], v56 offset:4624
	s_wait_dscnt 0x1
	;;#ASMSTART
	v_dot2_f32_f16 v9, v12, v16, v9
	;;#ASMEND
	;;#ASMSTART
	v_dot2_f32_f16 v9, v13, v17, v9
	;;#ASMEND
	;;#ASMSTART
	v_dot2_f32_f16 v9, v14, v18, v9
	;;#ASMEND
	;;#ASMSTART
	v_dot2_f32_f16 v9, v15, v19, v9
	;;#ASMEND
	s_wait_dscnt 0x0
	;;#ASMSTART
	v_dot2_f32_f16 v10, v20, v16, v10
	;;#ASMEND
	;;#ASMSTART
	v_dot2_f32_f16 v10, v21, v17, v10
	;;#ASMEND
	;;#ASMSTART
	v_dot2_f32_f16 v10, v22, v18, v10
	;;#ASMEND
	;;#ASMSTART
	v_dot2_f32_f16 v10, v23, v19, v10
	;;#ASMEND
	ds_load_b128 v[12:15], v56 offset:32
	ds_load_b128 v[16:19], v55 offset:32
	ds_load_b128 v[20:23], v56 offset:4640
	;; [unrolled: 29-line block ×7, first 2 shown]
	s_wait_dscnt 0x1
	;;#ASMSTART
	v_dot2_f32_f16 v9, v12, v16, v9
	;;#ASMEND
	;;#ASMSTART
	v_dot2_f32_f16 v9, v13, v17, v9
	;;#ASMEND
	;; [unrolled: 3-line block ×4, first 2 shown]
	s_wait_dscnt 0x0
	;;#ASMSTART
	v_dot2_f32_f16 v10, v20, v16, v10
	;;#ASMEND
	;;#ASMSTART
	v_dot2_f32_f16 v10, v21, v17, v10
	;;#ASMEND
	;; [unrolled: 3-line block ×4, first 2 shown]
	s_barrier_signal -1
	s_barrier_wait -1
	s_clause 0x3
	global_load_b128 v[12:15], v[6:7], off offset:128
	global_load_b128 v[4:7], v[4:5], off offset:128
	global_load_b128 v[16:19], v[2:3], off offset:128
	global_load_b128 v[0:3], v[0:1], off offset:128
	s_wait_loadcnt 0x3
	ds_store_b128 v60, v[12:15]
	s_wait_loadcnt 0x2
	ds_store_b128 v63, v[4:7]
	;; [unrolled: 2-line block ×4, first 2 shown]
	s_wait_dscnt 0x0
	s_barrier_signal -1
	s_barrier_wait -1
	ds_load_b128 v[0:3], v56
	ds_load_b128 v[4:7], v55 offset:128
	ds_load_b128 v[12:15], v56 offset:4608
	s_wait_dscnt 0x1
	;;#ASMSTART
	v_dot2_f32_f16 v9, v0, v4, v9
	;;#ASMEND
	;;#ASMSTART
	v_dot2_f32_f16 v9, v1, v5, v9
	;;#ASMEND
	;;#ASMSTART
	v_dot2_f32_f16 v9, v2, v6, v9
	;;#ASMEND
	;;#ASMSTART
	v_dot2_f32_f16 v9, v3, v7, v9
	;;#ASMEND
	s_wait_dscnt 0x0
	;;#ASMSTART
	v_dot2_f32_f16 v10, v12, v4, v10
	;;#ASMEND
	;;#ASMSTART
	v_dot2_f32_f16 v10, v13, v5, v10
	;;#ASMEND
	;;#ASMSTART
	v_dot2_f32_f16 v10, v14, v6, v10
	;;#ASMEND
	;;#ASMSTART
	v_dot2_f32_f16 v10, v15, v7, v10
	;;#ASMEND
	ds_load_b128 v[0:3], v56 offset:16
	ds_load_b128 v[4:7], v55 offset:144
	ds_load_b128 v[12:15], v56 offset:4624
	s_wait_dscnt 0x1
	;;#ASMSTART
	v_dot2_f32_f16 v9, v0, v4, v9
	;;#ASMEND
	;;#ASMSTART
	v_dot2_f32_f16 v9, v1, v5, v9
	;;#ASMEND
	;;#ASMSTART
	v_dot2_f32_f16 v9, v2, v6, v9
	;;#ASMEND
	;;#ASMSTART
	v_dot2_f32_f16 v9, v3, v7, v9
	;;#ASMEND
	s_wait_dscnt 0x0
	;;#ASMSTART
	v_dot2_f32_f16 v10, v12, v4, v10
	;;#ASMEND
	;;#ASMSTART
	v_dot2_f32_f16 v10, v13, v5, v10
	;;#ASMEND
	;;#ASMSTART
	v_dot2_f32_f16 v10, v14, v6, v10
	;;#ASMEND
	;;#ASMSTART
	v_dot2_f32_f16 v10, v15, v7, v10
	;;#ASMEND
	ds_load_b128 v[0:3], v56 offset:32
	ds_load_b128 v[4:7], v55 offset:160
	ds_load_b128 v[12:15], v56 offset:4640
	s_wait_dscnt 0x1
	;;#ASMSTART
	v_dot2_f32_f16 v9, v0, v4, v9
	;;#ASMEND
	;;#ASMSTART
	v_dot2_f32_f16 v9, v1, v5, v9
	;;#ASMEND
	;;#ASMSTART
	v_dot2_f32_f16 v9, v2, v6, v9
	;;#ASMEND
	;;#ASMSTART
	v_dot2_f32_f16 v9, v3, v7, v9
	;;#ASMEND
	s_wait_dscnt 0x0
	;;#ASMSTART
	v_dot2_f32_f16 v10, v12, v4, v10
	;;#ASMEND
	;;#ASMSTART
	v_dot2_f32_f16 v10, v13, v5, v10
	;;#ASMEND
	;;#ASMSTART
	v_dot2_f32_f16 v10, v14, v6, v10
	;;#ASMEND
	;;#ASMSTART
	v_dot2_f32_f16 v10, v15, v7, v10
	;;#ASMEND
	ds_load_b128 v[0:3], v56 offset:48
	ds_load_b128 v[4:7], v55 offset:176
	ds_load_b128 v[12:15], v56 offset:4656
	s_wait_dscnt 0x1
	;;#ASMSTART
	v_dot2_f32_f16 v9, v0, v4, v9
	;;#ASMEND
	;;#ASMSTART
	v_dot2_f32_f16 v9, v1, v5, v9
	;;#ASMEND
	;;#ASMSTART
	v_dot2_f32_f16 v9, v2, v6, v9
	;;#ASMEND
	;;#ASMSTART
	v_dot2_f32_f16 v9, v3, v7, v9
	;;#ASMEND
	s_wait_dscnt 0x0
	;;#ASMSTART
	v_dot2_f32_f16 v10, v12, v4, v10
	;;#ASMEND
	;;#ASMSTART
	v_dot2_f32_f16 v10, v13, v5, v10
	;;#ASMEND
	;;#ASMSTART
	v_dot2_f32_f16 v10, v14, v6, v10
	;;#ASMEND
	;;#ASMSTART
	v_dot2_f32_f16 v10, v15, v7, v10
	;;#ASMEND
	ds_load_b128 v[0:3], v56 offset:64
	ds_load_b128 v[4:7], v55 offset:192
	ds_load_b128 v[12:15], v56 offset:4672
	s_wait_dscnt 0x1
	;;#ASMSTART
	v_dot2_f32_f16 v9, v0, v4, v9
	;;#ASMEND
	;;#ASMSTART
	v_dot2_f32_f16 v9, v1, v5, v9
	;;#ASMEND
	;;#ASMSTART
	v_dot2_f32_f16 v9, v2, v6, v9
	;;#ASMEND
	;;#ASMSTART
	v_dot2_f32_f16 v9, v3, v7, v9
	;;#ASMEND
	s_wait_dscnt 0x0
	;;#ASMSTART
	v_dot2_f32_f16 v10, v12, v4, v10
	;;#ASMEND
	;;#ASMSTART
	v_dot2_f32_f16 v10, v13, v5, v10
	;;#ASMEND
	;;#ASMSTART
	v_dot2_f32_f16 v10, v14, v6, v10
	;;#ASMEND
	;;#ASMSTART
	v_dot2_f32_f16 v10, v15, v7, v10
	;;#ASMEND
	ds_load_b128 v[0:3], v56 offset:80
	ds_load_b128 v[4:7], v55 offset:208
	ds_load_b128 v[12:15], v56 offset:4688
	s_wait_dscnt 0x1
	;;#ASMSTART
	v_dot2_f32_f16 v9, v0, v4, v9
	;;#ASMEND
	;;#ASMSTART
	v_dot2_f32_f16 v9, v1, v5, v9
	;;#ASMEND
	;;#ASMSTART
	v_dot2_f32_f16 v9, v2, v6, v9
	;;#ASMEND
	;;#ASMSTART
	v_dot2_f32_f16 v9, v3, v7, v9
	;;#ASMEND
	s_wait_dscnt 0x0
	;;#ASMSTART
	v_dot2_f32_f16 v10, v12, v4, v10
	;;#ASMEND
	;;#ASMSTART
	v_dot2_f32_f16 v10, v13, v5, v10
	;;#ASMEND
	;;#ASMSTART
	v_dot2_f32_f16 v10, v14, v6, v10
	;;#ASMEND
	;;#ASMSTART
	v_dot2_f32_f16 v10, v15, v7, v10
	;;#ASMEND
	ds_load_b128 v[0:3], v56 offset:96
	ds_load_b128 v[4:7], v55 offset:224
	ds_load_b128 v[12:15], v56 offset:4704
	s_wait_dscnt 0x1
	;;#ASMSTART
	v_dot2_f32_f16 v9, v0, v4, v9
	;;#ASMEND
	;;#ASMSTART
	v_dot2_f32_f16 v9, v1, v5, v9
	;;#ASMEND
	;;#ASMSTART
	v_dot2_f32_f16 v9, v2, v6, v9
	;;#ASMEND
	;;#ASMSTART
	v_dot2_f32_f16 v9, v3, v7, v9
	;;#ASMEND
	s_wait_dscnt 0x0
	;;#ASMSTART
	v_dot2_f32_f16 v10, v12, v4, v10
	;;#ASMEND
	;;#ASMSTART
	v_dot2_f32_f16 v10, v13, v5, v10
	;;#ASMEND
	;;#ASMSTART
	v_dot2_f32_f16 v10, v14, v6, v10
	;;#ASMEND
	;;#ASMSTART
	v_dot2_f32_f16 v10, v15, v7, v10
	;;#ASMEND
	ds_load_b128 v[0:3], v56 offset:112
	ds_load_b128 v[4:7], v55 offset:240
	ds_load_b128 v[12:15], v56 offset:4720
	s_wait_dscnt 0x1
	;;#ASMSTART
	v_dot2_f32_f16 v9, v0, v4, v9
	;;#ASMEND
	;;#ASMSTART
	v_dot2_f32_f16 v9, v1, v5, v9
	;;#ASMEND
	;; [unrolled: 3-line block ×4, first 2 shown]
	v_cmp_ngt_f32_e64 s24, 0x3f200000, |v9|
	s_wait_dscnt 0x0
	;;#ASMSTART
	v_dot2_f32_f16 v10, v12, v4, v10
	;;#ASMEND
	;;#ASMSTART
	v_dot2_f32_f16 v10, v13, v5, v10
	;;#ASMEND
	;; [unrolled: 3-line block ×4, first 2 shown]
                                        ; implicit-def: $vgpr1
	s_and_saveexec_b32 s25, s24
	s_delay_alu instid0(SALU_CYCLE_1)
	s_xor_b32 s24, exec_lo, s25
	s_cbranch_execz .LBB90_16
; %bb.9:                                ;   in Loop: Header=BB90_8 Depth=1
	v_add_f32_e64 v0, |v9|, |v9|
	s_delay_alu instid0(VALU_DEP_1) | instskip(SKIP_1) | instid1(VALU_DEP_2)
	v_mul_f32_e32 v1, 0x3fb8aa3b, v0
	v_cmp_ngt_f32_e32 vcc_lo, 0xc2ce8ed0, v0
	v_rndne_f32_e32 v2, v1
	v_fma_f32 v3, 0x3fb8aa3b, v0, -v1
	s_delay_alu instid0(VALU_DEP_2) | instskip(NEXT) | instid1(VALU_DEP_2)
	v_sub_f32_e32 v1, v1, v2
	v_fmac_f32_e32 v3, 0x32a5705f, v0
	v_cvt_i32_f32_e32 v2, v2
	s_delay_alu instid0(VALU_DEP_2) | instskip(NEXT) | instid1(VALU_DEP_1)
	v_add_f32_e32 v1, v1, v3
	v_exp_f32_e32 v1, v1
	v_nop
	s_delay_alu instid0(TRANS32_DEP_1) | instskip(NEXT) | instid1(VALU_DEP_1)
	v_ldexp_f32 v1, v1, v2
	v_cndmask_b32_e32 v1, 0, v1, vcc_lo
	v_cmp_nlt_f32_e32 vcc_lo, 0x42b17218, v0
	s_delay_alu instid0(VALU_DEP_2) | instskip(NEXT) | instid1(VALU_DEP_1)
	v_cndmask_b32_e32 v0, 0x7f800000, v1, vcc_lo
	v_add_f32_e32 v0, 1.0, v0
	s_delay_alu instid0(VALU_DEP_1) | instskip(SKIP_1) | instid1(TRANS32_DEP_1)
	v_rcp_f32_e32 v0, v0
	v_nop
	v_fma_f32 v1, v0, -2.0, 1.0
	s_and_not1_saveexec_b32 s24, s24
	s_cbranch_execnz .LBB90_17
.LBB90_10:                              ;   in Loop: Header=BB90_8 Depth=1
	s_or_b32 exec_lo, exec_lo, s24
	v_add_nc_u32_e32 v2, s14, v58
	s_and_not1_b32 vcc_lo, exec_lo, s27
	s_cbranch_vccnz .LBB90_18
.LBB90_11:                              ;   in Loop: Header=BB90_8 Depth=1
	global_load_u16 v0, v2, s[30:31] scale_offset
	s_wait_loadcnt 0x0
	v_cvt_f32_f16_e32 v0, v0
	s_delay_alu instid0(VALU_DEP_1) | instskip(SKIP_2) | instid1(SALU_CYCLE_1)
	v_mul_f32_e32 v0, v31, v0
	v_cmp_ngt_f32_e64 s24, 0x3f200000, |v10|
                                        ; implicit-def: $vgpr3
	s_and_saveexec_b32 s25, s24
	s_xor_b32 s24, exec_lo, s25
	s_cbranch_execz .LBB90_13
.LBB90_12:                              ;   in Loop: Header=BB90_8 Depth=1
	v_add_f32_e64 v3, |v10|, |v10|
	s_delay_alu instid0(VALU_DEP_1) | instskip(SKIP_1) | instid1(VALU_DEP_2)
	v_mul_f32_e32 v4, 0x3fb8aa3b, v3
	v_cmp_ngt_f32_e32 vcc_lo, 0xc2ce8ed0, v3
	v_rndne_f32_e32 v5, v4
	v_fma_f32 v6, 0x3fb8aa3b, v3, -v4
	s_delay_alu instid0(VALU_DEP_2) | instskip(NEXT) | instid1(VALU_DEP_2)
	v_sub_f32_e32 v4, v4, v5
	v_fmac_f32_e32 v6, 0x32a5705f, v3
	v_cvt_i32_f32_e32 v5, v5
	s_delay_alu instid0(VALU_DEP_2) | instskip(NEXT) | instid1(VALU_DEP_1)
	v_add_f32_e32 v4, v4, v6
	v_exp_f32_e32 v4, v4
	v_nop
	s_delay_alu instid0(TRANS32_DEP_1) | instskip(NEXT) | instid1(VALU_DEP_1)
	v_ldexp_f32 v4, v4, v5
	v_cndmask_b32_e32 v4, 0, v4, vcc_lo
	v_cmp_nlt_f32_e32 vcc_lo, 0x42b17218, v3
	s_delay_alu instid0(VALU_DEP_2) | instskip(NEXT) | instid1(VALU_DEP_1)
	v_cndmask_b32_e32 v3, 0x7f800000, v4, vcc_lo
	v_add_f32_e32 v3, 1.0, v3
	s_delay_alu instid0(VALU_DEP_1) | instskip(SKIP_1) | instid1(TRANS32_DEP_1)
	v_rcp_f32_e32 v3, v3
	v_nop
	v_fma_f32 v3, v3, -2.0, 1.0
.LBB90_13:                              ;   in Loop: Header=BB90_8 Depth=1
	s_and_not1_saveexec_b32 s24, s24
	s_cbranch_execz .LBB90_19
; %bb.14:                               ;   in Loop: Header=BB90_8 Depth=1
	v_mul_f32_e32 v3, v10, v10
	s_delay_alu instid0(VALU_DEP_1) | instskip(NEXT) | instid1(VALU_DEP_1)
	v_fmaak_f32 v4, s29, v3, 0x3ca908c9
	v_fmaak_f32 v4, v3, v4, 0xbd5c1c4e
	s_delay_alu instid0(VALU_DEP_1) | instskip(NEXT) | instid1(VALU_DEP_1)
	v_fmaak_f32 v4, v3, v4, 0x3e088382
	v_fmaak_f32 v4, v3, v4, 0xbeaaaa99
	s_delay_alu instid0(VALU_DEP_1) | instskip(NEXT) | instid1(VALU_DEP_1)
	v_mul_f32_e64 v4, |v10|, v4
	v_fma_f32 v3, v3, v4, |v10|
	s_or_b32 exec_lo, exec_lo, s24
	s_delay_alu instid0(SALU_CYCLE_1)
	s_and_not1_b32 vcc_lo, exec_lo, s27
	s_cbranch_vccz .LBB90_20
.LBB90_15:                              ;   in Loop: Header=BB90_8 Depth=1
	v_mov_b32_e32 v2, 0
	s_branch .LBB90_21
.LBB90_16:                              ;   in Loop: Header=BB90_8 Depth=1
	s_and_not1_saveexec_b32 s24, s24
	s_cbranch_execz .LBB90_10
.LBB90_17:                              ;   in Loop: Header=BB90_8 Depth=1
	v_mul_f32_e32 v0, v9, v9
	s_delay_alu instid0(VALU_DEP_1) | instskip(NEXT) | instid1(VALU_DEP_1)
	v_fmaak_f32 v1, s29, v0, 0x3ca908c9
	v_fmaak_f32 v1, v0, v1, 0xbd5c1c4e
	s_delay_alu instid0(VALU_DEP_1) | instskip(NEXT) | instid1(VALU_DEP_1)
	v_fmaak_f32 v1, v0, v1, 0x3e088382
	v_fmaak_f32 v1, v0, v1, 0xbeaaaa99
	s_delay_alu instid0(VALU_DEP_1) | instskip(NEXT) | instid1(VALU_DEP_1)
	v_mul_f32_e64 v1, |v9|, v1
	v_fma_f32 v1, v0, v1, |v9|
	s_or_b32 exec_lo, exec_lo, s24
	v_add_nc_u32_e32 v2, s14, v58
	s_and_not1_b32 vcc_lo, exec_lo, s27
	s_cbranch_vccz .LBB90_11
.LBB90_18:                              ;   in Loop: Header=BB90_8 Depth=1
	v_mov_b32_e32 v0, 0
	v_cmp_ngt_f32_e64 s24, 0x3f200000, |v10|
                                        ; implicit-def: $vgpr3
	s_and_saveexec_b32 s25, s24
	s_delay_alu instid0(SALU_CYCLE_1)
	s_xor_b32 s24, exec_lo, s25
	s_cbranch_execz .LBB90_13
	s_branch .LBB90_12
.LBB90_19:                              ;   in Loop: Header=BB90_8 Depth=1
	s_or_b32 exec_lo, exec_lo, s24
	s_delay_alu instid0(SALU_CYCLE_1)
	s_and_not1_b32 vcc_lo, exec_lo, s27
	s_cbranch_vccnz .LBB90_15
.LBB90_20:                              ;   in Loop: Header=BB90_8 Depth=1
	global_load_u16 v2, v2, s[30:31] offset:64 scale_offset
	s_wait_loadcnt 0x0
	v_cvt_f32_f16_e32 v2, v2
	s_delay_alu instid0(VALU_DEP_1)
	v_mul_f32_e32 v2, v31, v2
.LBB90_21:                              ;   in Loop: Header=BB90_8 Depth=1
	s_mul_u64 s[24:25], s[14:15], s[10:11]
	s_delay_alu instid0(SALU_CYCLE_1)
	s_lshl_b64 s[24:25], s[24:25], 2
	s_barrier_signal -1
	s_add_nc_u64 s[24:25], s[8:9], s[24:25]
	s_barrier_wait -1
	v_add_nc_u64_e32 v[4:5], s[24:25], v[44:45]
	v_add_nc_u64_e32 v[6:7], s[24:25], v[46:47]
	;; [unrolled: 1-line block ×4, first 2 shown]
	v_bfi_b32 v1, 0x7fffffff, v1, v9
	v_bfi_b32 v3, 0x7fffffff, v3, v10
	v_add_nc_u64_e32 v[4:5], v[4:5], v[32:33]
	v_add_nc_u64_e32 v[6:7], v[6:7], v[32:33]
	;; [unrolled: 1-line block ×4, first 2 shown]
	v_add_nc_u32_e32 v75, 0x1000, v102
	s_or_b32 s24, s14, 32
	s_clause 0x3
	global_load_b128 v[12:15], v[4:5], off
	global_load_b128 v[16:19], v[6:7], off
	global_load_b128 v[20:23], v[20:21], off
	global_load_b128 v[24:27], v[24:25], off
	s_wait_xcnt 0x3
	v_dual_fmac_f32 v2, s35, v3 :: v_dual_bitop2_b32 v4, 16, v69 bitop3:0x14
	s_ashr_i32 s25, s24, 31
	v_add_nc_u32_e32 v76, 0x800, v102
	s_mul_u64 s[24:25], s[24:25], s[10:11]
	s_delay_alu instid0(VALU_DEP_2) | instskip(SKIP_2) | instid1(SALU_CYCLE_1)
	v_cmp_gt_i32_e32 vcc_lo, 32, v4
	v_fmac_f32_e32 v0, s35, v1
	s_lshl_b64 s[24:25], s[24:25], 2
	s_add_nc_u64 s[24:25], s[8:9], s[24:25]
	v_cndmask_b32_e32 v1, v69, v4, vcc_lo
	s_delay_alu instid0(VALU_DEP_2) | instskip(SKIP_3) | instid1(VALU_DEP_4)
	v_dual_add_f32 v3, 0x40051340, v0 :: v_dual_add_f32 v4, 0x40051340, v2
	v_add_nc_u64_e32 v[78:79], s[24:25], v[46:47]
	v_add_nc_u64_e32 v[80:81], s[24:25], v[50:51]
	;; [unrolled: 1-line block ×3, first 2 shown]
	v_max3_num_f32 v3, v8, v3, v4
	v_xor_b32_e32 v4, 8, v69
	v_add_nc_u64_e32 v[82:83], v[78:79], v[32:33]
	s_delay_alu instid0(VALU_DEP_4) | instskip(NEXT) | instid1(VALU_DEP_3)
	v_add_nc_u64_e32 v[52:53], v[52:53], v[32:33]
	v_cmp_gt_i32_e32 vcc_lo, 32, v4
	v_dual_cndmask_b32 v4, v69, v4 :: v_dual_lshlrev_b32 v1, 2, v1
	ds_bpermute_b32 v1, v1, v3
	s_wait_dscnt 0x0
	v_dual_max_num_f32 v1, v1, v1 :: v_dual_lshlrev_b32 v4, 2, v4
	s_delay_alu instid0(VALU_DEP_1) | instskip(SKIP_3) | instid1(VALU_DEP_1)
	v_max_num_f32_e32 v1, v3, v1
	ds_bpermute_b32 v3, v4, v1
	s_wait_dscnt 0x0
	v_dual_max_num_f32 v3, v3, v3 :: v_dual_bitop2_b32 v4, 4, v69 bitop3:0x14
	v_cmp_gt_i32_e32 vcc_lo, 32, v4
	v_cndmask_b32_e32 v4, v69, v4, vcc_lo
	s_delay_alu instid0(VALU_DEP_1) | instskip(SKIP_3) | instid1(VALU_DEP_1)
	v_dual_max_num_f32 v1, v1, v3 :: v_dual_lshlrev_b32 v4, 2, v4
	ds_bpermute_b32 v3, v4, v1
	s_wait_dscnt 0x0
	v_dual_max_num_f32 v3, v3, v3 :: v_dual_bitop2_b32 v4, 2, v69 bitop3:0x14
	v_max_num_f32_e32 v1, v1, v3
	s_delay_alu instid0(VALU_DEP_2) | instskip(SKIP_1) | instid1(VALU_DEP_1)
	v_cmp_gt_i32_e32 vcc_lo, 32, v4
	v_cndmask_b32_e32 v4, v69, v4, vcc_lo
	v_lshlrev_b32_e32 v4, 2, v4
	ds_bpermute_b32 v3, v4, v1
	v_xor_b32_e32 v4, 1, v69
	s_delay_alu instid0(VALU_DEP_1) | instskip(SKIP_2) | instid1(VALU_DEP_1)
	v_cmp_gt_i32_e32 vcc_lo, 32, v4
	s_wait_dscnt 0x0
	v_dual_cndmask_b32 v4, v69, v4 :: v_dual_max_num_f32 v3, v3, v3
	v_dual_max_num_f32 v1, v1, v3 :: v_dual_lshlrev_b32 v4, 2, v4
	ds_bpermute_b32 v3, v4, v1
	s_wait_dscnt 0x0
	v_max_num_f32_e32 v3, v3, v3
	s_delay_alu instid0(VALU_DEP_1) | instskip(NEXT) | instid1(VALU_DEP_1)
	v_max_num_f32_e32 v88, v1, v3
	v_dual_sub_f32 v0, v0, v88 :: v_dual_sub_f32 v1, v2, v88
	v_sub_f32_e32 v4, v8, v88
	s_delay_alu instid0(VALU_DEP_2) | instskip(NEXT) | instid1(VALU_DEP_3)
	v_cmp_ngt_f32_e32 vcc_lo, 0xc2ce8ed0, v0
	v_mul_f32_e32 v3, 0x3fb8aa3b, v1
	s_delay_alu instid0(VALU_DEP_1) | instskip(SKIP_3) | instid1(VALU_DEP_3)
	v_rndne_f32_e32 v9, v3
	v_mul_f32_e32 v2, 0x3fb8aa3b, v0
	s_wait_xcnt 0x2
	v_fma_f32 v7, 0x3fb8aa3b, v1, -v3
	v_sub_f32_e32 v3, v3, v9
	s_delay_alu instid0(VALU_DEP_3) | instskip(SKIP_1) | instid1(VALU_DEP_4)
	v_fma_f32 v5, 0x3fb8aa3b, v0, -v2
	v_rndne_f32_e32 v6, v2
	v_fmac_f32_e32 v7, 0x32a5705f, v1
	s_delay_alu instid0(VALU_DEP_2) | instskip(NEXT) | instid1(VALU_DEP_2)
	v_dual_fmac_f32 v5, 0x32a5705f, v0 :: v_dual_sub_f32 v2, v2, v6
	v_add_f32_e32 v3, v3, v7
	v_cvt_i32_f32_e32 v6, v6
	v_cvt_i32_f32_e32 v7, v9
	s_delay_alu instid0(VALU_DEP_4) | instskip(NEXT) | instid1(VALU_DEP_4)
	v_add_f32_e32 v2, v2, v5
	v_exp_f32_e32 v3, v3
	s_delay_alu instid0(VALU_DEP_1) | instskip(NEXT) | instid1(TRANS32_DEP_2)
	v_exp_f32_e32 v2, v2
	v_ldexp_f32 v3, v3, v7
	s_delay_alu instid0(TRANS32_DEP_1) | instskip(NEXT) | instid1(VALU_DEP_1)
	v_ldexp_f32 v2, v2, v6
	v_dual_mul_f32 v5, 0x3fb8aa3b, v4 :: v_dual_cndmask_b32 v2, 0, v2
	s_delay_alu instid0(VALU_DEP_1) | instskip(SKIP_2) | instid1(VALU_DEP_3)
	v_fma_f32 v8, 0x3fb8aa3b, v4, -v5
	v_cmp_ngt_f32_e32 vcc_lo, 0xc2ce8ed0, v1
	v_rndne_f32_e32 v6, v5
	v_dual_fmac_f32 v8, 0x32a5705f, v4 :: v_dual_cndmask_b32 v3, 0, v3
	v_cmp_nlt_f32_e32 vcc_lo, 0x42b17218, v0
	v_cndmask_b32_e32 v71, 0x7f800000, v2, vcc_lo
	v_cmp_nlt_f32_e32 vcc_lo, 0x42b17218, v1
	s_delay_alu instid0(VALU_DEP_4) | instskip(NEXT) | instid1(VALU_DEP_1)
	v_dual_sub_f32 v5, v5, v6 :: v_dual_cndmask_b32 v72, 0x7f800000, v3
	v_add_f32_e32 v0, v5, v8
	s_delay_alu instid0(VALU_DEP_4)
	v_cvt_f16_f32_e32 v1, v71
	v_cvt_i32_f32_e32 v5, v6
	v_cmp_ngt_f32_e32 vcc_lo, 0xc2ce8ed0, v4
	v_cvt_f16_f32_e32 v2, v72
	v_exp_f32_e32 v6, v0
	v_dual_add_f32 v87, v71, v72 :: v_dual_add_nc_u32 v74, 0x1800, v102
	ds_store_b16 v61, v1
	ds_store_b16 v61, v2 offset:64
	s_wait_loadcnt 0x3
	ds_store_b128 v62, v[12:15]
	s_wait_loadcnt 0x2
	ds_store_b128 v66, v[16:19]
	;; [unrolled: 2-line block ×4, first 2 shown]
	s_wait_dscnt 0x0
	s_barrier_signal -1
	s_barrier_wait -1
	ds_load_b128 v[0:3], v59
	ds_load_b128 v[8:11], v59 offset:16
	v_ldexp_f32 v5, v6, v5
	ds_load_2addr_b64 v[12:15], v102 offset1:32
	v_cndmask_b32_e32 v5, 0, v5, vcc_lo
	v_cmp_nlt_f32_e32 vcc_lo, 0x42b17218, v4
	s_delay_alu instid0(VALU_DEP_2) | instskip(SKIP_3) | instid1(VALU_DEP_3)
	v_cndmask_b32_e32 v73, 0x7f800000, v5, vcc_lo
	s_wait_dscnt 0x2
	v_and_b32_e32 v16, 0xffff, v0
	v_lshrrev_b32_e32 v0, 16, v0
	v_cvt_f16_f32_e32 v4, v73
	v_and_b32_e32 v21, 0xffff, v1
	v_lshrrev_b32_e32 v1, 16, v1
	v_mul_u32_u24_e32 v16, 0x10001, v16
	v_mul_u32_u24_e32 v0, 0x10001, v0
	v_and_b32_e32 v17, 0xffff, v4
	ds_load_2addr_b64 v[4:7], v102 offset0:64 offset1:96
	v_mul_u32_u24_e32 v24, 0x10001, v21
	s_wait_dscnt 0x1
	v_pk_mul_f16 v12, v12, v16
	v_pk_mul_f16 v13, v13, v16
	v_mul_u32_u24_e32 v20, 0x10001, v17
	ds_load_2addr_b64 v[16:19], v102 offset0:128 offset1:160
	v_fmac_f32_e32 v87, v70, v73
	v_pk_fma_f16 v12, v104, v20, v12
	v_pk_fma_f16 v13, v103, v20, v13
	ds_load_2addr_b64 v[20:23], v102 offset0:192 offset1:224
	v_add_nc_u64_e32 v[104:105], v[80:81], v[32:33]
	ds_load_2addr_b64 v[78:81], v75 offset0:128 offset1:160
	v_pk_fma_f16 v12, v14, v0, v12
	v_pk_fma_f16 v0, v15, v0, v13
	v_and_b32_e32 v14, 0xffff, v2
	v_lshrrev_b32_e32 v2, 16, v2
	v_mul_u32_u24_e32 v1, 0x10001, v1
	s_wait_dscnt 0x3
	v_pk_fma_f16 v4, v4, v24, v12
	v_pk_fma_f16 v0, v5, v24, v0
	v_mul_u32_u24_e32 v5, 0x10001, v14
	ds_load_2addr_b64 v[24:27], v76 offset1:32
	v_mul_u32_u24_e32 v2, 0x10001, v2
	v_pk_fma_f16 v4, v6, v1, v4
	v_pk_fma_f16 v0, v7, v1, v0
	v_and_b32_e32 v1, 0xffff, v3
	v_and_b32_e32 v14, 0xffff, v8
	v_add_nc_u64_e32 v[12:13], s[24:25], v[48:49]
	s_wait_dscnt 0x3
	v_pk_fma_f16 v4, v16, v5, v4
	v_pk_fma_f16 v0, v17, v5, v0
	v_lshrrev_b32_e32 v5, 16, v3
	v_mul_u32_u24_e32 v6, 0x10001, v1
	s_delay_alu instid0(VALU_DEP_4) | instskip(NEXT) | instid1(VALU_DEP_4)
	v_pk_fma_f16 v4, v18, v2, v4
	v_pk_fma_f16 v7, v19, v2, v0
	ds_load_2addr_b64 v[0:3], v76 offset0:64 offset1:96
	v_and_b32_e32 v18, 0xffff, v9
	v_lshrrev_b32_e32 v9, 16, v9
	s_wait_dscnt 0x3
	v_pk_fma_f16 v4, v20, v6, v4
	v_pk_fma_f16 v6, v21, v6, v7
	v_lshrrev_b32_e32 v7, 16, v8
	v_mul_u32_u24_e32 v5, 0x10001, v5
	v_mul_u32_u24_e32 v8, 0x10001, v14
	ds_load_2addr_b64 v[14:17], v76 offset0:128 offset1:160
	v_add_nc_u64_e32 v[98:99], v[12:13], v[32:33]
	v_mul_u32_u24_e32 v19, 0x10001, v7
	v_pk_fma_f16 v4, v22, v5, v4
	v_pk_fma_f16 v5, v23, v5, v6
	v_mul_u32_u24_e32 v22, 0x10001, v18
	s_wait_dscnt 0x2
	s_delay_alu instid0(VALU_DEP_3) | instskip(NEXT) | instid1(VALU_DEP_3)
	v_pk_fma_f16 v20, v24, v8, v4
	v_pk_fma_f16 v8, v25, v8, v5
	ds_load_b128 v[4:7], v59 offset:32
	v_and_b32_e32 v24, 0xffff, v10
	v_pk_fma_f16 v23, v26, v19, v20
	v_pk_fma_f16 v8, v27, v19, v8
	ds_load_2addr_b64 v[18:21], v76 offset0:192 offset1:224
	s_wait_dscnt 0x3
	v_pk_fma_f16 v0, v0, v22, v23
	v_pk_fma_f16 v1, v1, v22, v8
	v_lshrrev_b32_e32 v8, 16, v10
	v_mul_u32_u24_e32 v9, 0x10001, v9
	v_mul_u32_u24_e32 v10, 0x10001, v24
	ds_load_2addr_b64 v[22:25], v75 offset1:32
	v_mul_u32_u24_e32 v8, 0x10001, v8
	v_pk_fma_f16 v0, v2, v9, v0
	v_pk_fma_f16 v1, v3, v9, v1
	v_and_b32_e32 v9, 0xffff, v11
	s_wait_dscnt 0x3
	s_delay_alu instid0(VALU_DEP_3) | instskip(NEXT) | instid1(VALU_DEP_3)
	v_pk_fma_f16 v14, v14, v10, v0
	v_pk_fma_f16 v10, v15, v10, v1
	ds_load_b128 v[0:3], v59 offset:48
	v_lshrrev_b32_e32 v15, 16, v11
	v_mul_u32_u24_e32 v26, 0x10001, v9
	v_pk_fma_f16 v14, v16, v8, v14
	v_pk_fma_f16 v16, v17, v8, v10
	ds_load_2addr_b64 v[8:11], v75 offset0:64 offset1:96
	s_wait_dscnt 0x4
	v_and_b32_e32 v17, 0xffff, v4
	v_lshrrev_b32_e32 v4, 16, v4
	v_mul_u32_u24_e32 v15, 0x10001, v15
	s_wait_dscnt 0x3
	v_pk_fma_f16 v14, v18, v26, v14
	v_pk_fma_f16 v16, v19, v26, v16
	v_mul_u32_u24_e32 v12, 0x10001, v17
	v_mul_u32_u24_e32 v4, 0x10001, v4
	v_and_b32_e32 v77, 0xffff, v6
	v_pk_fma_f16 v13, v20, v15, v14
	v_pk_fma_f16 v14, v21, v15, v16
	v_and_b32_e32 v15, 0xffff, v5
	v_lshrrev_b32_e32 v5, 16, v5
	s_wait_dscnt 0x2
	v_pk_fma_f16 v13, v22, v12, v13
	v_pk_fma_f16 v12, v23, v12, v14
	v_mul_u32_u24_e32 v14, 0x10001, v15
	v_mul_u32_u24_e32 v5, 0x10001, v5
	s_delay_alu instid0(VALU_DEP_4) | instskip(NEXT) | instid1(VALU_DEP_4)
	v_pk_fma_f16 v13, v24, v4, v13
	v_pk_fma_f16 v4, v25, v4, v12
	ds_load_2addr_b64 v[24:27], v75 offset0:192 offset1:224
	ds_load_2addr_b64 v[20:23], v74 offset1:32
	s_wait_dscnt 0x2
	v_pk_fma_f16 v8, v8, v14, v13
	v_pk_fma_f16 v4, v9, v14, v4
	ds_load_2addr_b64 v[16:19], v74 offset0:64 offset1:96
	ds_load_2addr_b64 v[12:15], v74 offset0:128 offset1:160
	v_pk_fma_f16 v85, v10, v5, v8
	v_pk_fma_f16 v4, v11, v5, v4
	v_lshrrev_b32_e32 v5, 16, v6
	v_mul_u32_u24_e32 v6, 0x10001, v77
	ds_load_2addr_b64 v[8:11], v74 offset0:192 offset1:224
	s_wait_dscnt 0x0
	s_barrier_signal -1
	s_barrier_wait -1
	v_pk_fma_f16 v77, v78, v6, v85
	v_pk_fma_f16 v4, v79, v6, v4
	s_clause 0x1
	global_load_b128 v[90:93], v[52:53], off
	global_load_b128 v[94:97], v[82:83], off
	s_wait_xcnt 0x1
	v_and_b32_e32 v52, 0xffff, v0
	v_lshrrev_b32_e32 v0, 16, v0
	v_mul_u32_u24_e32 v5, 0x10001, v5
	s_delay_alu instid0(VALU_DEP_2) | instskip(NEXT) | instid1(VALU_DEP_2)
	v_mul_u32_u24_e32 v0, 0x10001, v0
	v_pk_fma_f16 v6, v80, v5, v77
	v_pk_fma_f16 v4, v81, v5, v4
	s_clause 0x1
	global_load_b128 v[78:81], v[98:99], off
	global_load_b128 v[104:107], v[104:105], off
	v_and_b32_e32 v5, 0xffff, v7
	v_lshrrev_b32_e32 v7, 16, v7
	s_wait_loadcnt 0x3
	ds_store_b128 v62, v[90:93]
	s_wait_loadcnt 0x2
	ds_store_b128 v66, v[94:97]
	;; [unrolled: 2-line block ×4, first 2 shown]
	v_mul_u32_u24_e32 v5, 0x10001, v5
	v_mul_u32_u24_e32 v7, 0x10001, v7
	s_wait_dscnt 0x0
	s_barrier_signal -1
	s_barrier_wait -1
	v_pk_fma_f16 v6, v24, v5, v6
	v_pk_fma_f16 v4, v25, v5, v4
	v_mul_u32_u24_e32 v24, 0x10001, v52
	s_delay_alu instid0(VALU_DEP_3) | instskip(NEXT) | instid1(VALU_DEP_3)
	v_pk_fma_f16 v5, v26, v7, v6
	v_pk_fma_f16 v4, v27, v7, v4
	v_and_b32_e32 v6, 0xffff, v1
	v_lshrrev_b32_e32 v1, 16, v1
	v_and_b32_e32 v7, 0xffff, v2
	v_pk_fma_f16 v5, v20, v24, v5
	v_pk_fma_f16 v4, v21, v24, v4
	v_mul_u32_u24_e32 v6, 0x10001, v6
	v_lshrrev_b32_e32 v2, 16, v2
	v_mul_u32_u24_e32 v1, 0x10001, v1
	v_pk_fma_f16 v5, v22, v0, v5
	v_pk_fma_f16 v0, v23, v0, v4
	ds_load_b128 v[20:23], v59 offset:64
	v_mul_u32_u24_e32 v7, 0x10001, v7
	v_mul_u32_u24_e32 v2, 0x10001, v2
	v_pk_fma_f16 v4, v16, v6, v5
	v_pk_fma_f16 v0, v17, v6, v0
	v_and_b32_e32 v5, 0xffff, v3
	v_lshrrev_b32_e32 v3, 16, v3
	s_delay_alu instid0(VALU_DEP_4) | instskip(NEXT) | instid1(VALU_DEP_4)
	v_pk_fma_f16 v4, v18, v1, v4
	v_pk_fma_f16 v0, v19, v1, v0
	ds_load_2addr_b64 v[16:19], v102 offset1:32
	v_mul_u32_u24_e32 v6, 0x10001, v5
	v_pk_fma_f16 v1, v12, v7, v4
	v_pk_fma_f16 v0, v13, v7, v0
	v_mul_u32_u24_e32 v7, 0x10001, v3
	s_delay_alu instid0(VALU_DEP_3) | instskip(NEXT) | instid1(VALU_DEP_3)
	v_pk_fma_f16 v1, v14, v2, v1
	v_pk_fma_f16 v0, v15, v2, v0
	ds_load_b128 v[2:5], v59 offset:80
	ds_load_2addr_b64 v[12:15], v102 offset0:64 offset1:96
	v_pk_fma_f16 v1, v8, v6, v1
	s_wait_dscnt 0x3
	v_and_b32_e32 v8, 0xffff, v20
	v_pk_fma_f16 v0, v9, v6, v0
	s_delay_alu instid0(VALU_DEP_3) | instskip(SKIP_1) | instid1(VALU_DEP_4)
	v_pk_fma_f16 v1, v10, v7, v1
	v_lshrrev_b32_e32 v10, 16, v20
	v_mul_u32_u24_e32 v20, 0x10001, v8
	s_delay_alu instid0(VALU_DEP_4)
	v_pk_fma_f16 v0, v11, v7, v0
	ds_load_2addr_b64 v[6:9], v102 offset0:128 offset1:160
	v_and_b32_e32 v11, 0xffff, v21
	v_mul_u32_u24_e32 v10, 0x10001, v10
	s_wait_dscnt 0x3
	v_pk_fma_f16 v1, v16, v20, v1
	v_pk_fma_f16 v0, v17, v20, v0
	v_dual_lshrrev_b32 v20, 16, v21 :: v_dual_lshrrev_b32 v21, 16, v22
	v_mul_u32_u24_e32 v11, 0x10001, v11
	s_delay_alu instid0(VALU_DEP_4) | instskip(NEXT) | instid1(VALU_DEP_4)
	v_pk_fma_f16 v1, v18, v10, v1
	v_pk_fma_f16 v0, v19, v10, v0
	ds_load_2addr_b64 v[16:19], v102 offset0:192 offset1:224
	v_and_b32_e32 v10, 0xffff, v22
	v_mul_u32_u24_e32 v20, 0x10001, v20
	s_wait_dscnt 0x2
	v_pk_fma_f16 v1, v12, v11, v1
	v_pk_fma_f16 v0, v13, v11, v0
	v_mul_u32_u24_e32 v22, 0x10001, v10
	ds_load_2addr_b64 v[10:13], v76 offset1:32
	v_pk_fma_f16 v1, v14, v20, v1
	v_pk_fma_f16 v0, v15, v20, v0
	v_and_b32_e32 v14, 0xffff, v23
	v_mul_u32_u24_e32 v15, 0x10001, v21
	s_wait_dscnt 0x2
	v_pk_fma_f16 v1, v6, v22, v1
	v_pk_fma_f16 v0, v7, v22, v0
	v_lshrrev_b32_e32 v6, 16, v23
	v_mul_u32_u24_e32 v7, 0x10001, v14
	ds_load_2addr_b64 v[20:23], v76 offset0:64 offset1:96
	v_pk_fma_f16 v1, v8, v15, v1
	v_pk_fma_f16 v0, v9, v15, v0
	v_and_b32_e32 v8, 0xffff, v2
	v_lshrrev_b32_e32 v2, 16, v2
	v_mul_u32_u24_e32 v6, 0x10001, v6
	s_wait_dscnt 0x2
	v_pk_fma_f16 v1, v16, v7, v1
	v_pk_fma_f16 v0, v17, v7, v0
	v_mul_u32_u24_e32 v7, 0x10001, v8
	ds_load_2addr_b64 v[14:17], v76 offset0:128 offset1:160
	v_mul_u32_u24_e32 v2, 0x10001, v2
	v_pk_fma_f16 v1, v18, v6, v1
	v_pk_fma_f16 v0, v19, v6, v0
	v_and_b32_e32 v18, 0xffff, v3
	v_lshrrev_b32_e32 v3, 16, v3
	s_wait_dscnt 0x2
	v_pk_fma_f16 v1, v10, v7, v1
	v_pk_fma_f16 v0, v11, v7, v0
	v_mul_u32_u24_e32 v18, 0x10001, v18
	ds_load_b128 v[6:9], v59 offset:96
	v_pk_fma_f16 v1, v12, v2, v1
	v_pk_fma_f16 v0, v13, v2, v0
	ds_load_2addr_b64 v[10:13], v76 offset0:192 offset1:224
	v_and_b32_e32 v2, 0xffff, v4
	v_lshrrev_b32_e32 v4, 16, v4
	v_mul_u32_u24_e32 v3, 0x10001, v3
	s_wait_dscnt 0x3
	v_pk_fma_f16 v1, v20, v18, v1
	v_pk_fma_f16 v0, v21, v18, v0
	v_mul_u32_u24_e32 v2, 0x10001, v2
	ds_load_2addr_b64 v[18:21], v75 offset1:32
	v_mul_u32_u24_e32 v4, 0x10001, v4
	v_pk_fma_f16 v1, v22, v3, v1
	v_pk_fma_f16 v0, v23, v3, v0
	v_and_b32_e32 v22, 0xffff, v5
	s_wait_dscnt 0x3
	s_delay_alu instid0(VALU_DEP_3) | instskip(NEXT) | instid1(VALU_DEP_3)
	v_pk_fma_f16 v14, v14, v2, v1
	v_pk_fma_f16 v15, v15, v2, v0
	ds_load_b128 v[0:3], v59 offset:112
	v_lshrrev_b32_e32 v5, 16, v5
	v_mul_u32_u24_e32 v22, 0x10001, v22
	v_pk_fma_f16 v23, v16, v4, v14
	v_pk_fma_f16 v4, v17, v4, v15
	ds_load_2addr_b64 v[14:17], v75 offset0:64 offset1:96
	s_wait_dscnt 0x4
	v_and_b32_e32 v24, 0xffff, v6
	v_lshrrev_b32_e32 v6, 16, v6
	v_mul_u32_u24_e32 v5, 0x10001, v5
	s_wait_dscnt 0x3
	v_pk_fma_f16 v10, v10, v22, v23
	v_pk_fma_f16 v4, v11, v22, v4
	v_mul_u32_u24_e32 v22, 0x10001, v24
	v_mul_u32_u24_e32 v6, 0x10001, v6
	v_and_b32_e32 v26, 0xffff, v9
	v_pk_fma_f16 v23, v12, v5, v10
	v_pk_fma_f16 v4, v13, v5, v4
	ds_load_2addr_b64 v[10:13], v75 offset0:128 offset1:160
	v_and_b32_e32 v5, 0xffff, v7
	v_lshrrev_b32_e32 v27, 16, v9
	s_wait_dscnt 0x3
	v_pk_fma_f16 v18, v18, v22, v23
	v_pk_fma_f16 v4, v19, v22, v4
	v_lshrrev_b32_e32 v19, 16, v7
	v_mul_u32_u24_e32 v22, 0x10001, v5
	v_and_b32_e32 v23, 0xffff, v8
	v_pk_fma_f16 v18, v20, v6, v18
	v_pk_fma_f16 v20, v21, v6, v4
	ds_load_2addr_b64 v[4:7], v75 offset0:192 offset1:224
	v_lshrrev_b32_e32 v8, 16, v8
	v_mul_u32_u24_e32 v24, 0x10001, v19
	s_wait_dscnt 0x2
	v_pk_fma_f16 v14, v14, v22, v18
	v_pk_fma_f16 v15, v15, v22, v20
	v_mul_u32_u24_e32 v22, 0x10001, v23
	ds_load_2addr_b64 v[18:21], v74 offset1:32
	v_mul_u32_u24_e32 v8, 0x10001, v8
	v_pk_fma_f16 v23, v16, v24, v14
	v_pk_fma_f16 v24, v17, v24, v15
	v_mul_u32_u24_e32 v26, 0x10001, v26
	ds_load_2addr_b64 v[14:17], v74 offset0:64 offset1:96
	v_and_b32_e32 v52, 0xffff, v0
	s_wait_dscnt 0x3
	v_pk_fma_f16 v10, v10, v22, v23
	v_pk_fma_f16 v11, v11, v22, v24
	v_lshrrev_b32_e32 v0, 16, v0
	v_mul_u32_u24_e32 v27, 0x10001, v27
	ds_load_2addr_b64 v[22:25], v74 offset0:128 offset1:160
	v_pk_fma_f16 v12, v12, v8, v10
	v_pk_fma_f16 v13, v13, v8, v11
	v_mul_u32_u24_e32 v0, 0x10001, v0
	ds_load_2addr_b64 v[8:11], v74 offset0:192 offset1:224
	s_wait_dscnt 0x0
	v_pk_fma_f16 v4, v4, v26, v12
	v_pk_fma_f16 v5, v5, v26, v13
	v_mul_u32_u24_e32 v12, 0x10001, v52
	s_barrier_signal -1
	s_barrier_wait -1
	v_pk_fma_f16 v4, v6, v27, v4
	v_pk_fma_f16 v5, v7, v27, v5
	v_and_b32_e32 v6, 0xffff, v1
	v_lshrrev_b32_e32 v1, 16, v1
	s_delay_alu instid0(VALU_DEP_4) | instskip(NEXT) | instid1(VALU_DEP_4)
	v_pk_fma_f16 v4, v18, v12, v4
	v_pk_fma_f16 v5, v19, v12, v5
	s_delay_alu instid0(VALU_DEP_4) | instskip(SKIP_1) | instid1(VALU_DEP_3)
	v_mul_u32_u24_e32 v6, 0x10001, v6
	s_load_b32 s15, s[20:21], 0x4
	v_pk_fma_f16 v4, v20, v0, v4
	s_delay_alu instid0(VALU_DEP_3)
	v_pk_fma_f16 v0, v21, v0, v5
	v_and_b32_e32 v5, 0xffff, v2
	v_lshrrev_b32_e32 v2, 16, v2
	v_mul_u32_u24_e32 v1, 0x10001, v1
	v_pk_fma_f16 v4, v14, v6, v4
	v_pk_fma_f16 v0, v15, v6, v0
	v_mul_u32_u24_e32 v5, 0x10001, v5
	v_mul_u32_u24_e32 v2, 0x10001, v2
	s_delay_alu instid0(VALU_DEP_4) | instskip(NEXT) | instid1(VALU_DEP_4)
	v_pk_fma_f16 v4, v16, v1, v4
	v_pk_fma_f16 v0, v17, v1, v0
	v_and_b32_e32 v1, 0xffff, v3
	v_lshrrev_b32_e32 v3, 16, v3
	s_delay_alu instid0(VALU_DEP_4) | instskip(NEXT) | instid1(VALU_DEP_4)
	v_pk_fma_f16 v4, v22, v5, v4
	v_pk_fma_f16 v0, v23, v5, v0
	s_delay_alu instid0(VALU_DEP_4)
	v_mul_u32_u24_e32 v1, 0x10001, v1
	s_wait_kmcnt 0x0
	s_lshl_b32 s15, s15, 6
	v_pk_fma_f16 v4, v24, v2, v4
	v_pk_fma_f16 v0, v25, v2, v0
	v_mul_u32_u24_e32 v2, 0x10001, v3
	s_add_co_i32 s14, s15, s14
	s_delay_alu instid0(VALU_DEP_3) | instskip(NEXT) | instid1(VALU_DEP_3)
	v_pk_fma_f16 v3, v8, v1, v4
	v_pk_fma_f16 v0, v9, v1, v0
	s_cmp_lt_i32 s14, s3
	s_delay_alu instid0(VALU_DEP_2) | instskip(NEXT) | instid1(VALU_DEP_2)
	v_pk_fma_f16 v104, v10, v2, v3
	v_pk_fma_f16 v103, v11, v2, v0
	s_cbranch_scc0 .LBB90_24
; %bb.22:                               ;   in Loop: Header=BB90_8 Depth=1
	v_dual_mov_b32 v8, v88 :: v_dual_mov_b32 v70, v87
	s_branch .LBB90_8
.LBB90_23:
	v_dual_mov_b32 v103, 0 :: v_dual_mov_b32 v88, 0xfeffffff
	v_mov_b32_e32 v104, 0
.LBB90_24:
	s_cmp_gt_i32 s2, s14
	s_cbranch_scc1 .LBB90_27
; %bb.25:
	v_mbcnt_lo_u32_b32 v1, -1, 0
	v_mov_b32_e32 v0, 32
	s_delay_alu instid0(VALU_DEP_2)
	v_xor_b32_e32 v105, 16, v1
	v_xor_b32_e32 v85, 8, v1
	;; [unrolled: 1-line block ×5, first 2 shown]
	s_cbranch_execz .LBB90_28
; %bb.26:
	v_mov_b32_e32 v89, v1
	s_branch .LBB90_47
.LBB90_27:
                                        ; implicit-def: $vgpr1
                                        ; implicit-def: $vgpr0
                                        ; implicit-def: $vgpr105
                                        ; implicit-def: $vgpr85
                                        ; implicit-def: $vgpr106
                                        ; implicit-def: $vgpr107
                                        ; implicit-def: $vgpr108
.LBB90_28:
	v_lshl_add_u32 v24, v29, 2, v57
	s_ashr_i32 s15, s14, 31
	s_ashr_i32 s5, s4, 31
	s_mov_b32 s36, 0
	s_mul_u64 s[20:21], s[14:15], s[4:5]
	v_mul_lo_u32 v4, s4, v24
	s_lshl_b64 s[20:21], s[20:21], 2
	v_dual_mov_b32 v2, 0 :: v_dual_lshlrev_b32 v3, 20, v89
	s_add_nc_u64 s[20:21], s[6:7], s[20:21]
	s_mov_b32 s37, s36
	s_mov_b32 s38, s36
	v_mov_b32_e32 v7, 0
	v_add_nc_u64_e32 v[8:9], src_flat_scratch_base_lo, v[2:3]
	s_sub_co_i32 s7, s2, s14
	v_add_nc_u32_e32 v18, 16, v24
	v_dual_ashrrev_i32 v5, 31, v4 :: v_dual_lshlrev_b32 v6, 2, v30
	v_cmp_gt_i32_e64 s2, s7, v24
	s_lshl_b32 s4, s4, 4
	v_cmp_gt_i32_e32 vcc_lo, s7, v18
	v_lshl_add_u64 v[0:1], v[4:5], 2, s[20:21]
	v_add_nc_u32_e32 v20, s4, v4
	s_delay_alu instid0(VALU_DEP_2) | instskip(SKIP_1) | instid1(VALU_DEP_3)
	v_add_nc_u64_e32 v[12:13], v[0:1], v[6:7]
	v_dual_mov_b32 v0, s36 :: v_dual_mov_b32 v1, s37
	v_dual_mov_b32 v2, s38 :: v_dual_ashrrev_i32 v21, 31, v20
	s_clause 0x1
	scratch_store_b32 off, v7, off
	scratch_store_b96 off, v[0:2], off offset:4
	v_dual_cndmask_b32 v11, v9, v13, s2 :: v_dual_cndmask_b32 v10, v8, v12, s2
	v_lshl_add_u64 v[4:5], v[20:21], 2, s[20:21]
	v_add_nc_u64_e32 v[12:13], 0x80, v[12:13]
	flat_load_b128 v[14:17], v[10:11]
	s_wait_xcnt 0x0
	v_add_nc_u64_e32 v[10:11], v[4:5], v[6:7]
	v_mad_u32_u24 v4, 0x90, v24, v6
	s_clause 0x1
	scratch_store_b32 off, v7, off
	scratch_store_b96 off, v[0:2], off offset:4
	v_dual_add_nc_u32 v5, 32, v24 :: v_dual_cndmask_b32 v13, v9, v13, s2
	v_dual_cndmask_b32 v19, v9, v11 :: v_dual_cndmask_b32 v18, v8, v10
	s_delay_alu instid0(VALU_DEP_2) | instskip(SKIP_3) | instid1(VALU_DEP_3)
	v_cmp_gt_i32_e64 s3, s7, v5
	v_add_nc_u32_e32 v22, s4, v20
	v_add_nc_u32_e32 v5, 48, v24
	v_add_nc_u64_e32 v[10:11], 0x80, v[10:11]
	v_dual_cndmask_b32 v12, v8, v12, s2 :: v_dual_ashrrev_i32 v23, 31, v22
	s_delay_alu instid0(VALU_DEP_2)
	v_cndmask_b32_e32 v11, v9, v11, vcc_lo
	s_wait_loadcnt_dscnt 0x0
	ds_store_b128 v4, v[14:17]
	flat_load_b128 v[16:19], v[18:19]
	v_lshl_add_u64 v[14:15], v[22:23], 2, s[20:21]
	s_clause 0x1
	scratch_store_b32 off, v7, off
	scratch_store_b96 off, v[0:2], off offset:4
	v_add_nc_u64_e32 v[14:15], v[14:15], v[6:7]
	s_delay_alu instid0(VALU_DEP_1) | instskip(SKIP_1) | instid1(VALU_DEP_1)
	v_dual_cndmask_b32 v21, v9, v15, s3 :: v_dual_cndmask_b32 v20, v8, v14, s3
	v_add_nc_u64_e32 v[14:15], 0x80, v[14:15]
	v_dual_cndmask_b32 v10, v8, v10, vcc_lo :: v_dual_cndmask_b32 v15, v9, v15, s3
	s_wait_loadcnt_dscnt 0x0
	ds_store_b128 v4, v[16:19] offset:2304
	flat_load_b128 v[18:21], v[20:21]
	v_add_nc_u32_e32 v16, s4, v22
	v_cmp_gt_i32_e64 s4, s7, v5
	s_clause 0x1
	scratch_store_b32 off, v7, off
	scratch_store_b96 off, v[0:2], off offset:4
	v_dual_mov_b32 v5, v7 :: v_dual_cndmask_b32 v14, v8, v14, s3
	v_ashrrev_i32_e32 v17, 31, v16
	s_delay_alu instid0(VALU_DEP_1) | instskip(NEXT) | instid1(VALU_DEP_1)
	v_lshl_add_u64 v[16:17], v[16:17], 2, s[20:21]
	v_add_nc_u64_e32 v[16:17], v[16:17], v[6:7]
	s_delay_alu instid0(VALU_DEP_1) | instskip(NEXT) | instid1(VALU_DEP_2)
	v_dual_mov_b32 v6, v7 :: v_dual_cndmask_b32 v23, v9, v17, s4
	v_cndmask_b32_e64 v22, v8, v16, s4
	s_wait_loadcnt_dscnt 0x0
	ds_store_b128 v4, v[18:21] offset:4608
	flat_load_b128 v[18:21], v[22:23]
	s_wait_loadcnt_dscnt 0x0
	ds_store_b128 v4, v[18:21] offset:6912
	s_wait_storecnt_dscnt 0x0
	s_barrier_signal -1
	s_barrier_wait -1
	ds_load_b128 v[18:21], v56
	s_wait_xcnt 0x0
	ds_load_b128 v[22:25], v55
	ds_load_b128 v[32:35], v56 offset:4608
	s_wait_dscnt 0x1
	;;#ASMSTART
	v_dot2_f32_f16 v6, v18, v22, v6
	;;#ASMEND
	;;#ASMSTART
	v_dot2_f32_f16 v6, v19, v23, v6
	;;#ASMEND
	;;#ASMSTART
	v_dot2_f32_f16 v6, v20, v24, v6
	;;#ASMEND
	;;#ASMSTART
	v_dot2_f32_f16 v6, v21, v25, v6
	;;#ASMEND
	s_wait_dscnt 0x0
	;;#ASMSTART
	v_dot2_f32_f16 v5, v32, v22, v5
	;;#ASMEND
	;;#ASMSTART
	v_dot2_f32_f16 v5, v33, v23, v5
	;;#ASMEND
	;;#ASMSTART
	v_dot2_f32_f16 v5, v34, v24, v5
	;;#ASMEND
	;;#ASMSTART
	v_dot2_f32_f16 v5, v35, v25, v5
	;;#ASMEND
	ds_load_b128 v[18:21], v56 offset:16
	ds_load_b128 v[22:25], v55 offset:16
	ds_load_b128 v[32:35], v56 offset:4624
	s_wait_dscnt 0x1
	;;#ASMSTART
	v_dot2_f32_f16 v6, v18, v22, v6
	;;#ASMEND
	;;#ASMSTART
	v_dot2_f32_f16 v6, v19, v23, v6
	;;#ASMEND
	;;#ASMSTART
	v_dot2_f32_f16 v6, v20, v24, v6
	;;#ASMEND
	;;#ASMSTART
	v_dot2_f32_f16 v6, v21, v25, v6
	;;#ASMEND
	s_wait_dscnt 0x0
	;;#ASMSTART
	v_dot2_f32_f16 v5, v32, v22, v5
	;;#ASMEND
	;;#ASMSTART
	v_dot2_f32_f16 v5, v33, v23, v5
	;;#ASMEND
	;;#ASMSTART
	v_dot2_f32_f16 v5, v34, v24, v5
	;;#ASMEND
	;;#ASMSTART
	v_dot2_f32_f16 v5, v35, v25, v5
	;;#ASMEND
	ds_load_b128 v[18:21], v56 offset:32
	ds_load_b128 v[22:25], v55 offset:32
	;; [unrolled: 29-line block ×7, first 2 shown]
	ds_load_b128 v[32:35], v56 offset:4720
	s_wait_dscnt 0x1
	;;#ASMSTART
	v_dot2_f32_f16 v6, v18, v22, v6
	;;#ASMEND
	;;#ASMSTART
	v_dot2_f32_f16 v6, v19, v23, v6
	;;#ASMEND
	;; [unrolled: 3-line block ×4, first 2 shown]
	s_wait_dscnt 0x0
	;;#ASMSTART
	v_dot2_f32_f16 v5, v32, v22, v5
	;;#ASMEND
	;;#ASMSTART
	v_dot2_f32_f16 v5, v33, v23, v5
	;;#ASMEND
	;; [unrolled: 3-line block ×4, first 2 shown]
	s_barrier_signal -1
	s_barrier_wait -1
	s_clause 0x1
	scratch_store_b32 off, v7, off
	scratch_store_b96 off, v[0:2], off offset:4
	flat_load_b128 v[18:21], v[12:13]
	s_clause 0x1
	scratch_store_b32 off, v7, off
	scratch_store_b96 off, v[0:2], off offset:4
	s_wait_loadcnt_dscnt 0x0
	ds_store_b128 v4, v[18:21]
	flat_load_b128 v[10:13], v[10:11]
	s_clause 0x1
	scratch_store_b32 off, v7, off
	scratch_store_b96 off, v[0:2], off offset:4
	s_wait_loadcnt_dscnt 0x0
	ds_store_b128 v4, v[10:13] offset:2304
	flat_load_b128 v[10:13], v[14:15]
	s_wait_xcnt 0x0
	v_add_nc_u64_e32 v[14:15], 0x80, v[16:17]
	s_clause 0x1
	scratch_store_b32 off, v7, off
	scratch_store_b96 off, v[0:2], off offset:4
                                        ; implicit-def: $vgpr0
	v_dual_cndmask_b32 v9, v9, v15, s4 :: v_dual_cndmask_b32 v8, v8, v14, s4
	s_wait_loadcnt_dscnt 0x0
	ds_store_b128 v4, v[10:13] offset:4608
	flat_load_b128 v[8:11], v[8:9]
	s_wait_loadcnt_dscnt 0x0
	ds_store_b128 v4, v[8:11] offset:6912
	s_wait_storecnt_dscnt 0x0
	s_barrier_signal -1
	s_barrier_wait -1
	s_wait_xcnt 0x0
	ds_load_b128 v[8:11], v56
	ds_load_b128 v[12:15], v55 offset:128
	ds_load_b128 v[16:19], v56 offset:4608
	s_wait_dscnt 0x1
	;;#ASMSTART
	v_dot2_f32_f16 v6, v8, v12, v6
	;;#ASMEND
	;;#ASMSTART
	v_dot2_f32_f16 v6, v9, v13, v6
	;;#ASMEND
	;;#ASMSTART
	v_dot2_f32_f16 v6, v10, v14, v6
	;;#ASMEND
	;;#ASMSTART
	v_dot2_f32_f16 v6, v11, v15, v6
	;;#ASMEND
	s_wait_dscnt 0x0
	;;#ASMSTART
	v_dot2_f32_f16 v5, v16, v12, v5
	;;#ASMEND
	;;#ASMSTART
	v_dot2_f32_f16 v5, v17, v13, v5
	;;#ASMEND
	;;#ASMSTART
	v_dot2_f32_f16 v5, v18, v14, v5
	;;#ASMEND
	;;#ASMSTART
	v_dot2_f32_f16 v5, v19, v15, v5
	;;#ASMEND
	ds_load_b128 v[8:11], v56 offset:16
	ds_load_b128 v[12:15], v55 offset:144
	ds_load_b128 v[16:19], v56 offset:4624
	s_wait_dscnt 0x1
	;;#ASMSTART
	v_dot2_f32_f16 v6, v8, v12, v6
	;;#ASMEND
	;;#ASMSTART
	v_dot2_f32_f16 v6, v9, v13, v6
	;;#ASMEND
	;;#ASMSTART
	v_dot2_f32_f16 v6, v10, v14, v6
	;;#ASMEND
	;;#ASMSTART
	v_dot2_f32_f16 v6, v11, v15, v6
	;;#ASMEND
	s_wait_dscnt 0x0
	;;#ASMSTART
	v_dot2_f32_f16 v5, v16, v12, v5
	;;#ASMEND
	;;#ASMSTART
	v_dot2_f32_f16 v5, v17, v13, v5
	;;#ASMEND
	;;#ASMSTART
	v_dot2_f32_f16 v5, v18, v14, v5
	;;#ASMEND
	;;#ASMSTART
	v_dot2_f32_f16 v5, v19, v15, v5
	;;#ASMEND
	ds_load_b128 v[8:11], v56 offset:32
	;; [unrolled: 29-line block ×7, first 2 shown]
	ds_load_b128 v[12:15], v55 offset:240
	ds_load_b128 v[16:19], v56 offset:4720
	s_wait_dscnt 0x1
	;;#ASMSTART
	v_dot2_f32_f16 v6, v8, v12, v6
	;;#ASMEND
	;;#ASMSTART
	v_dot2_f32_f16 v6, v9, v13, v6
	;;#ASMEND
	;; [unrolled: 3-line block ×4, first 2 shown]
	v_cmp_ngt_f32_e64 s2, 0x3f200000, |v6|
	s_wait_dscnt 0x0
	;;#ASMSTART
	v_dot2_f32_f16 v5, v16, v12, v5
	;;#ASMEND
	;;#ASMSTART
	v_dot2_f32_f16 v5, v17, v13, v5
	;;#ASMEND
	;; [unrolled: 3-line block ×4, first 2 shown]
	s_and_saveexec_b32 s3, s2
	s_delay_alu instid0(SALU_CYCLE_1)
	s_xor_b32 s2, exec_lo, s3
	s_cbranch_execz .LBB90_30
; %bb.29:
	v_add_f32_e64 v0, |v6|, |v6|
	s_delay_alu instid0(VALU_DEP_1) | instskip(SKIP_1) | instid1(VALU_DEP_2)
	v_mul_f32_e32 v1, 0x3fb8aa3b, v0
	v_cmp_ngt_f32_e32 vcc_lo, 0xc2ce8ed0, v0
	v_rndne_f32_e32 v2, v1
	v_fma_f32 v4, 0x3fb8aa3b, v0, -v1
	s_delay_alu instid0(VALU_DEP_1) | instskip(SKIP_1) | instid1(VALU_DEP_2)
	v_dual_sub_f32 v1, v1, v2 :: v_dual_fmamk_f32 v4, v0, 0x32a5705f, v4
	v_cvt_i32_f32_e32 v2, v2
	v_add_f32_e32 v1, v1, v4
	s_delay_alu instid0(VALU_DEP_1) | instskip(SKIP_1) | instid1(TRANS32_DEP_1)
	v_exp_f32_e32 v1, v1
	v_nop
	v_ldexp_f32 v1, v1, v2
	s_delay_alu instid0(VALU_DEP_1) | instskip(SKIP_1) | instid1(VALU_DEP_2)
	v_cndmask_b32_e32 v1, 0, v1, vcc_lo
	v_cmp_nlt_f32_e32 vcc_lo, 0x42b17218, v0
	v_cndmask_b32_e32 v0, 0x7f800000, v1, vcc_lo
	s_delay_alu instid0(VALU_DEP_1) | instskip(NEXT) | instid1(VALU_DEP_1)
	v_add_f32_e32 v0, 1.0, v0
	v_rcp_f32_e32 v0, v0
	v_nop
	s_delay_alu instid0(TRANS32_DEP_1)
	v_fma_f32 v0, v0, -2.0, 1.0
.LBB90_30:
	s_and_not1_saveexec_b32 s2, s2
	s_cbranch_execz .LBB90_32
; %bb.31:
	v_mul_f32_e32 v0, v6, v6
	s_mov_b32 s3, 0xbbbac73d
	s_delay_alu instid0(VALU_DEP_1) | instid1(SALU_CYCLE_1)
	v_fmaak_f32 v1, s3, v0, 0x3ca908c9
	s_delay_alu instid0(VALU_DEP_1) | instskip(NEXT) | instid1(VALU_DEP_1)
	v_fmaak_f32 v1, v0, v1, 0xbd5c1c4e
	v_fmaak_f32 v1, v0, v1, 0x3e088382
	s_delay_alu instid0(VALU_DEP_1) | instskip(NEXT) | instid1(VALU_DEP_1)
	v_fmaak_f32 v1, v0, v1, 0xbeaaaa99
	v_mul_f32_e64 v1, |v6|, v1
	s_delay_alu instid0(VALU_DEP_1)
	v_fma_f32 v0, v0, v1, |v6|
.LBB90_32:
	s_or_b32 exec_lo, exec_lo, s2
	v_mad_u32 v4, v86, s34, s14
	s_delay_alu instid0(VALU_DEP_2) | instskip(SKIP_3) | instid1(VALU_DEP_1)
	v_bfi_b32 v0, 0x7fffffff, v0, v6
	s_cmp_lg_u64 s[30:31], 0
	s_mov_b32 s2, exec_lo
	s_cselect_b32 s3, -1, 0
	v_dual_mov_b32 v2, v88 :: v_dual_mul_f32 v0, s35, v0
	v_cndmask_b32_e64 v6, 0, 1, s3
	v_cmpx_gt_i32_e64 s7, v84
	s_cbranch_execz .LBB90_37
; %bb.33:
	s_and_not1_b32 vcc_lo, exec_lo, s3
	s_cbranch_vccnz .LBB90_35
; %bb.34:
	v_add_nc_u32_e32 v1, v4, v84
	global_load_u16 v1, v1, s[30:31] scale_offset
	s_wait_loadcnt 0x0
	v_cvt_f32_f16_e32 v1, v1
	s_delay_alu instid0(VALU_DEP_1)
	v_mul_f32_e32 v1, v31, v1
	s_branch .LBB90_36
.LBB90_35:
	v_mov_b32_e32 v1, 0
.LBB90_36:
	v_max_num_f32_e32 v2, v88, v88
	s_delay_alu instid0(VALU_DEP_2) | instskip(NEXT) | instid1(VALU_DEP_1)
	v_add_f32_e32 v0, v0, v1
	v_add_f32_e32 v1, 0x40051340, v0
	s_delay_alu instid0(VALU_DEP_1)
	v_max_num_f32_e32 v2, v2, v1
.LBB90_37:
	s_or_b32 exec_lo, exec_lo, s2
	v_cmp_ngt_f32_e64 s2, 0x3f200000, |v5|
                                        ; implicit-def: $vgpr1
	s_and_saveexec_b32 s3, s2
	s_delay_alu instid0(SALU_CYCLE_1)
	s_xor_b32 s2, exec_lo, s3
	s_cbranch_execz .LBB90_39
; %bb.38:
	v_add_f32_e64 v1, |v5|, |v5|
	s_delay_alu instid0(VALU_DEP_1) | instskip(SKIP_1) | instid1(VALU_DEP_2)
	v_mul_f32_e32 v7, 0x3fb8aa3b, v1
	v_cmp_ngt_f32_e32 vcc_lo, 0xc2ce8ed0, v1
	v_rndne_f32_e32 v8, v7
	v_fma_f32 v9, 0x3fb8aa3b, v1, -v7
	s_delay_alu instid0(VALU_DEP_2) | instskip(NEXT) | instid1(VALU_DEP_2)
	v_sub_f32_e32 v7, v7, v8
	v_fmamk_f32 v9, v1, 0x32a5705f, v9
	v_cvt_i32_f32_e32 v8, v8
	s_delay_alu instid0(VALU_DEP_2) | instskip(NEXT) | instid1(VALU_DEP_1)
	v_add_f32_e32 v7, v7, v9
	v_exp_f32_e32 v7, v7
	v_nop
	s_delay_alu instid0(TRANS32_DEP_1) | instskip(NEXT) | instid1(VALU_DEP_1)
	v_ldexp_f32 v7, v7, v8
	v_cndmask_b32_e32 v7, 0, v7, vcc_lo
	v_cmp_nlt_f32_e32 vcc_lo, 0x42b17218, v1
	s_delay_alu instid0(VALU_DEP_2) | instskip(NEXT) | instid1(VALU_DEP_1)
	v_cndmask_b32_e32 v1, 0x7f800000, v7, vcc_lo
	v_add_f32_e32 v1, 1.0, v1
	s_delay_alu instid0(VALU_DEP_1) | instskip(SKIP_1) | instid1(TRANS32_DEP_1)
	v_rcp_f32_e32 v1, v1
	v_nop
	v_fma_f32 v1, v1, -2.0, 1.0
.LBB90_39:
	s_and_not1_saveexec_b32 s2, s2
	s_cbranch_execz .LBB90_41
; %bb.40:
	v_mul_f32_e32 v1, v5, v5
	s_mov_b32 s3, 0xbbbac73d
	s_delay_alu instid0(VALU_DEP_1) | instid1(SALU_CYCLE_1)
	v_fmaak_f32 v7, s3, v1, 0x3ca908c9
	s_delay_alu instid0(VALU_DEP_1) | instskip(NEXT) | instid1(VALU_DEP_1)
	v_fmaak_f32 v7, v1, v7, 0xbd5c1c4e
	v_fmaak_f32 v7, v1, v7, 0x3e088382
	s_delay_alu instid0(VALU_DEP_1) | instskip(NEXT) | instid1(VALU_DEP_1)
	v_fmaak_f32 v7, v1, v7, 0xbeaaaa99
	v_mul_f32_e64 v7, |v5|, v7
	s_delay_alu instid0(VALU_DEP_1)
	v_fma_f32 v1, v1, v7, |v5|
.LBB90_41:
	s_or_b32 exec_lo, exec_lo, s2
	s_delay_alu instid0(VALU_DEP_1) | instskip(SKIP_2) | instid1(VALU_DEP_2)
	v_bfi_b32 v1, 0x7fffffff, v1, v5
	v_add_nc_u32_e32 v7, 32, v84
	s_mov_b32 s2, exec_lo
	v_mul_f32_e32 v1, s35, v1
	s_delay_alu instid0(VALU_DEP_2)
	v_cmpx_gt_i32_e64 s7, v7
	s_cbranch_execz .LBB90_46
; %bb.42:
	v_cmp_ne_u32_e32 vcc_lo, 1, v6
	s_cbranch_vccnz .LBB90_44
; %bb.43:
	v_dual_ashrrev_i32 v5, 31, v4 :: v_dual_mov_b32 v85, 0
	s_delay_alu instid0(VALU_DEP_1) | instskip(NEXT) | instid1(VALU_DEP_1)
	v_add_nc_u64_e32 v[4:5], v[4:5], v[84:85]
	v_lshl_add_u64 v[4:5], v[4:5], 1, s[30:31]
	global_load_u16 v4, v[4:5], off offset:64
	s_wait_loadcnt 0x0
	v_cvt_f32_f16_e32 v4, v4
	s_delay_alu instid0(VALU_DEP_1)
	v_mul_f32_e32 v4, v31, v4
	s_branch .LBB90_45
.LBB90_44:
	v_mov_b32_e32 v4, 0
.LBB90_45:
	s_delay_alu instid0(VALU_DEP_1) | instskip(NEXT) | instid1(VALU_DEP_1)
	v_dual_add_f32 v1, v1, v4 :: v_dual_max_num_f32 v2, v2, v2
	v_add_f32_e32 v4, 0x40051340, v1
	s_delay_alu instid0(VALU_DEP_1)
	v_max_num_f32_e32 v2, v2, v4
.LBB90_46:
	s_or_b32 exec_lo, exec_lo, s2
	v_xor_b32_e32 v105, 16, v89
	v_lshl_add_u32 v6, v29, 1, v54
	s_mov_b32 s4, 0
	s_ashr_i32 s11, s10, 31
	s_mov_b32 s5, s4
	v_cmp_gt_i32_e32 vcc_lo, 32, v105
	s_mov_b32 s6, s4
	s_mul_u64 s[2:3], s[14:15], s[10:11]
	s_delay_alu instid0(SALU_CYCLE_1) | instskip(SKIP_4) | instid1(VALU_DEP_1)
	s_lshl_b64 s[2:3], s[2:3], 2
	v_cndmask_b32_e32 v4, v89, v105, vcc_lo
	s_add_nc_u64 s[2:3], s[8:9], s[2:3]
	s_barrier_signal -1
	s_barrier_wait -1
	v_lshlrev_b32_e32 v4, 2, v4
	v_add_nc_u32_e32 v113, 0x1000, v102
	v_xor_b32_e32 v107, 2, v89
	v_dual_lshlrev_b32 v109, 7, v29 :: v_dual_lshlrev_b32 v90, 2, v28
	ds_bpermute_b32 v4, v4, v2
	v_dual_max_num_f32 v2, v2, v2 :: v_dual_bitop2_b32 v85, 8, v89 bitop3:0x14
	v_lshlrev_b32_e32 v12, 1, v84
	v_lshl_or_b32 v115, v6, 8, v90
	v_dual_mov_b32 v91, 0 :: v_dual_mov_b32 v42, s6
	v_dual_mov_b32 v41, s5 :: v_dual_add_nc_u32 v116, 16, v6
	v_add_nc_u32_e32 v118, 24, v6
	s_delay_alu instid0(VALU_DEP_2) | instskip(NEXT) | instid1(VALU_DEP_2)
	v_lshl_or_b32 v117, v116, 8, v90
	v_lshl_or_b32 v120, v118, 8, v90
	s_wait_dscnt 0x0
	v_max_num_f32_e32 v4, v4, v4
	v_cmp_gt_i32_e32 vcc_lo, 32, v85
	s_delay_alu instid0(VALU_DEP_2) | instskip(NEXT) | instid1(VALU_DEP_1)
	v_dual_max_num_f32 v2, v2, v4 :: v_dual_cndmask_b32 v5, v89, v85
	v_lshlrev_b32_e32 v5, 2, v5
	ds_bpermute_b32 v4, v5, v2
	s_wait_dscnt 0x0
	v_dual_max_num_f32 v4, v4, v4 :: v_dual_bitop2_b32 v106, 4, v89 bitop3:0x14
	s_delay_alu instid0(VALU_DEP_1) | instskip(NEXT) | instid1(VALU_DEP_2)
	v_max_num_f32_e32 v2, v2, v4
	v_cmp_gt_i32_e32 vcc_lo, 32, v106
	v_cndmask_b32_e32 v5, v89, v106, vcc_lo
	v_cmp_gt_i32_e32 vcc_lo, 32, v107
	s_delay_alu instid0(VALU_DEP_2) | instskip(SKIP_3) | instid1(VALU_DEP_1)
	v_lshlrev_b32_e32 v5, 2, v5
	ds_bpermute_b32 v4, v5, v2
	s_wait_dscnt 0x0
	v_dual_max_num_f32 v4, v4, v4 :: v_dual_cndmask_b32 v5, v89, v107
	v_dual_max_num_f32 v2, v2, v4 :: v_dual_lshlrev_b32 v5, 2, v5
	ds_bpermute_b32 v4, v5, v2
	s_wait_dscnt 0x0
	v_dual_max_num_f32 v4, v4, v4 :: v_dual_bitop2_b32 v108, 1, v89 bitop3:0x14
	s_delay_alu instid0(VALU_DEP_1) | instskip(NEXT) | instid1(VALU_DEP_2)
	v_max_num_f32_e32 v2, v2, v4
	v_cmp_gt_i32_e32 vcc_lo, 32, v108
	v_cndmask_b32_e32 v5, v89, v108, vcc_lo
	s_delay_alu instid0(VALU_DEP_1) | instskip(SKIP_3) | instid1(VALU_DEP_1)
	v_lshlrev_b32_e32 v5, 2, v5
	ds_bpermute_b32 v4, v5, v2
	s_wait_dscnt 0x0
	v_max_num_f32_e32 v4, v4, v4
	v_dual_max_num_f32 v86, v2, v4 :: v_dual_mov_b32 v2, 0
	s_delay_alu instid0(VALU_DEP_1) | instskip(SKIP_1) | instid1(VALU_DEP_3)
	v_dual_sub_f32 v10, v0, v86 :: v_dual_sub_f32 v11, v1, v86
	v_mul_lo_u32 v0, s10, v6
	v_add_nc_u64_e32 v[92:93], src_flat_scratch_base_lo, v[2:3]
	v_sub_f32_e32 v88, v88, v86
	s_delay_alu instid0(VALU_DEP_4) | instskip(SKIP_1) | instid1(VALU_DEP_2)
	v_dual_mul_f32 v1, 0x3fb8aa3b, v10 :: v_dual_mul_f32 v4, 0x3fb8aa3b, v11
	v_cmp_ngt_f32_e32 vcc_lo, 0xc2ce8ed0, v10
	v_fma_f32 v5, 0x3fb8aa3b, v10, -v1
	v_rndne_f32_e32 v8, v1
	s_delay_alu instid0(VALU_DEP_4) | instskip(SKIP_1) | instid1(VALU_DEP_4)
	v_fma_f32 v9, 0x3fb8aa3b, v11, -v4
	v_rndne_f32_e32 v13, v4
	v_fmac_f32_e32 v5, 0x32a5705f, v10
	s_delay_alu instid0(VALU_DEP_4) | instskip(NEXT) | instid1(VALU_DEP_3)
	v_sub_f32_e32 v1, v1, v8
	v_dual_fmac_f32 v9, 0x32a5705f, v11 :: v_dual_sub_f32 v4, v4, v13
	v_cvt_i32_f32_e32 v8, v8
	s_delay_alu instid0(VALU_DEP_3) | instskip(NEXT) | instid1(VALU_DEP_3)
	v_dual_add_f32 v5, v1, v5 :: v_dual_ashrrev_i32 v1, 31, v0
	v_add_f32_e32 v4, v4, v9
	s_delay_alu instid0(VALU_DEP_2) | instskip(NEXT) | instid1(VALU_DEP_1)
	v_exp_f32_e32 v9, v5
	v_exp_f32_e32 v14, v4
	v_nop
	v_lshlrev_b64_e32 v[4:5], 2, v[0:1]
	v_cvt_i32_f32_e32 v1, v13
	s_delay_alu instid0(TRANS32_DEP_2)
	v_ldexp_f32 v13, v9, v8
	v_mov_b32_e32 v40, s4
	s_delay_alu instid0(TRANS32_DEP_1) | instid1(VALU_DEP_3)
	v_ldexp_f32 v1, v14, v1
	v_add_nc_u64_e32 v[8:9], s[2:3], v[4:5]
	s_lshl_b32 s4, s10, 3
	v_cndmask_b32_e32 v13, 0, v13, vcc_lo
	v_cmp_ngt_f32_e32 vcc_lo, 0xc2ce8ed0, v11
	s_clause 0x1
	scratch_store_b32 off, v91, off
	scratch_store_b96 off, v[40:42], off offset:4
	v_add_nc_u64_e32 v[2:3], v[8:9], v[90:91]
	v_cndmask_b32_e32 v1, 0, v1, vcc_lo
	v_cmp_nlt_f32_e32 vcc_lo, 0x42b17218, v10
	v_cndmask_b32_e32 v10, 0x7f800000, v13, vcc_lo
	v_cmp_nlt_f32_e32 vcc_lo, 0x42b17218, v11
	s_delay_alu instid0(VALU_DEP_4) | instskip(SKIP_1) | instid1(VALU_DEP_4)
	v_cndmask_b32_e32 v1, 0x7f800000, v1, vcc_lo
	v_cmp_gt_u32_e32 vcc_lo, s7, v84
	v_cndmask_b32_e32 v110, 0, v10, vcc_lo
	v_cmp_gt_u32_e32 vcc_lo, s7, v7
	s_delay_alu instid0(VALU_DEP_2)
	v_cvt_f16_f32_e32 v7, v110
	v_cndmask_b32_e32 v111, 0, v1, vcc_lo
	v_cmp_gt_i32_e32 vcc_lo, s7, v6
	v_add3_u32 v1, 0x2800, v109, v12
	v_dual_add_nc_u32 v12, s4, v0 :: v_dual_cndmask_b32 v2, v92, v2, vcc_lo
	v_cndmask_b32_e32 v3, v93, v3, vcc_lo
	v_cvt_f16_f32_e32 v8, v111
	ds_store_b16 v1, v7
	ds_store_b16 v1, v8 offset:64
	flat_load_b128 v[8:11], v[2:3]
	v_ashrrev_i32_e32 v13, 31, v12
	s_clause 0x1
	scratch_store_b32 off, v91, off
	scratch_store_b96 off, v[40:42], off offset:4
	v_lshlrev_b64_e32 v[94:95], 2, v[12:13]
	s_delay_alu instid0(VALU_DEP_1) | instskip(NEXT) | instid1(VALU_DEP_1)
	v_add_nc_u64_e32 v[0:1], s[2:3], v[94:95]
	v_add_nc_u64_e32 v[0:1], v[0:1], v[90:91]
	v_add_nc_u32_e32 v43, 8, v6
	s_delay_alu instid0(VALU_DEP_1) | instskip(NEXT) | instid1(VALU_DEP_3)
	v_cmp_gt_i32_e32 vcc_lo, s7, v43
	v_cndmask_b32_e32 v1, v93, v1, vcc_lo
	v_lshl_or_b32 v114, v43, 8, v90
	s_wait_loadcnt_dscnt 0x0
	ds_store_b128 v115, v[8:11]
	v_add_nc_u32_e32 v8, s4, v12
	s_delay_alu instid0(VALU_DEP_1) | instskip(NEXT) | instid1(VALU_DEP_1)
	v_ashrrev_i32_e32 v9, 31, v8
	v_lshlrev_b64_e32 v[96:97], 2, v[8:9]
	s_delay_alu instid0(VALU_DEP_1) | instskip(NEXT) | instid1(VALU_DEP_1)
	v_add_nc_u64_e32 v[10:11], s[2:3], v[96:97]
	v_add_nc_u64_e32 v[10:11], v[10:11], v[90:91]
	v_cndmask_b32_e32 v0, v92, v0, vcc_lo
	v_cmp_gt_i32_e32 vcc_lo, s7, v116
	s_delay_alu instid0(VALU_DEP_3)
	v_cndmask_b32_e32 v11, v93, v11, vcc_lo
	flat_load_b128 v[0:3], v[0:1]
	v_cndmask_b32_e32 v10, v92, v10, vcc_lo
	s_clause 0x1
	scratch_store_b32 off, v91, off
	scratch_store_b96 off, v[40:42], off offset:4
	v_add_nc_u32_e32 v8, s4, v8
	v_cmp_gt_i32_e32 vcc_lo, s7, v118
	s_sub_co_i32 s4, s7, 32
	s_delay_alu instid0(VALU_DEP_2) | instskip(NEXT) | instid1(VALU_DEP_1)
	v_ashrrev_i32_e32 v9, 31, v8
	v_lshlrev_b64_e32 v[98:99], 2, v[8:9]
	s_delay_alu instid0(VALU_DEP_1) | instskip(SKIP_1) | instid1(SALU_CYCLE_1)
	v_add_nc_u64_e32 v[8:9], s[2:3], v[98:99]
	s_or_b32 s2, s14, 32
	s_ashr_i32 s3, s2, 31
	s_delay_alu instid0(SALU_CYCLE_1) | instskip(NEXT) | instid1(VALU_DEP_1)
	s_mul_u64 s[2:3], s[2:3], s[10:11]
	v_add_nc_u64_e32 v[8:9], v[8:9], v[90:91]
	s_lshl_b64 s[2:3], s[2:3], 2
	s_delay_alu instid0(SALU_CYCLE_1) | instskip(NEXT) | instid1(SALU_CYCLE_1)
	s_add_nc_u64 s[2:3], s[8:9], s[2:3]
	v_add_nc_u64_e32 v[4:5], s[2:3], v[4:5]
	v_add_nc_u64_e32 v[94:95], s[2:3], v[94:95]
	s_delay_alu instid0(VALU_DEP_3)
	v_dual_cndmask_b32 v9, v93, v9 :: v_dual_cndmask_b32 v8, v92, v8
	v_cmp_gt_i32_e32 vcc_lo, s4, v6
	v_add_nc_u64_e32 v[98:99], s[2:3], v[98:99]
	v_add_nc_u64_e32 v[4:5], v[4:5], v[90:91]
	v_add_nc_u32_e32 v119, 0x800, v102
	v_add_nc_u32_e32 v112, 0x1800, v102
	v_add_nc_u64_e32 v[94:95], v[94:95], v[90:91]
	v_add_nc_u64_e32 v[98:99], v[98:99], v[90:91]
	v_dual_cndmask_b32 v123, v93, v5 :: v_dual_cndmask_b32 v122, v92, v4
	v_cmp_gt_i32_e32 vcc_lo, s4, v43
	s_delay_alu instid0(VALU_DEP_4)
	v_dual_cndmask_b32 v95, v93, v95 :: v_dual_cndmask_b32 v94, v92, v94
	v_cmp_gt_i32_e32 vcc_lo, s4, v116
	s_wait_loadcnt_dscnt 0x0
	ds_store_b128 v114, v[0:3]
	flat_load_b128 v[0:3], v[10:11]
	s_clause 0x1
	scratch_store_b32 off, v91, off
	scratch_store_b96 off, v[40:42], off offset:4
	s_wait_loadcnt_dscnt 0x0
	ds_store_b128 v117, v[0:3]
	flat_load_b128 v[0:3], v[8:9]
	s_wait_loadcnt_dscnt 0x0
	ds_store_b128 v120, v[0:3]
	s_wait_storecnt_dscnt 0x0
	s_barrier_signal -1
	s_barrier_wait -1
	ds_load_2addr_b64 v[76:79], v102 offset1:32
	ds_load_b128 v[64:67], v109 offset:10240
	ds_load_b128 v[24:27], v109 offset:10256
	ds_load_2addr_b64 v[80:83], v102 offset0:64 offset1:96
	ds_load_b128 v[16:19], v109 offset:10272
	ds_load_b128 v[4:7], v109 offset:10288
	ds_load_2addr_b64 v[72:75], v102 offset0:128 offset1:160
	ds_load_2addr_b64 v[52:55], v102 offset0:192 offset1:224
	ds_load_2addr_b64 v[68:71], v119 offset1:32
	ds_load_2addr_b64 v[60:63], v119 offset0:64 offset1:96
	ds_load_2addr_b64 v[56:59], v119 offset0:128 offset1:160
	ds_load_2addr_b64 v[48:51], v119 offset0:192 offset1:224
	ds_load_2addr_b64 v[44:47], v113 offset1:32
	ds_load_2addr_b64 v[36:39], v113 offset0:64 offset1:96
	;; [unrolled: 4-line block ×3, first 2 shown]
	s_wait_xcnt 0x0
	ds_load_2addr_b64 v[8:11], v112 offset0:128 offset1:160
	ds_load_2addr_b64 v[0:3], v112 offset0:192 offset1:224
	s_wait_dscnt 0x0
	s_barrier_signal -1
	s_barrier_wait -1
	s_clause 0x1
	scratch_store_b32 off, v91, off
	scratch_store_b96 off, v[40:42], off offset:4
	flat_load_b128 v[122:125], v[122:123]
	s_wait_loadcnt_dscnt 0x0
	ds_store_b128 v115, v[122:125]
	s_clause 0x1
	scratch_store_b32 off, v91, off
	scratch_store_b96 off, v[40:42], off offset:4
	flat_load_b128 v[122:125], v[94:95]
	s_wait_xcnt 0x0
	v_add_nc_u64_e32 v[94:95], s[2:3], v[96:97]
	s_clause 0x1
	scratch_store_b32 off, v91, off
	scratch_store_b96 off, v[40:42], off offset:4
	v_add_nc_u64_e32 v[94:95], v[94:95], v[90:91]
	s_delay_alu instid0(VALU_DEP_1) | instskip(NEXT) | instid1(VALU_DEP_2)
	v_dual_mul_f32 v90, 0x3fb8aa3b, v88 :: v_dual_cndmask_b32 v95, v93, v95
	v_cndmask_b32_e32 v94, v92, v94, vcc_lo
	v_cmp_gt_i32_e32 vcc_lo, s4, v118
	v_dual_cndmask_b32 v93, v93, v99 :: v_dual_cndmask_b32 v92, v92, v98
	s_wait_loadcnt_dscnt 0x0
	ds_store_b128 v114, v[122:125]
	flat_load_b128 v[94:97], v[94:95]
	s_clause 0x1
	scratch_store_b96 off, v[40:42], off offset:4
	scratch_store_b32 off, v91, off
	s_wait_xcnt 0x0
	v_fma_f32 v91, 0x3fb8aa3b, v88, -v90
	s_delay_alu instid0(VALU_DEP_1)
	v_fmac_f32_e32 v91, 0x32a5705f, v88
	s_wait_loadcnt_dscnt 0x0
	ds_store_b128 v117, v[94:97]
	flat_load_b128 v[40:43], v[92:93]
	s_wait_xcnt 0x0
	v_rndne_f32_e32 v92, v90
	s_delay_alu instid0(VALU_DEP_1) | instskip(NEXT) | instid1(VALU_DEP_1)
	v_sub_f32_e32 v90, v90, v92
	v_add_f32_e32 v90, v90, v91
	v_cvt_i32_f32_e32 v91, v92
	v_cmp_ngt_f32_e32 vcc_lo, 0xc2ce8ed0, v88
	v_and_b32_e32 v92, 0xffff, v65
	v_lshrrev_b32_e32 v65, 16, v65
	v_exp_f32_e32 v90, v90
	s_delay_alu instid0(VALU_DEP_1) | instskip(NEXT) | instid1(TRANS32_DEP_1)
	v_mul_u32_u24_e32 v65, 0x10001, v65
	v_ldexp_f32 v90, v90, v91
	v_and_b32_e32 v91, 0xffff, v64
	s_delay_alu instid0(VALU_DEP_2) | instskip(SKIP_1) | instid1(VALU_DEP_3)
	v_dual_lshrrev_b32 v64, 16, v64 :: v_dual_cndmask_b32 v90, 0, v90, vcc_lo
	v_cmp_nlt_f32_e32 vcc_lo, 0x42b17218, v88
	v_mul_u32_u24_e32 v91, 0x10001, v91
	s_delay_alu instid0(VALU_DEP_3) | instskip(NEXT) | instid1(VALU_DEP_4)
	v_mul_u32_u24_e32 v64, 0x10001, v64
	v_cndmask_b32_e32 v88, 0x7f800000, v90, vcc_lo
	s_delay_alu instid0(VALU_DEP_3) | instskip(SKIP_2) | instid1(VALU_DEP_4)
	v_pk_mul_f16 v76, v76, v91
	v_pk_mul_f16 v77, v77, v91
	v_mul_u32_u24_e32 v91, 0x10001, v92
	v_cvt_f16_f32_e32 v90, v88
	s_delay_alu instid0(VALU_DEP_1) | instskip(NEXT) | instid1(VALU_DEP_1)
	v_and_b32_e32 v90, 0xffff, v90
	v_mul_u32_u24_e32 v90, 0x10001, v90
	s_delay_alu instid0(VALU_DEP_1) | instskip(SKIP_1) | instid1(VALU_DEP_2)
	v_pk_fma_f16 v76, v104, v90, v76
	v_pk_fma_f16 v77, v103, v90, v77
	;; [unrolled: 1-line block ×3, first 2 shown]
	s_delay_alu instid0(VALU_DEP_2) | instskip(SKIP_2) | instid1(VALU_DEP_4)
	v_pk_fma_f16 v64, v79, v64, v77
	v_and_b32_e32 v78, 0xffff, v66
	v_lshrrev_b32_e32 v66, 16, v66
	v_pk_fma_f16 v76, v80, v91, v76
	s_delay_alu instid0(VALU_DEP_4) | instskip(NEXT) | instid1(VALU_DEP_4)
	v_pk_fma_f16 v64, v81, v91, v64
	v_mul_u32_u24_e32 v77, 0x10001, v78
	v_and_b32_e32 v78, 0xffff, v67
	v_mul_u32_u24_e32 v66, 0x10001, v66
	v_pk_fma_f16 v76, v82, v65, v76
	v_pk_fma_f16 v64, v83, v65, v64
	v_lshrrev_b32_e32 v67, 16, v67
	s_delay_alu instid0(VALU_DEP_3) | instskip(NEXT) | instid1(VALU_DEP_3)
	v_pk_fma_f16 v65, v72, v77, v76
	v_pk_fma_f16 v64, v73, v77, v64
	v_mul_u32_u24_e32 v72, 0x10001, v78
	v_and_b32_e32 v73, 0xffff, v24
	v_mul_u32_u24_e32 v67, 0x10001, v67
	v_pk_fma_f16 v65, v74, v66, v65
	v_pk_fma_f16 v64, v75, v66, v64
	v_lshrrev_b32_e32 v24, 16, v24
	s_delay_alu instid0(VALU_DEP_3) | instskip(NEXT) | instid1(VALU_DEP_3)
	v_pk_fma_f16 v52, v52, v72, v65
	v_pk_fma_f16 v53, v53, v72, v64
	v_mul_u32_u24_e32 v65, 0x10001, v73
	s_delay_alu instid0(VALU_DEP_3) | instskip(NEXT) | instid1(VALU_DEP_3)
	v_pk_fma_f16 v52, v54, v67, v52
	v_pk_fma_f16 v53, v55, v67, v53
	v_and_b32_e32 v54, 0xffff, v25
	v_lshrrev_b32_e32 v25, 16, v25
	v_mul_u32_u24_e32 v24, 0x10001, v24
	v_pk_fma_f16 v52, v68, v65, v52
	v_pk_fma_f16 v53, v69, v65, v53
	v_mul_u32_u24_e32 v54, 0x10001, v54
	v_and_b32_e32 v55, 0xffff, v26
	v_mul_u32_u24_e32 v25, 0x10001, v25
	v_pk_fma_f16 v52, v70, v24, v52
	v_pk_fma_f16 v24, v71, v24, v53
	v_lshrrev_b32_e32 v26, 16, v26
	v_mul_u32_u24_e32 v53, 0x10001, v55
	s_delay_alu instid0(VALU_DEP_4) | instskip(NEXT) | instid1(VALU_DEP_4)
	v_pk_fma_f16 v52, v60, v54, v52
	v_pk_fma_f16 v24, v61, v54, v24
	v_and_b32_e32 v54, 0xffff, v27
	v_lshrrev_b32_e32 v27, 16, v27
	v_mul_u32_u24_e32 v26, 0x10001, v26
	v_pk_fma_f16 v52, v62, v25, v52
	v_pk_fma_f16 v24, v63, v25, v24
	s_delay_alu instid0(VALU_DEP_4) | instskip(NEXT) | instid1(VALU_DEP_3)
	v_mul_u32_u24_e32 v27, 0x10001, v27
	v_pk_fma_f16 v25, v56, v53, v52
	s_delay_alu instid0(VALU_DEP_3)
	v_pk_fma_f16 v24, v57, v53, v24
	v_mul_u32_u24_e32 v52, 0x10001, v54
	v_and_b32_e32 v53, 0xffff, v16
	v_lshrrev_b32_e32 v16, 16, v16
	v_pk_fma_f16 v25, v58, v26, v25
	v_pk_fma_f16 v24, v59, v26, v24
	s_delay_alu instid0(VALU_DEP_4) | instskip(NEXT) | instid1(VALU_DEP_3)
	v_mul_u32_u24_e32 v26, 0x10001, v53
	v_pk_fma_f16 v25, v48, v52, v25
	s_delay_alu instid0(VALU_DEP_3)
	v_pk_fma_f16 v24, v49, v52, v24
	v_and_b32_e32 v48, 0xffff, v17
	v_lshrrev_b32_e32 v17, 16, v17
	v_mul_u32_u24_e32 v16, 0x10001, v16
	v_pk_fma_f16 v25, v50, v27, v25
	v_pk_fma_f16 v24, v51, v27, v24
	v_mul_u32_u24_e32 v27, 0x10001, v48
	v_mul_u32_u24_e32 v17, 0x10001, v17
	s_delay_alu instid0(VALU_DEP_4) | instskip(NEXT) | instid1(VALU_DEP_4)
	v_pk_fma_f16 v25, v44, v26, v25
	v_pk_fma_f16 v24, v45, v26, v24
	v_and_b32_e32 v26, 0xffff, v18
	v_lshrrev_b32_e32 v18, 16, v18
	s_delay_alu instid0(VALU_DEP_4) | instskip(NEXT) | instid1(VALU_DEP_4)
	v_pk_fma_f16 v25, v46, v16, v25
	v_pk_fma_f16 v16, v47, v16, v24
	s_delay_alu instid0(VALU_DEP_2) | instskip(NEXT) | instid1(VALU_DEP_2)
	v_pk_fma_f16 v24, v36, v27, v25
	v_pk_fma_f16 v16, v37, v27, v16
	v_mul_u32_u24_e32 v25, 0x10001, v26
	v_and_b32_e32 v26, 0xffff, v19
	v_lshrrev_b32_e32 v19, 16, v19
	v_pk_fma_f16 v24, v38, v17, v24
	v_pk_fma_f16 v16, v39, v17, v16
	v_mul_u32_u24_e32 v18, 0x10001, v18
	s_delay_alu instid0(VALU_DEP_4) | instskip(NEXT) | instid1(VALU_DEP_4)
	v_mul_u32_u24_e32 v19, 0x10001, v19
	v_pk_fma_f16 v17, v32, v25, v24
	s_delay_alu instid0(VALU_DEP_4)
	v_pk_fma_f16 v16, v33, v25, v16
	v_mul_u32_u24_e32 v24, 0x10001, v26
	v_and_b32_e32 v25, 0xffff, v4
	v_lshrrev_b32_e32 v4, 16, v4
	v_pk_fma_f16 v17, v34, v18, v17
	v_pk_fma_f16 v16, v35, v18, v16
	s_delay_alu instid0(VALU_DEP_4) | instskip(NEXT) | instid1(VALU_DEP_3)
	v_mul_u32_u24_e32 v18, 0x10001, v25
	v_pk_fma_f16 v17, v28, v24, v17
	s_delay_alu instid0(VALU_DEP_3)
	v_pk_fma_f16 v16, v29, v24, v16
	v_and_b32_e32 v24, 0xffff, v5
	v_lshrrev_b32_e32 v5, 16, v5
	v_mul_u32_u24_e32 v4, 0x10001, v4
	v_pk_fma_f16 v17, v30, v19, v17
	v_pk_fma_f16 v16, v31, v19, v16
	v_and_b32_e32 v19, 0xffff, v6
	v_mul_u32_u24_e32 v5, 0x10001, v5
	v_lshrrev_b32_e32 v6, 16, v6
	v_pk_fma_f16 v17, v20, v18, v17
	v_pk_fma_f16 v16, v21, v18, v16
	v_mul_u32_u24_e32 v20, 0x10001, v24
	v_mul_u32_u24_e32 v21, 0x10001, v19
	s_delay_alu instid0(VALU_DEP_4) | instskip(NEXT) | instid1(VALU_DEP_4)
	v_pk_fma_f16 v17, v22, v4, v17
	v_pk_fma_f16 v4, v23, v4, v16
	s_delay_alu instid0(VALU_DEP_2) | instskip(NEXT) | instid1(VALU_DEP_2)
	v_pk_fma_f16 v12, v12, v20, v17
	v_pk_fma_f16 v4, v13, v20, v4
	v_and_b32_e32 v13, 0xffff, v7
	v_lshrrev_b32_e32 v7, 16, v7
	v_mul_u32_u24_e32 v6, 0x10001, v6
	v_pk_fma_f16 v12, v14, v5, v12
	v_pk_fma_f16 v4, v15, v5, v4
	v_mul_u32_u24_e32 v20, 0x10001, v13
	s_delay_alu instid0(VALU_DEP_3) | instskip(NEXT) | instid1(VALU_DEP_3)
	v_pk_fma_f16 v5, v8, v21, v12
	v_pk_fma_f16 v4, v9, v21, v4
	v_mul_u32_u24_e32 v21, 0x10001, v7
	s_delay_alu instid0(VALU_DEP_3) | instskip(NEXT) | instid1(VALU_DEP_3)
	v_pk_fma_f16 v5, v10, v6, v5
	v_pk_fma_f16 v22, v11, v6, v4
	s_delay_alu instid0(VALU_DEP_2) | instskip(NEXT) | instid1(VALU_DEP_2)
	v_pk_fma_f16 v0, v0, v20, v5
	v_pk_fma_f16 v1, v1, v20, v22
	s_delay_alu instid0(VALU_DEP_2) | instskip(NEXT) | instid1(VALU_DEP_2)
	v_pk_fma_f16 v20, v2, v21, v0
	v_pk_fma_f16 v21, v3, v21, v1
	s_wait_loadcnt_dscnt 0x0
	ds_store_b128 v120, v[40:43]
	s_wait_storecnt_dscnt 0x0
	s_barrier_signal -1
	s_barrier_wait -1
	ds_load_b128 v[16:19], v109 offset:10304
	ds_load_2addr_b64 v[12:15], v102 offset1:32
	ds_load_2addr_b64 v[8:11], v102 offset0:64 offset1:96
	ds_load_b128 v[4:7], v109 offset:10320
	ds_load_2addr_b64 v[0:3], v102 offset0:128 offset1:160
	s_wait_dscnt 0x4
	v_and_b32_e32 v23, 0xffff, v16
	v_lshrrev_b32_e32 v16, 16, v16
	s_delay_alu instid0(VALU_DEP_2) | instskip(SKIP_2) | instid1(VALU_DEP_4)
	v_mul_u32_u24_e32 v22, 0x10001, v23
	v_and_b32_e32 v23, 0xffff, v17
	v_lshrrev_b32_e32 v17, 16, v17
	v_mul_u32_u24_e32 v16, 0x10001, v16
	s_wait_dscnt 0x3
	v_pk_fma_f16 v12, v12, v22, v20
	v_pk_fma_f16 v13, v13, v22, v21
	v_mul_u32_u24_e32 v20, 0x10001, v23
	v_and_b32_e32 v22, 0xffff, v18
	v_mul_u32_u24_e32 v17, 0x10001, v17
	v_pk_fma_f16 v21, v14, v16, v12
	v_pk_fma_f16 v16, v15, v16, v13
	ds_load_2addr_b64 v[12:15], v102 offset0:192 offset1:224
	s_wait_dscnt 0x3
	v_pk_fma_f16 v8, v8, v20, v21
	v_pk_fma_f16 v9, v9, v20, v16
	v_lshrrev_b32_e32 v16, 16, v18
	v_mul_u32_u24_e32 v18, 0x10001, v22
	v_and_b32_e32 v21, 0xffff, v19
	v_pk_fma_f16 v20, v10, v17, v8
	v_pk_fma_f16 v17, v11, v17, v9
	ds_load_2addr_b64 v[8:11], v119 offset1:32
	s_wait_dscnt 0x3
	v_and_b32_e32 v22, 0xffff, v6
	v_mul_u32_u24_e32 v21, 0x10001, v21
	s_wait_dscnt 0x2
	v_pk_fma_f16 v0, v0, v18, v20
	v_pk_fma_f16 v1, v1, v18, v17
	v_lshrrev_b32_e32 v20, 16, v19
	v_mul_u32_u24_e32 v16, 0x10001, v16
	v_lshrrev_b32_e32 v6, 16, v6
	s_delay_alu instid0(VALU_DEP_2)
	v_pk_fma_f16 v0, v2, v16, v0
	v_pk_fma_f16 v1, v3, v16, v1
	ds_load_2addr_b64 v[16:19], v119 offset0:64 offset1:96
	v_and_b32_e32 v2, 0xffff, v4
	v_mul_u32_u24_e32 v3, 0x10001, v20
	s_wait_dscnt 0x2
	v_pk_fma_f16 v0, v12, v21, v0
	v_pk_fma_f16 v1, v13, v21, v1
	v_lshrrev_b32_e32 v4, 16, v4
	v_mul_u32_u24_e32 v2, 0x10001, v2
	v_and_b32_e32 v20, 0xffff, v5
	v_pk_fma_f16 v0, v14, v3, v0
	v_pk_fma_f16 v1, v15, v3, v1
	ds_load_2addr_b64 v[12:15], v119 offset0:128 offset1:160
	v_lshrrev_b32_e32 v5, 16, v5
	v_mul_u32_u24_e32 v4, 0x10001, v4
	s_wait_dscnt 0x2
	v_pk_fma_f16 v8, v8, v2, v0
	v_pk_fma_f16 v9, v9, v2, v1
	v_mul_u32_u24_e32 v20, 0x10001, v20
	ds_load_b128 v[0:3], v109 offset:10336
	v_mul_u32_u24_e32 v5, 0x10001, v5
	v_pk_fma_f16 v21, v10, v4, v8
	v_pk_fma_f16 v4, v11, v4, v9
	ds_load_2addr_b64 v[8:11], v119 offset0:192 offset1:224
	s_wait_dscnt 0x3
	v_pk_fma_f16 v16, v16, v20, v21
	v_pk_fma_f16 v4, v17, v20, v4
	v_mul_u32_u24_e32 v20, 0x10001, v22
	s_delay_alu instid0(VALU_DEP_3) | instskip(NEXT) | instid1(VALU_DEP_3)
	v_pk_fma_f16 v21, v18, v5, v16
	v_pk_fma_f16 v4, v19, v5, v4
	ds_load_2addr_b64 v[16:19], v113 offset1:32
	v_and_b32_e32 v5, 0xffff, v7
	s_wait_dscnt 0x3
	v_pk_fma_f16 v12, v12, v20, v21
	v_pk_fma_f16 v4, v13, v20, v4
	v_lshrrev_b32_e32 v13, 16, v7
	v_mul_u32_u24_e32 v6, 0x10001, v6
	v_mul_u32_u24_e32 v24, 0x10001, v5
	ds_load_2addr_b64 v[20:23], v113 offset0:64 offset1:96
	v_mul_u32_u24_e32 v13, 0x10001, v13
	v_pk_fma_f16 v12, v14, v6, v12
	v_pk_fma_f16 v14, v15, v6, v4
	ds_load_b128 v[4:7], v109 offset:10352
	s_wait_dscnt 0x4
	v_and_b32_e32 v15, 0xffff, v0
	v_lshrrev_b32_e32 v0, 16, v0
	s_wait_dscnt 0x3
	v_pk_fma_f16 v8, v8, v24, v12
	v_pk_fma_f16 v9, v9, v24, v14
	v_mul_u32_u24_e32 v12, 0x10001, v15
	v_and_b32_e32 v15, 0xffff, v1
	s_delay_alu instid0(VALU_DEP_4) | instskip(NEXT) | instid1(VALU_DEP_4)
	v_pk_fma_f16 v14, v10, v13, v8
	v_pk_fma_f16 v13, v11, v13, v9
	ds_load_2addr_b64 v[8:11], v113 offset0:128 offset1:160
	v_lshrrev_b32_e32 v1, 16, v1
	v_mul_u32_u24_e32 v0, 0x10001, v0
	s_wait_dscnt 0x3
	v_pk_fma_f16 v14, v16, v12, v14
	v_pk_fma_f16 v12, v17, v12, v13
	v_mul_u32_u24_e32 v16, 0x10001, v15
	v_mul_u32_u24_e32 v1, 0x10001, v1
	s_delay_alu instid0(VALU_DEP_4) | instskip(NEXT) | instid1(VALU_DEP_4)
	v_pk_fma_f16 v17, v18, v0, v14
	v_pk_fma_f16 v0, v19, v0, v12
	ds_load_2addr_b64 v[12:15], v113 offset0:192 offset1:224
	v_and_b32_e32 v18, 0xffff, v2
	v_lshrrev_b32_e32 v2, 16, v2
	s_wait_dscnt 0x3
	v_pk_fma_f16 v17, v20, v16, v17
	v_pk_fma_f16 v0, v21, v16, v0
	v_mul_u32_u24_e32 v20, 0x10001, v18
	s_delay_alu instid0(VALU_DEP_3) | instskip(NEXT) | instid1(VALU_DEP_3)
	v_pk_fma_f16 v21, v22, v1, v17
	v_pk_fma_f16 v0, v23, v1, v0
	ds_load_2addr_b64 v[16:19], v112 offset1:32
	v_and_b32_e32 v1, 0xffff, v3
	s_wait_dscnt 0x2
	v_pk_fma_f16 v8, v8, v20, v21
	v_pk_fma_f16 v0, v9, v20, v0
	v_lshrrev_b32_e32 v9, 16, v3
	v_mul_u32_u24_e32 v2, 0x10001, v2
	v_mul_u32_u24_e32 v20, 0x10001, v1
	s_delay_alu instid0(VALU_DEP_3) | instskip(NEXT) | instid1(VALU_DEP_3)
	v_mul_u32_u24_e32 v9, 0x10001, v9
	v_pk_fma_f16 v8, v10, v2, v8
	v_pk_fma_f16 v10, v11, v2, v0
	ds_load_2addr_b64 v[0:3], v112 offset0:64 offset1:96
	v_and_b32_e32 v11, 0xffff, v4
	v_lshrrev_b32_e32 v4, 16, v4
	s_wait_dscnt 0x2
	v_pk_fma_f16 v8, v12, v20, v8
	v_pk_fma_f16 v10, v13, v20, v10
	v_mul_u32_u24_e32 v12, 0x10001, v11
	s_delay_alu instid0(VALU_DEP_3) | instskip(NEXT) | instid1(VALU_DEP_3)
	v_pk_fma_f16 v13, v14, v9, v8
	v_pk_fma_f16 v14, v15, v9, v10
	ds_load_2addr_b64 v[8:11], v112 offset0:128 offset1:160
	v_and_b32_e32 v15, 0xffff, v5
	v_lshrrev_b32_e32 v5, 16, v5
	v_mul_u32_u24_e32 v4, 0x10001, v4
	s_wait_dscnt 0x2
	v_pk_fma_f16 v13, v16, v12, v13
	v_pk_fma_f16 v12, v17, v12, v14
	v_mul_u32_u24_e32 v16, 0x10001, v15
	v_mul_u32_u24_e32 v5, 0x10001, v5
	s_delay_alu instid0(VALU_DEP_4) | instskip(NEXT) | instid1(VALU_DEP_4)
	v_pk_fma_f16 v17, v18, v4, v13
	v_pk_fma_f16 v4, v19, v4, v12
	ds_load_2addr_b64 v[12:15], v112 offset0:192 offset1:224
	v_and_b32_e32 v18, 0xffff, v6
	s_wait_dscnt 0x0
	v_pk_fma_f16 v0, v0, v16, v17
	v_pk_fma_f16 v1, v1, v16, v4
	v_lshrrev_b32_e32 v4, 16, v6
	v_mul_u32_u24_e32 v6, 0x10001, v18
	s_barrier_signal -1
	v_pk_fma_f16 v0, v2, v5, v0
	v_pk_fma_f16 v1, v3, v5, v1
	v_and_b32_e32 v2, 0xffff, v7
	v_mul_u32_u24_e32 v3, 0x10001, v4
	s_barrier_wait -1
	v_pk_fma_f16 v0, v8, v6, v0
	v_pk_fma_f16 v1, v9, v6, v1
	v_mul_u32_u24_e32 v2, 0x10001, v2
	s_delay_alu instid0(VALU_DEP_3) | instskip(NEXT) | instid1(VALU_DEP_3)
	v_pk_fma_f16 v0, v10, v3, v0
	v_pk_fma_f16 v1, v11, v3, v1
	v_add_f32_e32 v3, v110, v111
	v_lshrrev_b32_e32 v4, 16, v7
	s_delay_alu instid0(VALU_DEP_4) | instskip(NEXT) | instid1(VALU_DEP_4)
	v_pk_fma_f16 v5, v12, v2, v0
	v_pk_fma_f16 v1, v13, v2, v1
	s_delay_alu instid0(VALU_DEP_4) | instskip(NEXT) | instid1(VALU_DEP_4)
	v_fmac_f32_e32 v3, v87, v88
	v_mul_u32_u24_e32 v4, 0x10001, v4
	v_dual_mov_b32 v0, 32 :: v_dual_mov_b32 v88, v86
	s_delay_alu instid0(VALU_DEP_3) | instskip(NEXT) | instid1(VALU_DEP_3)
	v_mov_b32_e32 v87, v3
	v_pk_fma_f16 v104, v14, v4, v5
	v_pk_fma_f16 v103, v15, v4, v1
.LBB90_47:
	s_delay_alu instid0(VALU_DEP_4)
	v_cmp_lt_i32_e32 vcc_lo, v105, v0
	s_cmp_eq_u64 s[12:13], 0
	s_cselect_b32 s2, -1, 0
	s_cmp_lg_u32 s26, 0
	v_cndmask_b32_e32 v1, v89, v105, vcc_lo
	v_cmp_lt_i32_e32 vcc_lo, v85, v0
	s_cselect_b32 s3, -1, 0
	s_delay_alu instid0(SALU_CYCLE_1) | instskip(SKIP_2) | instid1(VALU_DEP_2)
	s_or_b32 s2, s3, s2
	v_cndmask_b32_e32 v2, v89, v85, vcc_lo
	v_cmp_lt_i32_e32 vcc_lo, v106, v0
	v_dual_lshlrev_b32 v2, 2, v2 :: v_dual_lshlrev_b32 v1, 2, v1
	v_cndmask_b32_e32 v3, v89, v106, vcc_lo
	v_cmp_lt_i32_e32 vcc_lo, v107, v0
	ds_bpermute_b32 v1, v1, v87
	s_wait_dscnt 0x0
	v_dual_lshlrev_b32 v3, 2, v3 :: v_dual_add_f32 v1, v87, v1
	ds_bpermute_b32 v2, v2, v1
	s_wait_dscnt 0x0
	v_add_f32_e32 v1, v1, v2
	ds_bpermute_b32 v2, v3, v1
	v_cndmask_b32_e32 v3, v89, v107, vcc_lo
	v_cmp_lt_i32_e32 vcc_lo, v108, v0
	s_delay_alu instid0(VALU_DEP_2) | instskip(SKIP_2) | instid1(VALU_DEP_1)
	v_dual_cndmask_b32 v0, v89, v108 :: v_dual_lshlrev_b32 v3, 2, v3
	s_and_b32 vcc_lo, exec_lo, s2
	s_wait_dscnt 0x0
	v_dual_add_f32 v1, v1, v2 :: v_dual_lshlrev_b32 v0, 2, v0
	ds_bpermute_b32 v2, v3, v1
	s_wait_dscnt 0x0
	v_add_f32_e32 v1, v1, v2
	ds_bpermute_b32 v0, v0, v1
	s_wait_dscnt 0x0
	v_add_f32_e32 v89, v1, v0
	s_cbranch_vccnz .LBB90_49
; %bb.48:
	v_mov_b32_e32 v0, s33
	global_load_b32 v1, v0, s[12:13] scale_offset
	s_wait_loadcnt 0x0
	v_dual_max_num_f32 v0, v88, v88 :: v_dual_max_num_f32 v2, v1, v1
	s_delay_alu instid0(VALU_DEP_1) | instskip(NEXT) | instid1(VALU_DEP_1)
	v_max_num_f32_e32 v0, v0, v2
	v_sub_f32_e32 v2, v88, v0
	s_delay_alu instid0(VALU_DEP_1) | instskip(NEXT) | instid1(VALU_DEP_1)
	v_mul_f32_e32 v3, 0x3fb8aa3b, v2
	v_fma_f32 v4, 0x3fb8aa3b, v2, -v3
	v_rndne_f32_e32 v5, v3
	s_delay_alu instid0(VALU_DEP_1) | instskip(NEXT) | instid1(VALU_DEP_3)
	v_dual_sub_f32 v3, v3, v5 :: v_dual_sub_f32 v1, v1, v0
	v_fmac_f32_e32 v4, 0x32a5705f, v2
	v_cvt_i32_f32_e32 v5, v5
	v_cmp_ngt_f32_e32 vcc_lo, 0xc2ce8ed0, v2
	s_delay_alu instid0(VALU_DEP_3) | instskip(NEXT) | instid1(VALU_DEP_1)
	v_dual_mul_f32 v6, 0x3fb8aa3b, v1 :: v_dual_add_f32 v3, v3, v4
	v_fma_f32 v7, 0x3fb8aa3b, v1, -v6
	s_delay_alu instid0(VALU_DEP_2) | instskip(SKIP_1) | instid1(VALU_DEP_2)
	v_exp_f32_e32 v3, v3
	v_rndne_f32_e32 v8, v6
	v_fmac_f32_e32 v7, 0x32a5705f, v1
	s_delay_alu instid0(TRANS32_DEP_1) | instskip(NEXT) | instid1(VALU_DEP_3)
	v_ldexp_f32 v3, v3, v5
	v_sub_f32_e32 v4, v6, v8
	v_cvt_i32_f32_e32 v5, v8
	s_delay_alu instid0(VALU_DEP_3) | instskip(SKIP_1) | instid1(VALU_DEP_2)
	v_cndmask_b32_e32 v3, 0, v3, vcc_lo
	v_cmp_nlt_f32_e32 vcc_lo, 0x42b17218, v2
	v_cndmask_b32_e32 v2, 0x7f800000, v3, vcc_lo
	v_add_f32_e32 v4, v4, v7
	v_cmp_ngt_f32_e32 vcc_lo, 0xc2ce8ed0, v1
	s_delay_alu instid0(VALU_DEP_2) | instskip(SKIP_1) | instid1(TRANS32_DEP_1)
	v_exp_f32_e32 v4, v4
	v_nop
	v_ldexp_f32 v3, v4, v5
	v_cvt_f16_f32_e32 v4, v2
	s_delay_alu instid0(VALU_DEP_2) | instskip(SKIP_1) | instid1(VALU_DEP_3)
	v_cndmask_b32_e32 v3, 0, v3, vcc_lo
	v_cmp_nlt_f32_e32 vcc_lo, 0x42b17218, v1
	v_and_b32_e32 v4, 0xffff, v4
	s_delay_alu instid0(VALU_DEP_3) | instskip(NEXT) | instid1(VALU_DEP_2)
	v_cndmask_b32_e32 v1, 0x7f800000, v3, vcc_lo
	v_mul_u32_u24_e32 v3, 0x10001, v4
	s_delay_alu instid0(VALU_DEP_2) | instskip(NEXT) | instid1(VALU_DEP_2)
	v_fmac_f32_e32 v1, v89, v2
	v_pk_mul_f16 v104, v104, v3
	v_pk_mul_f16 v103, v103, v3
	s_delay_alu instid0(VALU_DEP_3)
	v_mov_b64_e32 v[88:89], v[0:1]
	s_mov_b32 s2, exec_lo
	v_cmpx_gt_i32_e64 s22, v100
	s_cbranch_execnz .LBB90_50
	s_branch .LBB90_52
.LBB90_49:
	s_delay_alu instid0(VALU_DEP_1)
	v_mov_b32_e32 v1, v89
	s_mov_b32 s2, exec_lo
	v_cmpx_gt_i32_e64 s22, v100
	s_cbranch_execz .LBB90_52
.LBB90_50:
	s_delay_alu instid0(VALU_DEP_2) | instskip(SKIP_2) | instid1(VALU_DEP_3)
	v_div_scale_f32 v0, null, v1, v1, 1.0
	v_div_scale_f32 v4, vcc_lo, 1.0, v1, 1.0
	v_mad_u32 v5, s28, s22, v100
	v_rcp_f32_e32 v2, v0
	s_load_b32 s0, s[0:1], 0xd4
	v_lshrrev_b32_e32 v7, 16, v103
	s_delay_alu instid0(TRANS32_DEP_1) | instskip(NEXT) | instid1(VALU_DEP_2)
	v_fma_f32 v3, -v0, v2, 1.0
	v_cvt_f32_f16_e32 v7, v7
	s_delay_alu instid0(VALU_DEP_4) | instskip(NEXT) | instid1(VALU_DEP_3)
	v_mad_u32 v5, v5, s23, s33
	v_fmac_f32_e32 v2, v3, v2
	s_delay_alu instid0(VALU_DEP_1) | instskip(SKIP_2) | instid1(VALU_DEP_1)
	v_mul_f32_e32 v6, v4, v2
	s_wait_kmcnt 0x0
	s_cmp_lg_u32 s0, 1
	v_fma_f32 v3, -v0, v6, v4
	s_delay_alu instid0(VALU_DEP_1) | instskip(NEXT) | instid1(VALU_DEP_1)
	v_dual_fmac_f32 v6, v3, v2 :: v_dual_mov_b32 v3, 0
	v_fma_f32 v4, -v0, v6, v4
	v_mad_u32 v0, s0, v5, s26
	v_lshrrev_b32_e32 v5, 16, v104
	s_cselect_b32 s0, -1, 0
	s_delay_alu instid0(VALU_DEP_3)
	v_div_fmas_f32 v2, v4, v2, v6
	v_cvt_f32_f16_e32 v4, v104
	v_cvt_f32_f16_e32 v6, v103
	;; [unrolled: 1-line block ×3, first 2 shown]
	v_cmp_eq_u32_e32 vcc_lo, 0, v84
	v_div_fixup_f32 v1, v2, v1, 1.0
	v_lshl_add_u32 v2, v0, 7, v101
	s_delay_alu instid0(VALU_DEP_2) | instskip(SKIP_1) | instid1(VALU_DEP_2)
	v_cndmask_b32_e64 v8, v1, 1.0, s0
	s_and_b32 s0, vcc_lo, s0
	v_lshl_add_u64 v[10:11], v[2:3], 2, s[16:17]
	s_delay_alu instid0(VALU_DEP_2)
	v_pk_mul_f32 v[2:3], v[8:9], v[4:5] op_sel_hi:[0,1]
	v_pk_mul_f32 v[4:5], v[8:9], v[6:7] op_sel_hi:[0,1]
	global_store_b128 v[10:11], v[2:5], off
	s_wait_xcnt 0x0
	s_and_b32 exec_lo, exec_lo, s0
	s_cbranch_execz .LBB90_52
; %bb.51:
	global_store_b64 v0, v[88:89], s[18:19] scale_offset
	s_sendmsg sendmsg(MSG_DEALLOC_VGPRS)
	s_endpgm
.LBB90_52:
	s_sendmsg sendmsg(MSG_DEALLOC_VGPRS)
	s_endpgm
	.section	.rodata,"a",@progbits
	.p2align	6, 0x0
	.amdhsa_kernel _ZL15flash_attn_tileILi128ELi128ELi4ELi1ELb1EEvPKcS1_S1_S1_S1_PKiPfP15HIP_vector_typeIfLj2EEffffjfiS5_IjLj3EEiiiiiiiiiiiliiliiiiil
		.amdhsa_group_segment_fixed_size 10752
		.amdhsa_private_segment_fixed_size 32
		.amdhsa_kernarg_size 464
		.amdhsa_user_sgpr_count 2
		.amdhsa_user_sgpr_dispatch_ptr 0
		.amdhsa_user_sgpr_queue_ptr 0
		.amdhsa_user_sgpr_kernarg_segment_ptr 1
		.amdhsa_user_sgpr_dispatch_id 0
		.amdhsa_user_sgpr_kernarg_preload_length 0
		.amdhsa_user_sgpr_kernarg_preload_offset 0
		.amdhsa_user_sgpr_private_segment_size 0
		.amdhsa_wavefront_size32 1
		.amdhsa_uses_dynamic_stack 0
		.amdhsa_enable_private_segment 1
		.amdhsa_system_sgpr_workgroup_id_x 1
		.amdhsa_system_sgpr_workgroup_id_y 1
		.amdhsa_system_sgpr_workgroup_id_z 1
		.amdhsa_system_sgpr_workgroup_info 0
		.amdhsa_system_vgpr_workitem_id 1
		.amdhsa_next_free_vgpr 126
		.amdhsa_next_free_sgpr 48
		.amdhsa_named_barrier_count 0
		.amdhsa_reserve_vcc 1
		.amdhsa_float_round_mode_32 0
		.amdhsa_float_round_mode_16_64 0
		.amdhsa_float_denorm_mode_32 3
		.amdhsa_float_denorm_mode_16_64 3
		.amdhsa_fp16_overflow 0
		.amdhsa_memory_ordered 1
		.amdhsa_forward_progress 1
		.amdhsa_inst_pref_size 119
		.amdhsa_round_robin_scheduling 0
		.amdhsa_exception_fp_ieee_invalid_op 0
		.amdhsa_exception_fp_denorm_src 0
		.amdhsa_exception_fp_ieee_div_zero 0
		.amdhsa_exception_fp_ieee_overflow 0
		.amdhsa_exception_fp_ieee_underflow 0
		.amdhsa_exception_fp_ieee_inexact 0
		.amdhsa_exception_int_div_zero 0
	.end_amdhsa_kernel
	.section	.text._ZL15flash_attn_tileILi128ELi128ELi4ELi1ELb1EEvPKcS1_S1_S1_S1_PKiPfP15HIP_vector_typeIfLj2EEffffjfiS5_IjLj3EEiiiiiiiiiiiliiliiiiil,"axG",@progbits,_ZL15flash_attn_tileILi128ELi128ELi4ELi1ELb1EEvPKcS1_S1_S1_S1_PKiPfP15HIP_vector_typeIfLj2EEffffjfiS5_IjLj3EEiiiiiiiiiiiliiliiiiil,comdat
.Lfunc_end90:
	.size	_ZL15flash_attn_tileILi128ELi128ELi4ELi1ELb1EEvPKcS1_S1_S1_S1_PKiPfP15HIP_vector_typeIfLj2EEffffjfiS5_IjLj3EEiiiiiiiiiiiliiliiiiil, .Lfunc_end90-_ZL15flash_attn_tileILi128ELi128ELi4ELi1ELb1EEvPKcS1_S1_S1_S1_PKiPfP15HIP_vector_typeIfLj2EEffffjfiS5_IjLj3EEiiiiiiiiiiiliiliiiiil
                                        ; -- End function
	.set _ZL15flash_attn_tileILi128ELi128ELi4ELi1ELb1EEvPKcS1_S1_S1_S1_PKiPfP15HIP_vector_typeIfLj2EEffffjfiS5_IjLj3EEiiiiiiiiiiiliiliiiiil.num_vgpr, 126
	.set _ZL15flash_attn_tileILi128ELi128ELi4ELi1ELb1EEvPKcS1_S1_S1_S1_PKiPfP15HIP_vector_typeIfLj2EEffffjfiS5_IjLj3EEiiiiiiiiiiiliiliiiiil.num_agpr, 0
	.set _ZL15flash_attn_tileILi128ELi128ELi4ELi1ELb1EEvPKcS1_S1_S1_S1_PKiPfP15HIP_vector_typeIfLj2EEffffjfiS5_IjLj3EEiiiiiiiiiiiliiliiiiil.numbered_sgpr, 48
	.set _ZL15flash_attn_tileILi128ELi128ELi4ELi1ELb1EEvPKcS1_S1_S1_S1_PKiPfP15HIP_vector_typeIfLj2EEffffjfiS5_IjLj3EEiiiiiiiiiiiliiliiiiil.num_named_barrier, 0
	.set _ZL15flash_attn_tileILi128ELi128ELi4ELi1ELb1EEvPKcS1_S1_S1_S1_PKiPfP15HIP_vector_typeIfLj2EEffffjfiS5_IjLj3EEiiiiiiiiiiiliiliiiiil.private_seg_size, 32
	.set _ZL15flash_attn_tileILi128ELi128ELi4ELi1ELb1EEvPKcS1_S1_S1_S1_PKiPfP15HIP_vector_typeIfLj2EEffffjfiS5_IjLj3EEiiiiiiiiiiiliiliiiiil.uses_vcc, 1
	.set _ZL15flash_attn_tileILi128ELi128ELi4ELi1ELb1EEvPKcS1_S1_S1_S1_PKiPfP15HIP_vector_typeIfLj2EEffffjfiS5_IjLj3EEiiiiiiiiiiiliiliiiiil.uses_flat_scratch, 1
	.set _ZL15flash_attn_tileILi128ELi128ELi4ELi1ELb1EEvPKcS1_S1_S1_S1_PKiPfP15HIP_vector_typeIfLj2EEffffjfiS5_IjLj3EEiiiiiiiiiiiliiliiiiil.has_dyn_sized_stack, 0
	.set _ZL15flash_attn_tileILi128ELi128ELi4ELi1ELb1EEvPKcS1_S1_S1_S1_PKiPfP15HIP_vector_typeIfLj2EEffffjfiS5_IjLj3EEiiiiiiiiiiiliiliiiiil.has_recursion, 0
	.set _ZL15flash_attn_tileILi128ELi128ELi4ELi1ELb1EEvPKcS1_S1_S1_S1_PKiPfP15HIP_vector_typeIfLj2EEffffjfiS5_IjLj3EEiiiiiiiiiiiliiliiiiil.has_indirect_call, 0
	.section	.AMDGPU.csdata,"",@progbits
; Kernel info:
; codeLenInByte = 15200
; TotalNumSgprs: 50
; NumVgprs: 126
; ScratchSize: 32
; MemoryBound: 0
; FloatMode: 240
; IeeeMode: 1
; LDSByteSize: 10752 bytes/workgroup (compile time only)
; SGPRBlocks: 0
; VGPRBlocks: 7
; NumSGPRsForWavesPerEU: 50
; NumVGPRsForWavesPerEU: 126
; NamedBarCnt: 0
; Occupancy: 8
; WaveLimiterHint : 1
; COMPUTE_PGM_RSRC2:SCRATCH_EN: 1
; COMPUTE_PGM_RSRC2:USER_SGPR: 2
; COMPUTE_PGM_RSRC2:TRAP_HANDLER: 0
; COMPUTE_PGM_RSRC2:TGID_X_EN: 1
; COMPUTE_PGM_RSRC2:TGID_Y_EN: 1
; COMPUTE_PGM_RSRC2:TGID_Z_EN: 1
; COMPUTE_PGM_RSRC2:TIDIG_COMP_CNT: 1
	.section	.text._ZL15flash_attn_tileILi128ELi128ELi2ELi1ELb1EEvPKcS1_S1_S1_S1_PKiPfP15HIP_vector_typeIfLj2EEffffjfiS5_IjLj3EEiiiiiiiiiiiliiliiiiil,"axG",@progbits,_ZL15flash_attn_tileILi128ELi128ELi2ELi1ELb1EEvPKcS1_S1_S1_S1_PKiPfP15HIP_vector_typeIfLj2EEffffjfiS5_IjLj3EEiiiiiiiiiiiliiliiiiil,comdat
	.globl	_ZL15flash_attn_tileILi128ELi128ELi2ELi1ELb1EEvPKcS1_S1_S1_S1_PKiPfP15HIP_vector_typeIfLj2EEffffjfiS5_IjLj3EEiiiiiiiiiiiliiliiiiil ; -- Begin function _ZL15flash_attn_tileILi128ELi128ELi2ELi1ELb1EEvPKcS1_S1_S1_S1_PKiPfP15HIP_vector_typeIfLj2EEffffjfiS5_IjLj3EEiiiiiiiiiiiliiliiiiil
	.p2align	8
	.type	_ZL15flash_attn_tileILi128ELi128ELi2ELi1ELb1EEvPKcS1_S1_S1_S1_PKiPfP15HIP_vector_typeIfLj2EEffffjfiS5_IjLj3EEiiiiiiiiiiiliiliiiiil,@function
_ZL15flash_attn_tileILi128ELi128ELi2ELi1ELb1EEvPKcS1_S1_S1_S1_PKiPfP15HIP_vector_typeIfLj2EEffffjfiS5_IjLj3EEiiiiiiiiiiiliiliiiiil: ; @_ZL15flash_attn_tileILi128ELi128ELi2ELi1ELb1EEvPKcS1_S1_S1_S1_PKiPfP15HIP_vector_typeIfLj2EEffffjfiS5_IjLj3EEiiiiiiiiiiiliiliiiiil
; %bb.0:
	s_clause 0x1
	s_load_b128 s[20:23], s[0:1], 0x5c
	s_load_b64 s[2:3], s[0:1], 0x80
	s_bfe_u32 s6, ttmp6, 0x40014
	s_lshr_b32 s5, ttmp7, 16
	s_add_co_i32 s6, s6, 1
	s_bfe_u32 s7, ttmp6, 0x40008
	s_mul_i32 s6, s5, s6
	s_getreg_b32 s40, hwreg(HW_REG_IB_STS2, 6, 4)
	s_add_co_i32 s7, s7, s6
	s_load_b64 s[36:37], s[0:1], 0xb8
	s_mov_b32 s35, 0
	s_mov_b64 s[30:31], 0
	s_wait_kmcnt 0x0
	s_cvt_f32_u32 s4, s23
	s_sub_co_i32 s8, 0, s23
	s_delay_alu instid0(SALU_CYCLE_2) | instskip(SKIP_1) | instid1(TRANS32_DEP_1)
	v_rcp_iflag_f32_e32 v1, s4
	v_nop
	v_readfirstlane_b32 s4, v1
	s_mul_f32 s4, s4, 0x4f7ffffe
	s_delay_alu instid0(SALU_CYCLE_3) | instskip(NEXT) | instid1(SALU_CYCLE_3)
	s_cvt_u32_f32 s4, s4
	s_mul_i32 s8, s8, s4
	s_delay_alu instid0(SALU_CYCLE_1) | instskip(NEXT) | instid1(SALU_CYCLE_1)
	s_mul_hi_u32 s8, s4, s8
	s_add_co_i32 s4, s4, s8
	s_cmp_eq_u32 s40, 0
	s_cselect_b32 s5, s5, s7
	s_delay_alu instid0(SALU_CYCLE_1) | instskip(NEXT) | instid1(SALU_CYCLE_1)
	s_mul_hi_u32 s4, s5, s4
	s_mul_i32 s6, s4, s23
	s_add_co_i32 s7, s4, 1
	s_sub_co_i32 s6, s5, s6
	s_delay_alu instid0(SALU_CYCLE_1)
	s_sub_co_i32 s8, s6, s23
	s_cmp_ge_u32 s6, s23
	s_cselect_b32 s4, s7, s4
	s_cselect_b32 s6, s8, s6
	s_add_co_i32 s7, s4, 1
	s_cmp_ge_u32 s6, s23
	s_cselect_b32 s28, s7, s4
	s_abs_i32 s4, s3
	s_mul_i32 s8, s28, s23
	s_cvt_f32_u32 s6, s4
	s_sub_co_i32 s7, 0, s4
	s_abs_i32 s9, s23
	s_sub_co_i32 s33, s5, s8
	v_rcp_iflag_f32_e32 v1, s6
	s_xor_b32 s3, s23, s3
	s_delay_alu instid0(SALU_CYCLE_1) | instskip(SKIP_1) | instid1(TRANS32_DEP_1)
	s_ashr_i32 s3, s3, 31
	v_nop
	v_readfirstlane_b32 s6, v1
	s_mul_f32 s6, s6, 0x4f7ffffe
	s_delay_alu instid0(SALU_CYCLE_3) | instskip(NEXT) | instid1(SALU_CYCLE_3)
	s_cvt_u32_f32 s6, s6
	s_mul_i32 s7, s7, s6
	s_delay_alu instid0(SALU_CYCLE_1) | instskip(NEXT) | instid1(SALU_CYCLE_1)
	s_mul_hi_u32 s7, s6, s7
	s_add_co_i32 s6, s6, s7
	s_delay_alu instid0(SALU_CYCLE_1) | instskip(NEXT) | instid1(SALU_CYCLE_1)
	s_mul_hi_u32 s5, s9, s6
	s_mul_i32 s6, s5, s4
	s_add_co_i32 s7, s5, 1
	s_sub_co_i32 s6, s9, s6
	s_delay_alu instid0(SALU_CYCLE_1)
	s_sub_co_i32 s8, s6, s4
	s_cmp_ge_u32 s6, s4
	s_cselect_b32 s5, s7, s5
	s_cselect_b32 s6, s8, s6
	s_add_co_i32 s7, s5, 1
	s_cmp_ge_u32 s6, s4
	s_cselect_b32 s4, s7, s5
	s_abs_i32 s34, s33
	s_xor_b32 s4, s4, s3
	s_delay_alu instid0(SALU_CYCLE_1) | instskip(NEXT) | instid1(SALU_CYCLE_1)
	s_sub_co_i32 s29, s4, s3
	s_abs_i32 s3, s29
	s_delay_alu instid0(SALU_CYCLE_1) | instskip(SKIP_1) | instid1(SALU_CYCLE_2)
	s_cvt_f32_u32 s4, s3
	s_sub_co_i32 s25, 0, s3
	v_rcp_iflag_f32_e32 v1, s4
	s_load_b512 s[4:19], s[0:1], 0x0
	v_nop
	s_delay_alu instid0(TRANS32_DEP_1) | instskip(SKIP_1) | instid1(SALU_CYCLE_3)
	v_readfirstlane_b32 s24, v1
	s_mul_f32 s24, s24, 0x4f7ffffe
	s_cvt_u32_f32 s24, s24
	s_delay_alu instid0(SALU_CYCLE_3) | instskip(NEXT) | instid1(SALU_CYCLE_1)
	s_mul_i32 s25, s25, s24
	s_mul_hi_u32 s25, s24, s25
	s_delay_alu instid0(SALU_CYCLE_1)
	s_add_co_i32 s38, s24, s25
	s_wait_kmcnt 0x0
	s_cmp_eq_u64 s[10:11], 0
	s_cbranch_scc1 .LBB91_2
; %bb.1:
	s_abs_i32 s26, s36
	s_abs_i32 s27, s28
	s_cvt_f32_u32 s24, s26
	s_sub_co_i32 s25, 0, s26
	s_delay_alu instid0(SALU_CYCLE_2) | instskip(SKIP_1) | instid1(TRANS32_DEP_1)
	v_rcp_iflag_f32_e32 v1, s24
	v_nop
	v_readfirstlane_b32 s24, v1
	s_mul_f32 s24, s24, 0x4f7ffffe
	s_delay_alu instid0(SALU_CYCLE_3) | instskip(NEXT) | instid1(SALU_CYCLE_3)
	s_cvt_u32_f32 s24, s24
	s_mul_i32 s25, s25, s24
	s_delay_alu instid0(SALU_CYCLE_1) | instskip(NEXT) | instid1(SALU_CYCLE_1)
	s_mul_hi_u32 s25, s24, s25
	s_add_co_i32 s24, s24, s25
	s_delay_alu instid0(SALU_CYCLE_1) | instskip(SKIP_2) | instid1(SALU_CYCLE_1)
	s_mul_hi_u32 s30, s27, s24
	s_load_b64 s[24:25], s[0:1], 0xc8
	s_mul_i32 s30, s30, s26
	s_sub_co_i32 s27, s27, s30
	s_ashr_i32 s30, s28, 31
	s_sub_co_i32 s31, s27, s26
	s_cmp_ge_u32 s27, s26
	s_cselect_b32 s27, s31, s27
	s_delay_alu instid0(SALU_CYCLE_1) | instskip(SKIP_2) | instid1(SALU_CYCLE_1)
	s_sub_co_i32 s31, s27, s26
	s_cmp_ge_u32 s27, s26
	s_cselect_b32 s26, s31, s27
	s_xor_b32 s26, s26, s30
	s_delay_alu instid0(SALU_CYCLE_1) | instskip(NEXT) | instid1(SALU_CYCLE_1)
	s_sub_co_i32 s26, s26, s30
	s_ashr_i32 s27, s26, 31
	s_wait_kmcnt 0x0
	s_mul_u64 s[24:25], s[24:25], s[26:27]
	s_delay_alu instid0(SALU_CYCLE_1)
	s_add_nc_u64 s[30:31], s[10:11], s[24:25]
.LBB91_2:
	s_clause 0x1
	s_load_b128 s[24:27], s[0:1], 0x40
	s_load_b64 s[10:11], s[0:1], 0x50
	v_mov_b32_e32 v27, 1.0
	s_mov_b32 s39, s35
	s_wait_kmcnt 0x0
	s_cmp_le_f32 s25, 0
	s_cbranch_scc1 .LBB91_4
; %bb.3:
	v_sub_co_u32 v1, s10, s33, s10
	s_and_b32 s41, s10, exec_lo
	s_cselect_b32 s27, s26, s27
	v_readfirstlane_b32 s36, v1
	s_lshl_b32 s26, s36, 1
	s_add_co_i32 s36, s33, 1
	s_or_b32 s26, s26, 1
	s_and_b32 s10, s10, exec_lo
	s_cselect_b32 s10, s36, s26
	s_cmp_neq_f32 s27, 1.0
	s_cvt_f32_i32 s10, s10
	s_delay_alu instid0(SALU_CYCLE_3) | instskip(NEXT) | instid1(SALU_CYCLE_1)
	s_cselect_b32 s26, s10, 1.0
	s_cmp_neq_f32 s26, 0
	s_cselect_b32 s10, s27, 1.0
	s_delay_alu instid0(SALU_CYCLE_1) | instskip(NEXT) | instid1(VALU_DEP_1)
	v_cvt_f64_f32_e64 v[2:3], |s10|
	v_frexp_exp_i32_f64_e32 v1, v[2:3]
	v_frexp_mant_f32_e64 v2, |s10|
	s_delay_alu instid0(VALU_DEP_1) | instskip(SKIP_2) | instid1(SALU_CYCLE_1)
	v_readfirstlane_b32 s27, v2
	s_cmp_lt_f32 s27, 0x3f2aaaab
	s_cselect_b32 vcc_lo, -1, 0
	s_and_b32 s36, vcc_lo, exec_lo
	s_cselect_b32 s36, 2.0, 1.0
	s_delay_alu instid0(SALU_CYCLE_1) | instskip(NEXT) | instid1(SALU_CYCLE_3)
	s_mul_f32 s27, s27, s36
	s_add_f32 s36, s27, 1.0
	s_add_f32 s42, s27, -1.0
	s_delay_alu instid0(SALU_CYCLE_2) | instskip(SKIP_2) | instid1(SALU_CYCLE_2)
	v_s_rcp_f32 s41, s36
	s_add_f32 s45, s36, -1.0
	v_subrev_co_ci_u32_e64 v1, null, 0, v1, vcc_lo
	s_sub_f32 s27, s27, s45
	s_delay_alu instid0(TRANS32_DEP_1) | instskip(SKIP_1) | instid1(SALU_CYCLE_2)
	s_mul_f32 s43, s42, s41
	v_cvt_f32_i32_e32 v1, v1
	s_mul_f32 s44, s36, s43
	s_delay_alu instid0(SALU_CYCLE_3) | instskip(SKIP_1) | instid1(SALU_CYCLE_1)
	v_dual_mov_b32 v3, s42 :: v_dual_mov_b32 v4, s44
	s_xor_b32 s46, s44, 0x80000000
	s_fmac_f32 s46, s43, s36
	s_delay_alu instid0(SALU_CYCLE_3) | instskip(NEXT) | instid1(SALU_CYCLE_3)
	s_fmac_f32 s46, s43, s27
	s_add_f32 s27, s44, s46
	s_delay_alu instid0(SALU_CYCLE_3) | instskip(SKIP_1) | instid1(SALU_CYCLE_3)
	v_dual_mov_b32 v6, s46 :: v_dual_mov_b32 v7, s27
	s_sub_f32 s36, s42, s27
	v_dual_mov_b32 v2, s27 :: v_dual_mov_b32 v5, s36
	s_delay_alu instid0(VALU_DEP_1) | instskip(NEXT) | instid1(VALU_DEP_1)
	v_pk_add_f32 v[2:3], v[2:3], v[4:5] neg_lo:[0,1] neg_hi:[0,1]
	v_pk_add_f32 v[2:3], v[2:3], v[6:7] neg_lo:[0,1] neg_hi:[0,1]
	s_delay_alu instid0(VALU_DEP_1) | instskip(NEXT) | instid1(VALU_DEP_2)
	v_readfirstlane_b32 s27, v3
	v_readfirstlane_b32 s42, v2
	s_add_f32 s27, s42, s27
	s_delay_alu instid0(SALU_CYCLE_3) | instskip(NEXT) | instid1(SALU_CYCLE_3)
	s_add_f32 s27, s36, s27
	s_mul_f32 s27, s41, s27
	s_delay_alu instid0(SALU_CYCLE_3) | instskip(NEXT) | instid1(SALU_CYCLE_3)
	s_add_f32 s42, s43, s27
	s_sub_f32 s36, s42, s43
	s_mul_f32 s41, s42, s42
	s_delay_alu instid0(SALU_CYCLE_2) | instskip(NEXT) | instid1(SALU_CYCLE_2)
	s_sub_f32 s27, s27, s36
	s_xor_b32 s36, s41, 0x80000000
	s_delay_alu instid0(SALU_CYCLE_1) | instskip(NEXT) | instid1(SALU_CYCLE_1)
	s_fmac_f32 s36, s42, s42
	s_add_f32 s43, s27, s27
	s_delay_alu instid0(SALU_CYCLE_3) | instskip(SKIP_1) | instid1(SALU_CYCLE_2)
	s_fmac_f32 s36, s42, s43
	s_mov_b32 s43, 0x3e76c4e1
	s_add_f32 s44, s41, s36
	s_delay_alu instid0(SALU_CYCLE_3) | instskip(SKIP_1) | instid1(SALU_CYCLE_2)
	s_fmaak_f32 s43, s44, s43, 0x3e91f4c4
	s_sub_f32 s41, s44, s41
	s_fmaak_f32 s43, s44, s43, 0x3ecccdef
	s_delay_alu instid0(SALU_CYCLE_2) | instskip(NEXT) | instid1(SALU_CYCLE_2)
	s_sub_f32 s36, s36, s41
	s_mul_f32 s45, s44, s43
	s_delay_alu instid0(SALU_CYCLE_3) | instskip(NEXT) | instid1(SALU_CYCLE_1)
	s_xor_b32 s46, s45, 0x80000000
	s_fmac_f32 s46, s44, s43
	s_delay_alu instid0(SALU_CYCLE_3) | instskip(NEXT) | instid1(SALU_CYCLE_3)
	s_fmac_f32 s46, s36, s43
	s_add_f32 s41, s45, s46
	s_delay_alu instid0(SALU_CYCLE_3) | instskip(SKIP_1) | instid1(SALU_CYCLE_2)
	s_sub_f32 s43, s41, s45
	s_add_f32 s47, s41, 0x3f2aaaaa
	s_sub_f32 s43, s46, s43
	s_delay_alu instid0(SALU_CYCLE_2) | instskip(NEXT) | instid1(SALU_CYCLE_2)
	s_add_f32 s45, s47, 0xbf2aaaaa
	s_add_f32 s43, s43, 0x31739010
	s_delay_alu instid0(SALU_CYCLE_2) | instskip(NEXT) | instid1(SALU_CYCLE_2)
	s_sub_f32 s45, s41, s45
	v_mov_b64_e32 v[2:3], s[42:43]
	s_delay_alu instid0(SALU_CYCLE_2) | instskip(NEXT) | instid1(VALU_DEP_1)
	v_mov_b64_e32 v[4:5], s[44:45]
	v_pk_mul_f32 v[6:7], v[2:3], v[4:5]
	v_pk_add_f32 v[2:3], v[2:3], v[4:5]
	v_mov_b32_e32 v9, s47
	s_delay_alu instid0(VALU_DEP_3) | instskip(NEXT) | instid1(VALU_DEP_3)
	v_xor_b32_e32 v8, 0x80000000, v6
	v_mov_b32_e32 v7, v3
	s_delay_alu instid0(VALU_DEP_2) | instskip(NEXT) | instid1(VALU_DEP_1)
	v_fmac_f32_e64 v8, s44, s42
	v_fmac_f32_e64 v8, s44, s27
	s_delay_alu instid0(VALU_DEP_1) | instskip(NEXT) | instid1(VALU_DEP_1)
	v_fmac_f32_e64 v8, s36, s42
	v_pk_add_f32 v[4:5], v[6:7], v[8:9]
	s_delay_alu instid0(VALU_DEP_1) | instskip(SKIP_1) | instid1(VALU_DEP_2)
	v_dual_mov_b32 v2, v5 :: v_dual_sub_f32 v7, s47, v5
	v_mul_f32_e32 v12, 0x3f317218, v1
	v_pk_mul_f32 v[10:11], v[4:5], v[2:3]
	s_delay_alu instid0(VALU_DEP_3) | instskip(NEXT) | instid1(VALU_DEP_3)
	v_add_f32_e32 v3, v3, v7
	v_xor_b32_e32 v7, 0x80000000, v12
	s_delay_alu instid0(VALU_DEP_3) | instskip(NEXT) | instid1(VALU_DEP_2)
	v_xor_b32_e32 v2, 0x80000000, v10
	v_dual_sub_f32 v6, v4, v6 :: v_dual_fmac_f32 v7, 0x3f317218, v1
	s_delay_alu instid0(VALU_DEP_2) | instskip(NEXT) | instid1(VALU_DEP_2)
	v_fmac_f32_e32 v2, v4, v5
	v_sub_f32_e32 v6, v8, v6
	s_delay_alu instid0(VALU_DEP_2) | instskip(NEXT) | instid1(VALU_DEP_1)
	v_fmac_f32_e32 v2, v4, v3
	v_fmac_f32_e32 v2, v6, v5
	v_fmamk_f32 v4, v1, 0xb102e308, v7
	v_ldexp_f32 v5, s42, 1
	v_ldexp_f32 v1, s27, 1
	s_delay_alu instid0(VALU_DEP_2) | instskip(NEXT) | instid1(VALU_DEP_1)
	v_dual_add_f32 v13, v10, v2 :: v_dual_mov_b32 v11, v5
	v_pk_add_f32 v[6:7], v[12:13], v[4:5]
	v_dual_mov_b32 v8, v13 :: v_dual_mov_b32 v3, v13
	s_delay_alu instid0(VALU_DEP_2) | instskip(SKIP_1) | instid1(VALU_DEP_2)
	v_dual_mov_b32 v9, v7 :: v_dual_mov_b32 v5, v6
	v_mov_b32_e32 v14, v7
	v_pk_add_f32 v[8:9], v[8:9], v[10:11] neg_lo:[0,1] neg_hi:[0,1]
	s_delay_alu instid0(VALU_DEP_1) | instskip(NEXT) | instid1(VALU_DEP_1)
	v_pk_add_f32 v[2:3], v[2:3], v[8:9] neg_lo:[0,1] neg_hi:[0,1]
	v_add_f32_e32 v1, v1, v2
	s_delay_alu instid0(VALU_DEP_1) | instskip(NEXT) | instid1(VALU_DEP_1)
	v_add_f32_e32 v13, v1, v3
	v_pk_add_f32 v[2:3], v[6:7], v[12:13]
	v_pk_add_f32 v[8:9], v[6:7], v[12:13] neg_lo:[0,1] neg_hi:[0,1]
	s_delay_alu instid0(VALU_DEP_2) | instskip(NEXT) | instid1(VALU_DEP_1)
	v_mov_b32_e32 v9, v3
	v_pk_add_f32 v[10:11], v[4:5], v[8:9]
	v_pk_add_f32 v[4:5], v[4:5], v[8:9] neg_lo:[0,1] neg_hi:[0,1]
	v_dual_mov_b32 v16, v3 :: v_dual_mov_b32 v5, v6
	s_delay_alu instid0(VALU_DEP_3) | instskip(NEXT) | instid1(VALU_DEP_3)
	v_dual_mov_b32 v12, v11 :: v_dual_mov_b32 v17, v11
	v_readfirstlane_b32 s27, v4
	s_delay_alu instid0(VALU_DEP_2) | instskip(NEXT) | instid1(VALU_DEP_2)
	v_pk_add_f32 v[8:9], v[12:13], v[6:7] neg_lo:[0,1] neg_hi:[0,1]
	v_dual_mov_b32 v4, v13 :: v_dual_mov_b32 v10, s27
	s_delay_alu instid0(VALU_DEP_2) | instskip(NEXT) | instid1(VALU_DEP_1)
	v_dual_mov_b32 v15, v8 :: v_dual_mov_b32 v1, v8
	v_pk_add_f32 v[6:7], v[16:17], v[14:15] neg_lo:[0,1] neg_hi:[0,1]
	s_delay_alu instid0(VALU_DEP_2) | instskip(SKIP_1) | instid1(VALU_DEP_3)
	v_pk_add_f32 v[2:3], v[2:3], v[0:1] neg_lo:[0,1] neg_hi:[0,1]
	v_mov_b32_e32 v2, s27
	v_pk_add_f32 v[4:5], v[4:5], v[6:7] neg_lo:[0,1] neg_hi:[0,1]
	s_delay_alu instid0(VALU_DEP_1) | instskip(NEXT) | instid1(VALU_DEP_1)
	v_pk_add_f32 v[2:3], v[2:3], v[4:5]
	v_readfirstlane_b32 s36, v2
	s_delay_alu instid0(VALU_DEP_2) | instskip(NEXT) | instid1(VALU_DEP_1)
	v_mov_b32_e32 v6, v3
	v_pk_add_f32 v[6:7], v[2:3], v[6:7]
	s_delay_alu instid0(VALU_DEP_3) | instskip(NEXT) | instid1(VALU_DEP_2)
	v_mov_b32_e32 v2, s36
	v_pk_add_f32 v[8:9], v[12:13], v[6:7]
	v_mov_b32_e32 v5, v6
	s_delay_alu instid0(VALU_DEP_2) | instskip(NEXT) | instid1(VALU_DEP_1)
	v_readfirstlane_b32 s41, v8
	v_mov_b32_e32 v3, s41
	s_delay_alu instid0(VALU_DEP_1) | instskip(NEXT) | instid1(VALU_DEP_1)
	v_pk_add_f32 v[2:3], v[2:3], v[10:11] neg_lo:[0,1] neg_hi:[0,1]
	v_readfirstlane_b32 s42, v2
	s_delay_alu instid0(VALU_DEP_2) | instskip(SKIP_1) | instid1(VALU_DEP_1)
	v_pk_add_f32 v[2:3], v[4:5], v[2:3] neg_lo:[0,1] neg_hi:[0,1]
	s_sub_f32 s36, s36, s42
	v_readfirstlane_b32 s42, v2
	s_delay_alu instid0(SALU_CYCLE_2) | instskip(SKIP_1) | instid1(SALU_CYCLE_2)
	s_sub_f32 s27, s27, s36
	v_readfirstlane_b32 s36, v3
	s_add_f32 s27, s42, s27
	s_delay_alu instid0(SALU_CYCLE_3) | instskip(NEXT) | instid1(SALU_CYCLE_3)
	s_add_f32 s27, s27, s36
	s_add_f32 s36, s41, s27
	s_delay_alu instid0(SALU_CYCLE_3) | instskip(SKIP_1) | instid1(SALU_CYCLE_2)
	s_mul_f32 s42, s26, s36
	s_sub_f32 s41, s36, s41
	s_xor_b32 s43, s42, 0x80000000
	s_delay_alu instid0(SALU_CYCLE_2) | instskip(SKIP_1) | instid1(SALU_CYCLE_3)
	s_sub_f32 s27, s27, s41
	s_fmac_f32 s43, s26, s36
	s_fmac_f32 s43, s26, s27
	v_cmp_class_f32_e64 s27, s42, 0x204
	s_delay_alu instid0(SALU_CYCLE_2) | instskip(SKIP_1) | instid1(SALU_CYCLE_2)
	s_add_f32 s36, s42, s43
	s_and_b32 s27, s27, exec_lo
	s_sub_f32 s27, s36, s42
	s_cselect_b32 s36, s42, s36
	s_delay_alu instid0(SALU_CYCLE_1) | instskip(NEXT) | instid1(SALU_CYCLE_1)
	s_and_b32 s41, s36, 0x7fffffff
	s_sub_f32 s27, s43, s27
	s_cmp_neq_f32 s41, 0x7f800000
	s_delay_alu instid0(SALU_CYCLE_2) | instskip(SKIP_2) | instid1(SALU_CYCLE_1)
	s_cselect_b32 s27, s27, 0
	s_cmp_eq_f32 s36, 0x42b17218
	s_cselect_b32 s41, 0x37000000, 0
	s_sub_f32 s36, s36, s41
	s_add_f32 s27, s41, s27
	s_delay_alu instid0(SALU_CYCLE_2) | instskip(NEXT) | instid1(SALU_CYCLE_3)
	s_mul_f32 s42, s36, 0x3fb8aa3b
	s_xor_b32 s43, s42, 0x80000000
	s_rndne_f32 s44, s42
	s_fmamk_f32 s43, s36, 0x3fb8aa3b, s43
	s_cmp_nlt_f32 s36, 0xc2ce8ed0
	s_delay_alu instid0(SALU_CYCLE_1) | instskip(NEXT) | instid1(SALU_CYCLE_1)
	s_sub_f32 s42, s42, s44
	s_fmamk_f32 s43, s36, 0x32a5705f, s43
	s_cselect_b32 vcc_lo, -1, 0
	s_cmp_ngt_f32 s36, 0x42b17218
	s_trunc_f32 s36, s26
	s_add_f32 s42, s42, s43
	s_cvt_i32_f32 s43, s44
	s_delay_alu instid0(SALU_CYCLE_2)
	v_s_exp_f32 s42, s42
	v_nop
	s_delay_alu instid0(TRANS32_DEP_1) | instid1(SALU_CYCLE_1)
	v_ldexp_f32 v1, s42, s43
	s_mul_f32 s42, s26, 0.5
	s_delay_alu instid0(VALU_DEP_1) | instskip(SKIP_3) | instid1(VALU_DEP_1)
	v_cndmask_b32_e32 v1, 0, v1, vcc_lo
	s_cselect_b32 vcc_lo, -1, 0
	s_cmp_eq_f32 s36, s26
	s_trunc_f32 s43, s42
	v_cndmask_b32_e32 v1, 0x7f800000, v1, vcc_lo
	s_cselect_b32 s44, -1, 0
	s_delay_alu instid0(SALU_CYCLE_1) | instskip(NEXT) | instid1(VALU_DEP_1)
	s_cmp_neq_f32 s43, s42
	v_fma_f32 v2, s27, v1, v1
	v_cmp_class_f32_e64 vcc_lo, v1, 0x204
	s_cselect_b32 s41, -1, 0
	s_delay_alu instid0(SALU_CYCLE_1)
	s_and_b32 s27, s44, s41
	v_cndmask_b32_e32 v1, v2, v1, vcc_lo
	s_and_b32 s41, s27, exec_lo
	s_cselect_b32 s41, s10, 1.0
	s_cmp_eq_f32 s36, s26
	v_cmp_class_f32_e64 s36, s10, 0x204
	v_bfi_b32 v1, 0x7fffffff, v1, s41
	s_cselect_b32 vcc_lo, -1, 0
	s_cmp_lt_f32 s10, 0
	s_delay_alu instid0(VALU_DEP_1) | instskip(SKIP_2) | instid1(VALU_DEP_1)
	v_cndmask_b32_e32 v2, 0x7fc00000, v1, vcc_lo
	s_cselect_b32 vcc_lo, -1, 0
	s_cmp_eq_f32 s10, 0
	v_cndmask_b32_e32 v1, v1, v2, vcc_lo
	s_cselect_b32 s41, -1, 0
	s_delay_alu instid0(SALU_CYCLE_1) | instskip(SKIP_2) | instid1(SALU_CYCLE_1)
	s_or_b32 vcc_lo, s41, s36
	s_cmp_lt_f32 s26, 0
	s_cselect_b32 s26, -1, 0
	s_xor_b32 s26, s26, s41
	s_delay_alu instid0(SALU_CYCLE_1)
	s_and_b32 s26, s26, exec_lo
	s_cselect_b32 s26, 0, 0x7f800000
	s_and_b32 s27, s27, exec_lo
	s_cselect_b32 s27, s10, 0
	s_cmp_o_f32 s10, s10
	v_mov_b32_e32 v2, s27
	s_delay_alu instid0(VALU_DEP_1) | instskip(NEXT) | instid1(VALU_DEP_1)
	v_bfi_b32 v2, 0x7fffffff, s26, v2
	v_cndmask_b32_e32 v1, v1, v2, vcc_lo
	s_cselect_b32 vcc_lo, -1, 0
	s_delay_alu instid0(VALU_DEP_1)
	v_cndmask_b32_e32 v27, 0x7fc00000, v1, vcc_lo
.LBB91_4:
	s_bfe_u32 s26, ttmp6, 0x4000c
	s_and_b32 s27, ttmp6, 15
	s_add_co_i32 s26, s26, 1
	s_ashr_i32 s10, s33, 31
	s_mul_i32 s26, ttmp9, s26
	s_ashr_i32 s36, s29, 31
	s_add_co_i32 s27, s27, s26
	v_bfe_u32 v23, v0, 10, 10
	s_cmp_eq_u32 s40, 0
	s_load_b96 s[44:46], s[0:1], 0x70
	s_cselect_b32 s26, ttmp9, s27
	v_and_b32_e32 v48, 0x3ff, v0
	v_lshl_add_u32 v49, s26, 1, v23
	v_lshl_add_u32 v54, v23, 8, 0x1200
	s_delay_alu instid0(VALU_DEP_3) | instskip(NEXT) | instid1(VALU_DEP_3)
	v_dual_mov_b32 v21, 0 :: v_dual_lshlrev_b32 v0, 4, v48
	v_mul_hi_u32 v1, s20, v49
	s_delay_alu instid0(VALU_DEP_1) | instskip(SKIP_3) | instid1(SALU_CYCLE_1)
	v_dual_lshlrev_b32 v51, 3, v48 :: v_dual_add_nc_u32 v1, v49, v1
	s_wait_kmcnt 0x0
	s_mul_i32 s20, s33, s45
	s_ashr_i32 s45, s44, 31
	s_lshr_b64 s[42:43], s[44:45], 2
	v_lshrrev_b32_e32 v1, s21, v1
	s_ashr_i32 s21, s20, 31
	s_delay_alu instid0(VALU_DEP_1) | instskip(NEXT) | instid1(VALU_DEP_1)
	v_mul_lo_u32 v1, v1, s22
	v_sub_nc_u32_e32 v20, v49, v1
	v_mov_b32_e32 v1, v21
	s_delay_alu instid0(VALU_DEP_2) | instskip(SKIP_1) | instid1(SALU_CYCLE_1)
	v_mul_u64_e32 v[2:3], s[42:43], v[20:21]
	s_mul_i32 s42, s28, s46
	s_ashr_i32 s43, s42, 31
	s_cmp_eq_u64 s[14:15], 0
	s_add_nc_u64 s[4:5], s[4:5], s[42:43]
	s_delay_alu instid0(SALU_CYCLE_1)
	s_add_nc_u64 s[4:5], s[4:5], s[20:21]
	s_delay_alu instid0(VALU_DEP_1) | instid1(SALU_CYCLE_1)
	v_lshl_add_u64 v[2:3], v[2:3], 2, s[4:5]
	s_mul_u64 s[4:5], s[34:35], s[38:39]
	s_delay_alu instid0(VALU_DEP_1) | instskip(SKIP_4) | instid1(VALU_DEP_1)
	v_add_nc_u64_e32 v[0:1], v[2:3], v[0:1]
	global_load_b128 v[0:3], v[0:1], off
	s_wait_loadcnt 0x0
	v_fma_mixlo_f16 v4, s24, v0, 0
	v_mov_b32_e32 v0, v3
	v_pk_mul_f32 v[0:1], s[24:25], v[0:1] op_sel_hi:[0,1]
	s_delay_alu instid0(VALU_DEP_1) | instskip(SKIP_2) | instid1(VALU_DEP_3)
	v_cvt_pk_f16_f32 v0, v0, v1
	v_fma_mixlo_f16 v1, s24, v2, 0
	v_and_b32_e32 v2, 0xffff, v4
	v_and_b32_e32 v3, 0xffff0000, v0
	s_delay_alu instid0(VALU_DEP_3) | instskip(NEXT) | instid1(VALU_DEP_2)
	v_and_b32_e32 v1, 0xffff, v1
	v_dual_lshlrev_b32 v0, 16, v0 :: v_dual_bitop2_b32 v2, v3, v2 bitop3:0x54
	v_add_nc_u32_e32 v3, v54, v51
	s_delay_alu instid0(VALU_DEP_2) | instskip(NEXT) | instid1(VALU_DEP_3)
	v_or3_b32 v1, v0, v1, 0
	v_or3_b32 v0, 0, 0, v2
	ds_store_b64 v3, v[0:1]
	s_wait_dscnt 0x0
	s_barrier_signal -1
	s_barrier_wait -1
	s_cbranch_scc1 .LBB91_6
; %bb.5:
	s_load_b32 s2, s[0:1], 0xd0
	s_wait_kmcnt 0x0
	s_mul_i32 s2, s2, s28
	s_delay_alu instid0(SALU_CYCLE_1)
	s_add_co_i32 s2, s2, s26
	s_load_b32 s2, s[14:15], s2 offset:0x0 scale_offset
.LBB91_6:
	s_wait_xcnt 0x0
	s_clause 0x2
	s_load_b64 s[14:15], s[0:1], 0x8c
	s_load_b128 s[24:27], s[0:1], 0x98
	s_load_b64 s[20:21], s[0:1], 0xa8
	s_mul_i32 s4, s5, s3
	s_ashr_i32 s35, s37, 1
	s_sub_co_i32 s34, s34, s4
	s_ashr_i32 s29, s28, 31
	s_xor_b32 s10, s10, s36
	s_add_co_i32 s38, s5, 1
	s_sub_co_i32 s39, s34, s3
	v_dual_lshlrev_b32 v50, 2, v48 :: v_dual_lshrrev_b32 v56, 3, v48
	v_mul_u32_u24_e32 v55, 0x90, v48
	v_lshrrev_b32_e32 v53, 4, v48
	v_mbcnt_lo_u32_b32 v25, -1, 0
	s_delay_alu instid0(VALU_DEP_4)
	v_and_b32_e32 v26, 28, v50
	v_and_b32_e32 v22, 60, v50
	s_wait_kmcnt 0x0
	s_ashr_i32 s4, s14, 2
	s_ashr_i32 s14, s26, 2
	s_cmp_ge_u32 s34, s3
	s_mul_u64 s[36:37], s[20:21], s[28:29]
	s_cselect_b32 s5, s38, s5
	s_cselect_b32 s20, s39, s34
	s_add_co_i32 s21, s5, 1
	s_cmp_ge_u32 s20, s3
	s_mul_u64 s[24:25], s[24:25], s[28:29]
	s_cselect_b32 s3, s21, s5
	s_bfe_u32 s20, ttmp6, 0x40010
	s_xor_b32 s3, s3, s10
	s_and_b32 s5, ttmp7, 0xffff
	s_add_co_i32 s20, s20, 1
	s_sub_co_i32 s3, s3, s10
	s_add_nc_u64 s[6:7], s[6:7], s[24:25]
	s_bfe_u32 s21, ttmp6, 0x40004
	s_mul_i32 s10, s5, s20
	s_mul_i32 s20, s3, s15
	;; [unrolled: 1-line block ×3, first 2 shown]
	s_add_co_i32 s3, s21, s10
	s_ashr_i32 s21, s20, 31
	s_ashr_i32 s25, s24, 31
	s_cmp_eq_u32 s40, 0
	s_add_nc_u64 s[6:7], s[6:7], s[20:21]
	s_cselect_b32 s10, s5, s3
	s_sub_co_i32 s3, s2, 32
	s_lshl_b32 s20, s10, 5
	s_add_nc_u64 s[8:9], s[8:9], s[36:37]
	s_cmp_ge_i32 s20, s3
	s_add_nc_u64 s[8:9], s[8:9], s[24:25]
	s_cbranch_scc1 .LBB91_17
; %bb.7:
	v_lshl_add_u32 v1, v23, 2, v56
	v_lshl_add_u32 v3, v23, 1, v53
	s_ashr_i32 s5, s4, 31
	v_dual_mov_b32 v29, 0 :: v_dual_lshlrev_b32 v2, 2, v26
	s_delay_alu instid0(VALU_DEP_3) | instskip(NEXT) | instid1(VALU_DEP_3)
	v_mul_lo_u32 v30, s4, v1
	v_mul_lo_u32 v0, s14, v3
	s_lshl_b32 s15, s4, 3
	s_cmp_lg_u64 s[30:31], 0
	v_mad_u32_u24 v59, 0x90, v1, v2
	s_cselect_b32 s26, -1, 0
	s_lshl_b32 s21, s14, 2
	v_lshlrev_b32_e32 v4, 2, v22
	v_mad_u32 v57, v20, s35, v48
	v_lshl_add_u32 v58, v23, 6, 0x1400
	v_dual_mov_b32 v52, v29 :: v_dual_add_nc_u32 v61, 0x480, v59
	v_dual_add_nc_u32 v32, s15, v30 :: v_dual_ashrrev_i32 v31, 31, v30
	v_add_nc_u32_e32 v2, s21, v0
	v_lshl_or_b32 v60, v3, 8, v4
	v_dual_mov_b32 v39, v29 :: v_dual_add_nc_u32 v62, 0x900, v59
	s_delay_alu instid0(VALU_DEP_3) | instskip(SKIP_2) | instid1(VALU_DEP_3)
	v_dual_add_nc_u32 v34, s15, v32 :: v_dual_add_nc_u32 v4, s21, v2
	v_ashrrev_i32_e32 v1, 31, v0
	v_dual_ashrrev_i32 v33, 31, v32 :: v_dual_ashrrev_i32 v3, 31, v2
	v_dual_add_nc_u32 v36, s15, v34 :: v_dual_ashrrev_i32 v35, 31, v34
	s_delay_alu instid0(VALU_DEP_4) | instskip(NEXT) | instid1(VALU_DEP_2)
	v_dual_add_nc_u32 v6, s21, v4 :: v_dual_ashrrev_i32 v5, 31, v4
	v_dual_mov_b32 v16, 0xfeffffff :: v_dual_ashrrev_i32 v37, 31, v36
	v_lshlrev_b64_e32 v[40:41], 2, v[0:1]
	s_delay_alu instid0(VALU_DEP_3) | instskip(SKIP_3) | instid1(VALU_DEP_4)
	v_ashrrev_i32_e32 v7, 31, v6
	v_lshlrev_b64_e32 v[42:43], 2, v[2:3]
	v_lshlrev_b64_e32 v[44:45], 2, v[4:5]
	v_dual_mov_b32 v68, v29 :: v_dual_add_nc_u32 v63, 0xd80, v59
	v_lshlrev_b64_e32 v[46:47], 2, v[6:7]
	v_dual_mov_b32 v19, v29 :: v_dual_add_nc_u32 v64, 0x400, v60
	v_add_nc_u32_e32 v65, 0x800, v60
	v_add_nc_u32_e32 v66, 0xc00, v60
	v_lshlrev_b32_e32 v38, 2, v26
	v_lshlrev_b32_e32 v28, 2, v22
	v_mbcnt_lo_u32_b32 v67, -1, 0
	s_ashr_i32 s15, s14, 31
	s_add_nc_u64 s[24:25], s[0:1], 0xd0
	s_mov_b32 s27, 0xbbbac73d
.LBB91_8:                               ; =>This Inner Loop Header: Depth=1
	s_ashr_i32 s21, s20, 31
	v_mov_b32_e32 v21, 0
	s_mul_u64 s[36:37], s[20:21], s[4:5]
                                        ; implicit-def: $vgpr18
	s_delay_alu instid0(SALU_CYCLE_1) | instskip(NEXT) | instid1(SALU_CYCLE_1)
	s_lshl_b64 s[36:37], s[36:37], 2
	s_add_nc_u64 s[36:37], s[6:7], s[36:37]
	s_delay_alu instid0(SALU_CYCLE_1) | instskip(SKIP_3) | instid1(VALU_DEP_4)
	v_lshl_add_u64 v[0:1], v[30:31], 2, s[36:37]
	v_lshl_add_u64 v[2:3], v[32:33], 2, s[36:37]
	;; [unrolled: 1-line block ×4, first 2 shown]
	v_add_nc_u64_e32 v[6:7], v[0:1], v[38:39]
	s_delay_alu instid0(VALU_DEP_4) | instskip(NEXT) | instid1(VALU_DEP_4)
	v_add_nc_u64_e32 v[4:5], v[2:3], v[38:39]
	v_add_nc_u64_e32 v[2:3], v[8:9], v[38:39]
	s_delay_alu instid0(VALU_DEP_4)
	v_add_nc_u64_e32 v[0:1], v[10:11], v[38:39]
	s_clause 0x3
	global_load_b128 v[8:11], v[6:7], off
	global_load_b128 v[12:15], v[4:5], off
	;; [unrolled: 1-line block ×4, first 2 shown]
	s_wait_loadcnt 0x3
	ds_store_b128 v59, v[8:11]
	s_wait_loadcnt 0x2
	ds_store_b128 v61, v[12:15]
	;; [unrolled: 2-line block ×4, first 2 shown]
	s_wait_dscnt 0x0
	s_barrier_signal -1
	s_barrier_wait -1
	ds_load_b128 v[8:11], v55
	ds_load_b128 v[12:15], v54
	s_wait_dscnt 0x0
	;;#ASMSTART
	v_dot2_f32_f16 v21, v8, v12, v21
	;;#ASMEND
	;;#ASMSTART
	v_dot2_f32_f16 v21, v9, v13, v21
	;;#ASMEND
	;;#ASMSTART
	v_dot2_f32_f16 v21, v10, v14, v21
	;;#ASMEND
	;;#ASMSTART
	v_dot2_f32_f16 v21, v11, v15, v21
	;;#ASMEND
	ds_load_b128 v[8:11], v55 offset:16
	ds_load_b128 v[12:15], v54 offset:16
	s_wait_dscnt 0x0
	;;#ASMSTART
	v_dot2_f32_f16 v21, v8, v12, v21
	;;#ASMEND
	;;#ASMSTART
	v_dot2_f32_f16 v21, v9, v13, v21
	;;#ASMEND
	;;#ASMSTART
	v_dot2_f32_f16 v21, v10, v14, v21
	;;#ASMEND
	;;#ASMSTART
	v_dot2_f32_f16 v21, v11, v15, v21
	;;#ASMEND
	ds_load_b128 v[8:11], v55 offset:32
	ds_load_b128 v[12:15], v54 offset:32
	;; [unrolled: 15-line block ×7, first 2 shown]
	s_wait_dscnt 0x0
	;;#ASMSTART
	v_dot2_f32_f16 v21, v8, v12, v21
	;;#ASMEND
	;;#ASMSTART
	v_dot2_f32_f16 v21, v9, v13, v21
	;;#ASMEND
	;; [unrolled: 3-line block ×4, first 2 shown]
	s_barrier_signal -1
	s_barrier_wait -1
	s_clause 0x3
	global_load_b128 v[6:9], v[6:7], off offset:128
	global_load_b128 v[10:13], v[4:5], off offset:128
	;; [unrolled: 1-line block ×4, first 2 shown]
	s_wait_loadcnt 0x3
	ds_store_b128 v59, v[6:9]
	s_wait_loadcnt 0x2
	ds_store_b128 v61, v[10:13]
	;; [unrolled: 2-line block ×4, first 2 shown]
	s_wait_dscnt 0x0
	s_barrier_signal -1
	s_barrier_wait -1
	ds_load_b128 v[0:3], v55
	ds_load_b128 v[4:7], v54 offset:128
	s_wait_dscnt 0x0
	;;#ASMSTART
	v_dot2_f32_f16 v21, v0, v4, v21
	;;#ASMEND
	;;#ASMSTART
	v_dot2_f32_f16 v21, v1, v5, v21
	;;#ASMEND
	;;#ASMSTART
	v_dot2_f32_f16 v21, v2, v6, v21
	;;#ASMEND
	;;#ASMSTART
	v_dot2_f32_f16 v21, v3, v7, v21
	;;#ASMEND
	ds_load_b128 v[0:3], v55 offset:16
	ds_load_b128 v[4:7], v54 offset:144
	s_wait_dscnt 0x0
	;;#ASMSTART
	v_dot2_f32_f16 v21, v0, v4, v21
	;;#ASMEND
	;;#ASMSTART
	v_dot2_f32_f16 v21, v1, v5, v21
	;;#ASMEND
	;;#ASMSTART
	v_dot2_f32_f16 v21, v2, v6, v21
	;;#ASMEND
	;;#ASMSTART
	v_dot2_f32_f16 v21, v3, v7, v21
	;;#ASMEND
	ds_load_b128 v[0:3], v55 offset:32
	;; [unrolled: 15-line block ×7, first 2 shown]
	ds_load_b128 v[4:7], v54 offset:240
	s_wait_dscnt 0x0
	;;#ASMSTART
	v_dot2_f32_f16 v21, v0, v4, v21
	;;#ASMEND
	;;#ASMSTART
	v_dot2_f32_f16 v21, v1, v5, v21
	;;#ASMEND
	;; [unrolled: 3-line block ×4, first 2 shown]
	v_cmp_ngt_f32_e64 s29, 0x3f200000, |v21|
	s_and_saveexec_b32 s34, s29
	s_delay_alu instid0(SALU_CYCLE_1)
	s_xor_b32 s29, exec_lo, s34
	s_cbranch_execnz .LBB91_12
; %bb.9:                                ;   in Loop: Header=BB91_8 Depth=1
	s_and_not1_saveexec_b32 s29, s29
	s_cbranch_execnz .LBB91_13
.LBB91_10:                              ;   in Loop: Header=BB91_8 Depth=1
	s_or_b32 exec_lo, exec_lo, s29
	s_delay_alu instid0(SALU_CYCLE_1)
	s_and_not1_b32 vcc_lo, exec_lo, s26
	s_cbranch_vccnz .LBB91_14
.LBB91_11:                              ;   in Loop: Header=BB91_8 Depth=1
	v_add_nc_u32_e32 v0, s20, v57
	global_load_u16 v0, v0, s[30:31] scale_offset
	s_wait_loadcnt 0x0
	v_cvt_f32_f16_e32 v0, v0
	s_delay_alu instid0(VALU_DEP_1)
	v_mul_f32_e32 v17, v27, v0
	s_branch .LBB91_15
.LBB91_12:                              ;   in Loop: Header=BB91_8 Depth=1
	v_add_f32_e64 v0, |v21|, |v21|
	s_delay_alu instid0(VALU_DEP_1) | instskip(SKIP_1) | instid1(VALU_DEP_2)
	v_mul_f32_e32 v1, 0x3fb8aa3b, v0
	v_cmp_ngt_f32_e32 vcc_lo, 0xc2ce8ed0, v0
	v_rndne_f32_e32 v2, v1
	v_fma_f32 v3, 0x3fb8aa3b, v0, -v1
	s_delay_alu instid0(VALU_DEP_2) | instskip(NEXT) | instid1(VALU_DEP_2)
	v_sub_f32_e32 v1, v1, v2
	v_fmac_f32_e32 v3, 0x32a5705f, v0
	v_cvt_i32_f32_e32 v2, v2
	s_delay_alu instid0(VALU_DEP_2) | instskip(NEXT) | instid1(VALU_DEP_1)
	v_add_f32_e32 v1, v1, v3
	v_exp_f32_e32 v1, v1
	v_nop
	s_delay_alu instid0(TRANS32_DEP_1) | instskip(NEXT) | instid1(VALU_DEP_1)
	v_ldexp_f32 v1, v1, v2
	v_cndmask_b32_e32 v1, 0, v1, vcc_lo
	v_cmp_nlt_f32_e32 vcc_lo, 0x42b17218, v0
	s_delay_alu instid0(VALU_DEP_2) | instskip(NEXT) | instid1(VALU_DEP_1)
	v_cndmask_b32_e32 v0, 0x7f800000, v1, vcc_lo
	v_add_f32_e32 v0, 1.0, v0
	s_delay_alu instid0(VALU_DEP_1) | instskip(SKIP_1) | instid1(TRANS32_DEP_1)
	v_rcp_f32_e32 v0, v0
	v_nop
	v_fma_f32 v18, v0, -2.0, 1.0
	s_and_not1_saveexec_b32 s29, s29
	s_cbranch_execz .LBB91_10
.LBB91_13:                              ;   in Loop: Header=BB91_8 Depth=1
	v_mul_f32_e32 v0, v21, v21
	s_delay_alu instid0(VALU_DEP_1) | instskip(NEXT) | instid1(VALU_DEP_1)
	v_fmaak_f32 v1, s27, v0, 0x3ca908c9
	v_fmaak_f32 v1, v0, v1, 0xbd5c1c4e
	s_delay_alu instid0(VALU_DEP_1) | instskip(NEXT) | instid1(VALU_DEP_1)
	v_fmaak_f32 v1, v0, v1, 0x3e088382
	v_fmaak_f32 v1, v0, v1, 0xbeaaaa99
	s_delay_alu instid0(VALU_DEP_1) | instskip(NEXT) | instid1(VALU_DEP_1)
	v_mul_f32_e64 v1, |v21|, v1
	v_fma_f32 v18, v0, v1, |v21|
	s_or_b32 exec_lo, exec_lo, s29
	s_delay_alu instid0(SALU_CYCLE_1)
	s_and_not1_b32 vcc_lo, exec_lo, s26
	s_cbranch_vccz .LBB91_11
.LBB91_14:                              ;   in Loop: Header=BB91_8 Depth=1
	v_mov_b32_e32 v17, 0
.LBB91_15:                              ;   in Loop: Header=BB91_8 Depth=1
	s_mul_u64 s[36:37], s[20:21], s[14:15]
	s_delay_alu instid0(SALU_CYCLE_1)
	s_lshl_b64 s[36:37], s[36:37], 2
	s_barrier_signal -1
	s_add_nc_u64 s[36:37], s[8:9], s[36:37]
	s_barrier_wait -1
	v_add_nc_u64_e32 v[0:1], s[36:37], v[40:41]
	v_add_nc_u64_e32 v[2:3], s[36:37], v[42:43]
	;; [unrolled: 1-line block ×4, first 2 shown]
	v_bfi_b32 v18, 0x7fffffff, v18, v21
	v_xor_b32_e32 v21, 16, v67
	v_add_nc_u64_e32 v[0:1], v[0:1], v[28:29]
	v_add_nc_u64_e32 v[8:9], v[2:3], v[28:29]
	;; [unrolled: 1-line block ×4, first 2 shown]
	v_fmac_f32_e32 v17, s11, v18
	v_cmp_gt_i32_e32 vcc_lo, 32, v21
	v_max_num_f32_e32 v18, v16, v16
	s_clause 0x3
	global_load_b128 v[0:3], v[0:1], off
	global_load_b128 v[4:7], v[8:9], off
	;; [unrolled: 1-line block ×4, first 2 shown]
	s_or_b32 s36, s20, 16
	v_add_f32_e32 v24, 0x40051340, v17
	v_cndmask_b32_e32 v21, v67, v21, vcc_lo
	s_ashr_i32 s37, s36, 31
	s_delay_alu instid0(SALU_CYCLE_1) | instskip(NEXT) | instid1(VALU_DEP_1)
	s_mul_u64 s[36:37], s[36:37], s[14:15]
	v_dual_max_num_f32 v18, v18, v24 :: v_dual_lshlrev_b32 v21, 2, v21
	s_lshl_b64 s[36:37], s[36:37], 2
	s_delay_alu instid0(SALU_CYCLE_1)
	s_add_nc_u64 s[36:37], s[8:9], s[36:37]
	ds_bpermute_b32 v21, v21, v18
	v_xor_b32_e32 v24, 8, v67
	v_add_nc_u64_e32 v[70:71], s[36:37], v[40:41]
	v_add_nc_u64_e32 v[72:73], s[36:37], v[42:43]
	;; [unrolled: 1-line block ×4, first 2 shown]
	s_delay_alu instid0(VALU_DEP_4) | instskip(NEXT) | instid1(VALU_DEP_4)
	v_add_nc_u64_e32 v[70:71], v[70:71], v[28:29]
	v_add_nc_u64_e32 v[100:101], v[72:73], v[28:29]
	s_delay_alu instid0(VALU_DEP_4) | instskip(NEXT) | instid1(VALU_DEP_4)
	v_add_nc_u64_e32 v[104:105], v[74:75], v[28:29]
	v_add_nc_u64_e32 v[108:109], v[76:77], v[28:29]
	s_wait_dscnt 0x0
	v_max_num_f32_e32 v21, v21, v21
	v_cmp_gt_i32_e32 vcc_lo, 32, v24
	s_delay_alu instid0(VALU_DEP_2) | instskip(NEXT) | instid1(VALU_DEP_1)
	v_dual_max_num_f32 v18, v18, v21 :: v_dual_cndmask_b32 v24, v67, v24, vcc_lo
	v_lshlrev_b32_e32 v24, 2, v24
	ds_bpermute_b32 v21, v24, v18
	s_wait_dscnt 0x0
	v_dual_max_num_f32 v21, v21, v21 :: v_dual_bitop2_b32 v24, 4, v67 bitop3:0x14
	s_delay_alu instid0(VALU_DEP_1) | instskip(NEXT) | instid1(VALU_DEP_2)
	v_max_num_f32_e32 v18, v18, v21
	v_cmp_gt_i32_e32 vcc_lo, 32, v24
	v_cndmask_b32_e32 v24, v67, v24, vcc_lo
	s_delay_alu instid0(VALU_DEP_1) | instskip(SKIP_2) | instid1(VALU_DEP_1)
	v_lshlrev_b32_e32 v24, 2, v24
	ds_bpermute_b32 v21, v24, v18
	v_xor_b32_e32 v24, 2, v67
	v_cmp_gt_i32_e32 vcc_lo, 32, v24
	s_wait_dscnt 0x0
	v_max_num_f32_e32 v21, v21, v21
	s_delay_alu instid0(VALU_DEP_1) | instskip(NEXT) | instid1(VALU_DEP_1)
	v_dual_max_num_f32 v18, v18, v21 :: v_dual_cndmask_b32 v24, v67, v24, vcc_lo
	v_lshlrev_b32_e32 v24, 2, v24
	ds_bpermute_b32 v21, v24, v18
	v_xor_b32_e32 v24, 1, v67
	s_delay_alu instid0(VALU_DEP_1) | instskip(SKIP_2) | instid1(VALU_DEP_1)
	v_cmp_gt_i32_e32 vcc_lo, 32, v24
	v_cndmask_b32_e32 v24, v67, v24, vcc_lo
	s_wait_dscnt 0x0
	v_dual_max_num_f32 v21, v21, v21 :: v_dual_lshlrev_b32 v24, 2, v24
	s_delay_alu instid0(VALU_DEP_1) | instskip(SKIP_3) | instid1(VALU_DEP_1)
	v_max_num_f32_e32 v18, v18, v21
	ds_bpermute_b32 v21, v24, v18
	s_wait_dscnt 0x0
	v_max_num_f32_e32 v21, v21, v21
	v_max_num_f32_e32 v24, v18, v21
	s_delay_alu instid0(VALU_DEP_1) | instskip(NEXT) | instid1(VALU_DEP_1)
	v_sub_f32_e32 v17, v17, v24
	v_mul_f32_e32 v18, 0x3fb8aa3b, v17
	v_cmp_ngt_f32_e32 vcc_lo, 0xc2ce8ed0, v17
	s_delay_alu instid0(VALU_DEP_2) | instskip(SKIP_1) | instid1(VALU_DEP_2)
	v_fma_f32 v21, 0x3fb8aa3b, v17, -v18
	v_rndne_f32_e32 v69, v18
	v_fmac_f32_e32 v21, 0x32a5705f, v17
	s_delay_alu instid0(VALU_DEP_2) | instskip(NEXT) | instid1(VALU_DEP_1)
	v_sub_f32_e32 v18, v18, v69
	v_add_f32_e32 v18, v18, v21
	v_cvt_i32_f32_e32 v21, v69
	v_add_nc_u32_e32 v69, 0x800, v51
	s_delay_alu instid0(VALU_DEP_3) | instskip(SKIP_1) | instid1(TRANS32_DEP_1)
	v_exp_f32_e32 v18, v18
	v_nop
	v_ldexp_f32 v18, v18, v21
	s_delay_alu instid0(VALU_DEP_1) | instskip(SKIP_2) | instid1(VALU_DEP_3)
	v_dual_cndmask_b32 v18, 0, v18, vcc_lo :: v_dual_sub_f32 v16, v16, v24
	v_cmp_nlt_f32_e32 vcc_lo, 0x42b17218, v17
	v_lshl_add_u32 v17, v48, 1, v58
	v_cndmask_b32_e32 v21, 0x7f800000, v18, vcc_lo
	s_delay_alu instid0(VALU_DEP_4) | instskip(NEXT) | instid1(VALU_DEP_2)
	v_cmp_ngt_f32_e32 vcc_lo, 0xc2ce8ed0, v16
	v_cvt_f16_f32_e32 v18, v21
	ds_store_b16 v17, v18
	s_wait_loadcnt 0x3
	ds_store_b128 v60, v[0:3]
	s_wait_loadcnt 0x2
	ds_store_b128 v64, v[4:7]
	;; [unrolled: 2-line block ×4, first 2 shown]
	s_wait_dscnt 0x0
	s_barrier_signal -1
	s_barrier_wait -1
	ds_load_2addr_b64 v[72:75], v51 offset1:32
	ds_load_b128 v[76:79], v58
	ds_load_b128 v[4:7], v58 offset:16
	ds_load_2addr_b64 v[80:83], v51 offset0:64 offset1:96
	ds_load_2addr_b64 v[84:87], v51 offset0:128 offset1:160
	;; [unrolled: 1-line block ×3, first 2 shown]
	ds_load_2addr_b64 v[92:95], v69 offset1:32
	ds_load_2addr_b64 v[12:15], v69 offset0:64 offset1:96
	ds_load_2addr_b64 v[8:11], v69 offset0:128 offset1:160
	;; [unrolled: 1-line block ×3, first 2 shown]
	s_wait_dscnt 0x0
	s_barrier_signal -1
	s_barrier_wait -1
	s_clause 0x3
	global_load_b128 v[96:99], v[70:71], off
	global_load_b128 v[100:103], v[100:101], off
	;; [unrolled: 1-line block ×4, first 2 shown]
	v_mul_f32_e32 v17, 0x3fb8aa3b, v16
	s_wait_loadcnt 0x3
	ds_store_b128 v60, v[96:99]
	s_wait_loadcnt 0x2
	ds_store_b128 v64, v[100:103]
	;; [unrolled: 2-line block ×4, first 2 shown]
	v_fma_f32 v18, 0x3fb8aa3b, v16, -v17
	v_rndne_f32_e32 v70, v17
	s_wait_dscnt 0x0
	s_barrier_signal -1
	s_barrier_wait -1
	s_delay_alu instid0(VALU_DEP_1) | instskip(NEXT) | instid1(VALU_DEP_1)
	v_dual_fmac_f32 v18, 0x32a5705f, v16 :: v_dual_sub_f32 v17, v17, v70
	v_add_f32_e32 v17, v17, v18
	v_cvt_i32_f32_e32 v18, v70
	s_delay_alu instid0(VALU_DEP_2) | instskip(SKIP_1) | instid1(TRANS32_DEP_1)
	v_exp_f32_e32 v17, v17
	v_nop
	v_ldexp_f32 v17, v17, v18
	s_delay_alu instid0(VALU_DEP_1) | instskip(SKIP_1) | instid1(VALU_DEP_2)
	v_dual_cndmask_b32 v17, 0, v17 :: v_dual_lshrrev_b32 v18, 16, v76
	v_cmp_nlt_f32_e32 vcc_lo, 0x42b17218, v16
	v_mul_u32_u24_e32 v18, 0x10001, v18
	s_delay_alu instid0(VALU_DEP_3) | instskip(SKIP_1) | instid1(VALU_DEP_2)
	v_cndmask_b32_e32 v70, 0x7f800000, v17, vcc_lo
	v_and_b32_e32 v17, 0xffff, v76
	v_cvt_f16_f32_e32 v16, v70
	s_delay_alu instid0(VALU_DEP_2) | instskip(NEXT) | instid1(VALU_DEP_2)
	v_mul_u32_u24_e32 v17, 0x10001, v17
	v_and_b32_e32 v16, 0xffff, v16
	s_delay_alu instid0(VALU_DEP_2) | instskip(SKIP_2) | instid1(VALU_DEP_4)
	v_pk_mul_f16 v71, v72, v17
	v_and_b32_e32 v72, 0xffff, v77
	v_pk_mul_f16 v17, v73, v17
	v_mul_u32_u24_e32 v16, 0x10001, v16
	s_delay_alu instid0(VALU_DEP_3) | instskip(NEXT) | instid1(VALU_DEP_2)
	v_mul_u32_u24_e32 v72, 0x10001, v72
	v_pk_fma_f16 v52, v52, v16, v71
	v_lshrrev_b32_e32 v71, 16, v77
	v_pk_fma_f16 v16, v19, v16, v17
	v_and_b32_e32 v19, 0xffff, v78
	s_delay_alu instid0(VALU_DEP_4) | instskip(NEXT) | instid1(VALU_DEP_4)
	v_pk_fma_f16 v17, v74, v18, v52
	v_mul_u32_u24_e32 v52, 0x10001, v71
	s_delay_alu instid0(VALU_DEP_4)
	v_pk_fma_f16 v16, v75, v18, v16
	v_lshrrev_b32_e32 v18, 16, v78
	v_mul_u32_u24_e32 v19, 0x10001, v19
	v_pk_fma_f16 v17, v80, v72, v17
	v_and_b32_e32 v71, 0xffff, v79
	v_pk_fma_f16 v16, v81, v72, v16
	s_delay_alu instid0(VALU_DEP_3) | instskip(NEXT) | instid1(VALU_DEP_3)
	v_pk_fma_f16 v17, v82, v52, v17
	v_mul_u32_u24_e32 v71, 0x10001, v71
	s_delay_alu instid0(VALU_DEP_3) | instskip(SKIP_3) | instid1(VALU_DEP_4)
	v_pk_fma_f16 v16, v83, v52, v16
	v_lshrrev_b32_e32 v52, 16, v79
	v_mul_u32_u24_e32 v18, 0x10001, v18
	v_pk_fma_f16 v17, v84, v19, v17
	v_pk_fma_f16 v16, v85, v19, v16
	v_and_b32_e32 v19, 0xffff, v4
	v_mul_u32_u24_e32 v52, 0x10001, v52
	s_delay_alu instid0(VALU_DEP_4)
	v_pk_fma_f16 v17, v86, v18, v17
	v_lshrrev_b32_e32 v4, 16, v4
	v_pk_fma_f16 v16, v87, v18, v16
	v_mul_u32_u24_e32 v18, 0x10001, v19
	v_and_b32_e32 v19, 0xffff, v5
	v_pk_fma_f16 v17, v88, v71, v17
	v_lshrrev_b32_e32 v5, 16, v5
	v_pk_fma_f16 v16, v89, v71, v16
	v_mul_u32_u24_e32 v4, 0x10001, v4
	v_mul_u32_u24_e32 v71, 0x10001, v19
	v_pk_fma_f16 v17, v90, v52, v17
	v_mul_u32_u24_e32 v5, 0x10001, v5
	v_pk_fma_f16 v16, v91, v52, v16
	v_and_b32_e32 v52, 0xffff, v6
	s_delay_alu instid0(VALU_DEP_4) | instskip(NEXT) | instid1(VALU_DEP_3)
	v_pk_fma_f16 v17, v92, v18, v17
	v_pk_fma_f16 v16, v93, v18, v16
	s_delay_alu instid0(VALU_DEP_3) | instskip(NEXT) | instid1(VALU_DEP_3)
	v_mul_u32_u24_e32 v52, 0x10001, v52
	v_pk_fma_f16 v17, v94, v4, v17
	s_delay_alu instid0(VALU_DEP_3) | instskip(NEXT) | instid1(VALU_DEP_2)
	v_pk_fma_f16 v4, v95, v4, v16
	v_pk_fma_f16 v12, v12, v71, v17
	ds_load_b128 v[16:19], v58 offset:32
	v_pk_fma_f16 v4, v13, v71, v4
	v_lshrrev_b32_e32 v6, 16, v6
	v_and_b32_e32 v13, 0xffff, v7
	v_pk_fma_f16 v12, v14, v5, v12
	v_lshrrev_b32_e32 v7, 16, v7
	v_pk_fma_f16 v4, v15, v5, v4
	v_fmac_f32_e32 v21, v68, v70
	v_mul_u32_u24_e32 v71, 0x10001, v13
	v_pk_fma_f16 v5, v8, v52, v12
	ds_load_2addr_b64 v[12:15], v51 offset1:32
	v_pk_fma_f16 v4, v9, v52, v4
	v_mul_u32_u24_e32 v52, 0x10001, v7
	s_wait_dscnt 0x1
	v_and_b32_e32 v73, 0xffff, v16
	v_lshrrev_b32_e32 v16, 16, v16
	v_mul_u32_u24_e32 v6, 0x10001, v6
	v_and_b32_e32 v76, 0xffff, v18
	s_delay_alu instid0(VALU_DEP_3) | instskip(NEXT) | instid1(VALU_DEP_3)
	v_mul_u32_u24_e32 v16, 0x10001, v16
	v_pk_fma_f16 v5, v10, v6, v5
	v_pk_fma_f16 v72, v11, v6, v4
	s_delay_alu instid0(VALU_DEP_2) | instskip(NEXT) | instid1(VALU_DEP_2)
	v_pk_fma_f16 v0, v0, v71, v5
	v_pk_fma_f16 v1, v1, v71, v72
	ds_load_2addr_b64 v[8:11], v51 offset0:64 offset1:96
	ds_load_b128 v[4:7], v58 offset:48
	v_mul_u32_u24_e32 v72, 0x10001, v73
	v_and_b32_e32 v73, 0xffff, v17
	v_pk_fma_f16 v71, v2, v52, v0
	v_pk_fma_f16 v52, v3, v52, v1
	ds_load_2addr_b64 v[0:3], v51 offset0:128 offset1:160
	v_lshrrev_b32_e32 v17, 16, v17
	s_wait_dscnt 0x3
	v_pk_fma_f16 v12, v12, v72, v71
	v_pk_fma_f16 v13, v13, v72, v52
	v_mul_u32_u24_e32 v52, 0x10001, v73
	ds_load_2addr_b64 v[72:75], v69 offset1:32
	v_pk_fma_f16 v71, v14, v16, v12
	v_pk_fma_f16 v16, v15, v16, v13
	ds_load_2addr_b64 v[12:15], v51 offset0:192 offset1:224
	s_wait_dscnt 0x4
	v_pk_fma_f16 v8, v8, v52, v71
	v_pk_fma_f16 v9, v9, v52, v16
	v_lshrrev_b32_e32 v16, 16, v18
	v_mul_u32_u24_e32 v17, 0x10001, v17
	v_mul_u32_u24_e32 v18, 0x10001, v76
	v_and_b32_e32 v71, 0xffff, v19
	ds_load_2addr_b64 v[76:79], v69 offset0:128 offset1:160
	v_mul_u32_u24_e32 v16, 0x10001, v16
	v_pk_fma_f16 v52, v10, v17, v8
	v_pk_fma_f16 v17, v11, v17, v9
	ds_load_2addr_b64 v[8:11], v69 offset0:64 offset1:96
	s_wait_dscnt 0x4
	v_pk_fma_f16 v0, v0, v18, v52
	v_pk_fma_f16 v1, v1, v18, v17
	v_lshrrev_b32_e32 v17, 16, v19
	v_mul_u32_u24_e32 v18, 0x10001, v71
	v_and_b32_e32 v52, 0xffff, v4
	v_pk_fma_f16 v19, v2, v16, v0
	v_pk_fma_f16 v16, v3, v16, v1
	v_lshrrev_b32_e32 v4, 16, v4
	v_mul_u32_u24_e32 v17, 0x10001, v17
	ds_load_2addr_b64 v[0:3], v69 offset0:192 offset1:224
	s_wait_dscnt 0x3
	v_pk_fma_f16 v12, v12, v18, v19
	v_pk_fma_f16 v13, v13, v18, v16
	v_mul_u32_u24_e32 v16, 0x10001, v52
	v_mul_u32_u24_e32 v4, 0x10001, v4
	s_wait_dscnt 0x0
	v_pk_fma_f16 v12, v14, v17, v12
	v_pk_fma_f16 v13, v15, v17, v13
	v_and_b32_e32 v14, 0xffff, v5
	v_lshrrev_b32_e32 v5, 16, v5
	s_barrier_signal -1
	v_pk_fma_f16 v12, v72, v16, v12
	v_pk_fma_f16 v13, v73, v16, v13
	v_mul_u32_u24_e32 v14, 0x10001, v14
	s_barrier_wait -1
	s_delay_alu instid0(VALU_DEP_3) | instskip(NEXT) | instid1(VALU_DEP_3)
	v_pk_fma_f16 v12, v74, v4, v12
	v_pk_fma_f16 v4, v75, v4, v13
	v_and_b32_e32 v13, 0xffff, v6
	v_lshrrev_b32_e32 v6, 16, v6
	v_mul_u32_u24_e32 v5, 0x10001, v5
	v_pk_fma_f16 v8, v8, v14, v12
	v_pk_fma_f16 v4, v9, v14, v4
	s_load_b32 s21, s[24:25], 0x4
	v_mul_u32_u24_e32 v9, 0x10001, v13
	v_mul_u32_u24_e32 v6, 0x10001, v6
	v_pk_fma_f16 v8, v10, v5, v8
	v_pk_fma_f16 v4, v11, v5, v4
	v_and_b32_e32 v5, 0xffff, v7
	v_lshrrev_b32_e32 v7, 16, v7
	s_delay_alu instid0(VALU_DEP_4) | instskip(NEXT) | instid1(VALU_DEP_4)
	v_pk_fma_f16 v8, v76, v9, v8
	v_pk_fma_f16 v4, v77, v9, v4
	s_delay_alu instid0(VALU_DEP_4) | instskip(NEXT) | instid1(VALU_DEP_3)
	v_mul_u32_u24_e32 v5, 0x10001, v5
	v_pk_fma_f16 v8, v78, v6, v8
	s_delay_alu instid0(VALU_DEP_3) | instskip(SKIP_1) | instid1(VALU_DEP_3)
	v_pk_fma_f16 v4, v79, v6, v4
	v_mul_u32_u24_e32 v6, 0x10001, v7
	v_pk_fma_f16 v0, v0, v5, v8
	s_delay_alu instid0(VALU_DEP_3) | instskip(SKIP_2) | instid1(SALU_CYCLE_1)
	v_pk_fma_f16 v1, v1, v5, v4
	s_wait_kmcnt 0x0
	s_lshl_b32 s21, s21, 5
	s_add_co_i32 s20, s21, s20
	v_pk_fma_f16 v52, v2, v6, v0
	v_pk_fma_f16 v19, v3, v6, v1
	s_cmp_lt_i32 s20, s3
	s_cbranch_scc0 .LBB91_18
; %bb.16:                               ;   in Loop: Header=BB91_8 Depth=1
	v_dual_mov_b32 v16, v24 :: v_dual_mov_b32 v68, v21
	s_branch .LBB91_8
.LBB91_17:
	v_dual_mov_b32 v19, 0 :: v_dual_mov_b32 v24, 0xfeffffff
	v_mov_b32_e32 v52, 0
.LBB91_18:
	s_cmp_gt_i32 s2, s20
	s_cbranch_scc1 .LBB91_21
; %bb.19:
	v_mbcnt_lo_u32_b32 v1, -1, 0
	v_mov_b32_e32 v0, 32
	s_delay_alu instid0(VALU_DEP_2)
	v_xor_b32_e32 v36, 16, v1
	v_xor_b32_e32 v34, 8, v1
	;; [unrolled: 1-line block ×5, first 2 shown]
	s_cbranch_execz .LBB91_22
; %bb.20:
	v_mov_b32_e32 v25, v1
	s_branch .LBB91_32
.LBB91_21:
                                        ; implicit-def: $vgpr1
                                        ; implicit-def: $vgpr0
                                        ; implicit-def: $vgpr36
                                        ; implicit-def: $vgpr34
                                        ; implicit-def: $vgpr35
                                        ; implicit-def: $vgpr37
                                        ; implicit-def: $vgpr38
.LBB91_22:
	v_lshl_add_u32 v18, v23, 2, v56
	s_ashr_i32 s21, s20, 31
	s_ashr_i32 s5, s4, 31
	v_dual_mov_b32 v2, 0 :: v_dual_lshlrev_b32 v3, 20, v25
	s_delay_alu instid0(VALU_DEP_2)
	v_mul_lo_u32 v10, s4, v18
	s_mul_u64 s[24:25], s[20:21], s[4:5]
	s_lshl_b32 s4, s4, 3
	s_lshl_b64 s[24:25], s[24:25], 2
	v_add_nc_u64_e32 v[6:7], src_flat_scratch_base_lo, v[2:3]
	s_add_nc_u64 s[36:37], s[6:7], s[24:25]
	s_mov_b32 s24, 0
	s_sub_co_i32 s7, s2, s20
	s_mov_b32 s25, s24
	s_mov_b32 s26, s24
	v_lshlrev_b32_e32 v4, 2, v26
	v_dual_ashrrev_i32 v11, 31, v10 :: v_dual_mov_b32 v5, 0
	v_cmp_gt_i32_e32 vcc_lo, s7, v18
	v_add_nc_u32_e32 v16, 8, v18
	s_delay_alu instid0(VALU_DEP_3) | instskip(NEXT) | instid1(VALU_DEP_2)
	v_lshl_add_u64 v[0:1], v[10:11], 2, s[36:37]
	v_cmp_gt_i32_e64 s2, s7, v16
	v_add_nc_u32_e32 v28, s4, v10
	s_delay_alu instid0(VALU_DEP_3) | instskip(SKIP_1) | instid1(VALU_DEP_3)
	v_add_nc_u64_e32 v[8:9], v[0:1], v[4:5]
	v_dual_mov_b32 v0, s24 :: v_dual_mov_b32 v1, s25
	v_dual_mov_b32 v2, s26 :: v_dual_ashrrev_i32 v29, 31, v28
	s_clause 0x1
	scratch_store_b32 off, v5, off
	scratch_store_b96 off, v[0:2], off offset:4
	v_dual_cndmask_b32 v13, v7, v9 :: v_dual_cndmask_b32 v12, v6, v8
	v_lshl_add_u64 v[10:11], v[28:29], 2, s[36:37]
	v_mad_u32_u24 v26, 0x90, v18, v4
	v_add_nc_u64_e32 v[8:9], 0x80, v[8:9]
	flat_load_b128 v[12:15], v[12:13]
	v_add_nc_u64_e32 v[10:11], v[10:11], v[4:5]
	s_clause 0x1
	scratch_store_b32 off, v5, off
	scratch_store_b96 off, v[0:2], off offset:4
	v_dual_cndmask_b32 v9, v7, v9 :: v_dual_cndmask_b32 v8, v6, v8
	v_dual_cndmask_b32 v17, v7, v11, s2 :: v_dual_cndmask_b32 v16, v6, v10, s2
	v_dual_add_nc_u32 v32, s4, v28 :: v_dual_add_nc_u32 v28, 16, v18
	s_delay_alu instid0(VALU_DEP_1) | instskip(NEXT) | instid1(VALU_DEP_2)
	v_ashrrev_i32_e32 v33, 31, v32
	v_cmp_gt_i32_e64 s3, s7, v28
	s_wait_loadcnt_dscnt 0x0
	ds_store_b128 v26, v[12:15]
	flat_load_b128 v[14:17], v[16:17]
	s_wait_xcnt 0x3
	v_lshl_add_u64 v[12:13], v[32:33], 2, s[36:37]
	s_clause 0x1
	scratch_store_b32 off, v5, off
	scratch_store_b96 off, v[0:2], off offset:4
	v_add_nc_u64_e32 v[12:13], v[12:13], v[4:5]
	s_delay_alu instid0(VALU_DEP_1) | instskip(SKIP_1) | instid1(VALU_DEP_1)
	v_dual_cndmask_b32 v29, v7, v13, s3 :: v_dual_cndmask_b32 v28, v6, v12, s3
	v_add_nc_u64_e32 v[12:13], 0x80, v[12:13]
	v_dual_cndmask_b32 v13, v7, v13, s3 :: v_dual_cndmask_b32 v12, v6, v12, s3
	s_wait_loadcnt_dscnt 0x0
	ds_store_b128 v26, v[14:17] offset:1152
	flat_load_b128 v[28:31], v[28:29]
	s_wait_xcnt 0x3
	v_dual_add_nc_u32 v14, s4, v32 :: v_dual_add_nc_u32 v16, 24, v18
	s_clause 0x1
	scratch_store_b32 off, v5, off
	scratch_store_b96 off, v[0:2], off offset:4
	v_cmp_gt_i32_e64 s4, s7, v16
	v_ashrrev_i32_e32 v15, 31, v14
	s_delay_alu instid0(VALU_DEP_1) | instskip(NEXT) | instid1(VALU_DEP_1)
	v_lshl_add_u64 v[14:15], v[14:15], 2, s[36:37]
	v_add_nc_u64_e32 v[14:15], v[14:15], v[4:5]
	s_delay_alu instid0(VALU_DEP_1) | instskip(NEXT) | instid1(VALU_DEP_2)
	v_dual_mov_b32 v4, v5 :: v_dual_cndmask_b32 v17, v7, v15, s4
	v_cndmask_b32_e64 v16, v6, v14, s4
	s_wait_loadcnt_dscnt 0x0
	ds_store_b128 v26, v[28:31] offset:2304
	flat_load_b128 v[28:31], v[16:17]
	s_wait_loadcnt_dscnt 0x0
	ds_store_b128 v26, v[28:31] offset:3456
	s_wait_storecnt_dscnt 0x0
	s_barrier_signal -1
	s_barrier_wait -1
	ds_load_b128 v[28:31], v55
	ds_load_b128 v[32:35], v54
	s_wait_dscnt 0x0
	;;#ASMSTART
	v_dot2_f32_f16 v4, v28, v32, v4
	;;#ASMEND
	;;#ASMSTART
	v_dot2_f32_f16 v4, v29, v33, v4
	;;#ASMEND
	;;#ASMSTART
	v_dot2_f32_f16 v4, v30, v34, v4
	;;#ASMEND
	;;#ASMSTART
	v_dot2_f32_f16 v4, v31, v35, v4
	;;#ASMEND
	ds_load_b128 v[28:31], v55 offset:16
	ds_load_b128 v[32:35], v54 offset:16
	s_wait_dscnt 0x0
	;;#ASMSTART
	v_dot2_f32_f16 v4, v28, v32, v4
	;;#ASMEND
	;;#ASMSTART
	v_dot2_f32_f16 v4, v29, v33, v4
	;;#ASMEND
	;;#ASMSTART
	v_dot2_f32_f16 v4, v30, v34, v4
	;;#ASMEND
	;;#ASMSTART
	v_dot2_f32_f16 v4, v31, v35, v4
	;;#ASMEND
	ds_load_b128 v[28:31], v55 offset:32
	ds_load_b128 v[32:35], v54 offset:32
	;; [unrolled: 15-line block ×7, first 2 shown]
	s_wait_dscnt 0x0
	;;#ASMSTART
	v_dot2_f32_f16 v4, v28, v32, v4
	;;#ASMEND
	;;#ASMSTART
	v_dot2_f32_f16 v4, v29, v33, v4
	;;#ASMEND
	;; [unrolled: 3-line block ×4, first 2 shown]
	s_barrier_signal -1
	s_barrier_wait -1
	s_clause 0x1
	scratch_store_b32 off, v5, off
	scratch_store_b96 off, v[0:2], off offset:4
	flat_load_b128 v[28:31], v[8:9]
	s_wait_xcnt 0x0
	v_add_nc_u64_e32 v[8:9], 0x80, v[10:11]
	s_clause 0x1
	scratch_store_b32 off, v5, off
	scratch_store_b96 off, v[0:2], off offset:4
	v_dual_cndmask_b32 v9, v7, v9, s2 :: v_dual_cndmask_b32 v8, v6, v8, s2
	s_wait_loadcnt_dscnt 0x0
	ds_store_b128 v26, v[28:31]
	flat_load_b128 v[8:11], v[8:9]
	s_clause 0x1
	scratch_store_b32 off, v5, off
	scratch_store_b96 off, v[0:2], off offset:4
	s_wait_loadcnt_dscnt 0x0
	ds_store_b128 v26, v[8:11] offset:1152
	flat_load_b128 v[8:11], v[12:13]
	s_wait_xcnt 0x0
	v_add_nc_u64_e32 v[12:13], 0x80, v[14:15]
	s_clause 0x1
	scratch_store_b32 off, v5, off
	scratch_store_b96 off, v[0:2], off offset:4
                                        ; implicit-def: $vgpr0
	v_dual_cndmask_b32 v7, v7, v13, s4 :: v_dual_cndmask_b32 v6, v6, v12, s4
	s_wait_loadcnt_dscnt 0x0
	ds_store_b128 v26, v[8:11] offset:2304
	flat_load_b128 v[6:9], v[6:7]
	s_wait_loadcnt_dscnt 0x0
	ds_store_b128 v26, v[6:9] offset:3456
	s_wait_storecnt_dscnt 0x0
	s_barrier_signal -1
	s_barrier_wait -1
	s_wait_xcnt 0x0
	ds_load_b128 v[6:9], v55
	ds_load_b128 v[10:13], v54 offset:128
	s_wait_dscnt 0x0
	;;#ASMSTART
	v_dot2_f32_f16 v4, v6, v10, v4
	;;#ASMEND
	;;#ASMSTART
	v_dot2_f32_f16 v4, v7, v11, v4
	;;#ASMEND
	;;#ASMSTART
	v_dot2_f32_f16 v4, v8, v12, v4
	;;#ASMEND
	;;#ASMSTART
	v_dot2_f32_f16 v4, v9, v13, v4
	;;#ASMEND
	ds_load_b128 v[6:9], v55 offset:16
	ds_load_b128 v[10:13], v54 offset:144
	s_wait_dscnt 0x0
	;;#ASMSTART
	v_dot2_f32_f16 v4, v6, v10, v4
	;;#ASMEND
	;;#ASMSTART
	v_dot2_f32_f16 v4, v7, v11, v4
	;;#ASMEND
	;;#ASMSTART
	v_dot2_f32_f16 v4, v8, v12, v4
	;;#ASMEND
	;;#ASMSTART
	v_dot2_f32_f16 v4, v9, v13, v4
	;;#ASMEND
	ds_load_b128 v[6:9], v55 offset:32
	;; [unrolled: 15-line block ×7, first 2 shown]
	ds_load_b128 v[10:13], v54 offset:240
	s_wait_dscnt 0x0
	;;#ASMSTART
	v_dot2_f32_f16 v4, v6, v10, v4
	;;#ASMEND
	;;#ASMSTART
	v_dot2_f32_f16 v4, v7, v11, v4
	;;#ASMEND
	;; [unrolled: 3-line block ×4, first 2 shown]
	v_cmp_ngt_f32_e64 s2, 0x3f200000, |v4|
	s_and_saveexec_b32 s3, s2
	s_delay_alu instid0(SALU_CYCLE_1)
	s_xor_b32 s2, exec_lo, s3
	s_cbranch_execz .LBB91_24
; %bb.23:
	v_add_f32_e64 v0, |v4|, |v4|
	s_delay_alu instid0(VALU_DEP_1) | instskip(SKIP_1) | instid1(VALU_DEP_2)
	v_mul_f32_e32 v1, 0x3fb8aa3b, v0
	v_cmp_ngt_f32_e32 vcc_lo, 0xc2ce8ed0, v0
	v_rndne_f32_e32 v2, v1
	v_fma_f32 v5, 0x3fb8aa3b, v0, -v1
	s_delay_alu instid0(VALU_DEP_2) | instskip(NEXT) | instid1(VALU_DEP_2)
	v_sub_f32_e32 v1, v1, v2
	v_fmamk_f32 v5, v0, 0x32a5705f, v5
	v_cvt_i32_f32_e32 v2, v2
	s_delay_alu instid0(VALU_DEP_2) | instskip(NEXT) | instid1(VALU_DEP_1)
	v_add_f32_e32 v1, v1, v5
	v_exp_f32_e32 v1, v1
	v_nop
	s_delay_alu instid0(TRANS32_DEP_1) | instskip(NEXT) | instid1(VALU_DEP_1)
	v_ldexp_f32 v1, v1, v2
	v_cndmask_b32_e32 v1, 0, v1, vcc_lo
	v_cmp_nlt_f32_e32 vcc_lo, 0x42b17218, v0
	s_delay_alu instid0(VALU_DEP_2) | instskip(NEXT) | instid1(VALU_DEP_1)
	v_cndmask_b32_e32 v0, 0x7f800000, v1, vcc_lo
	v_add_f32_e32 v0, 1.0, v0
	s_delay_alu instid0(VALU_DEP_1) | instskip(SKIP_1) | instid1(TRANS32_DEP_1)
	v_rcp_f32_e32 v0, v0
	v_nop
	v_fma_f32 v0, v0, -2.0, 1.0
.LBB91_24:
	s_and_not1_saveexec_b32 s2, s2
	s_cbranch_execz .LBB91_26
; %bb.25:
	v_mul_f32_e32 v0, v4, v4
	s_mov_b32 s3, 0xbbbac73d
	s_delay_alu instid0(VALU_DEP_1) | instid1(SALU_CYCLE_1)
	v_fmaak_f32 v1, s3, v0, 0x3ca908c9
	s_delay_alu instid0(VALU_DEP_1) | instskip(NEXT) | instid1(VALU_DEP_1)
	v_fmaak_f32 v1, v0, v1, 0xbd5c1c4e
	v_fmaak_f32 v1, v0, v1, 0x3e088382
	s_delay_alu instid0(VALU_DEP_1) | instskip(NEXT) | instid1(VALU_DEP_1)
	v_fmaak_f32 v1, v0, v1, 0xbeaaaa99
	v_mul_f32_e64 v1, |v4|, v1
	s_delay_alu instid0(VALU_DEP_1)
	v_fma_f32 v0, v0, v1, |v4|
.LBB91_26:
	s_or_b32 exec_lo, exec_lo, s2
	s_delay_alu instid0(VALU_DEP_1) | instskip(SKIP_1) | instid1(VALU_DEP_1)
	v_bfi_b32 v0, 0x7fffffff, v0, v4
	s_mov_b32 s2, exec_lo
	v_dual_mov_b32 v1, v24 :: v_dual_mul_f32 v0, s11, v0
	v_cmpx_gt_i32_e64 s7, v48
	s_cbranch_execz .LBB91_31
; %bb.27:
	s_cmp_eq_u64 s[30:31], 0
	s_cbranch_scc1 .LBB91_29
; %bb.28:
	v_mul_lo_u32 v1, v20, s35
	s_delay_alu instid0(VALU_DEP_1) | instskip(SKIP_3) | instid1(VALU_DEP_1)
	v_add3_u32 v1, v1, v48, s20
	global_load_u16 v1, v1, s[30:31] scale_offset
	s_wait_loadcnt 0x0
	v_cvt_f32_f16_e32 v1, v1
	v_mul_f32_e32 v1, v27, v1
	s_branch .LBB91_30
.LBB91_29:
	v_mov_b32_e32 v1, 0
.LBB91_30:
	v_max_num_f32_e32 v2, v24, v24
	s_delay_alu instid0(VALU_DEP_2) | instskip(NEXT) | instid1(VALU_DEP_1)
	v_add_f32_e32 v0, v0, v1
	v_add_f32_e32 v1, 0x40051340, v0
	s_delay_alu instid0(VALU_DEP_1)
	v_max_num_f32_e32 v1, v2, v1
.LBB91_31:
	s_or_b32 exec_lo, exec_lo, s2
	v_xor_b32_e32 v36, 16, v25
	v_xor_b32_e32 v38, 1, v25
	s_ashr_i32 s15, s14, 31
	v_lshlrev_b32_e32 v22, 2, v22
	s_mul_u64 s[2:3], s[20:21], s[14:15]
	v_cmp_gt_i32_e32 vcc_lo, 32, v36
	s_lshl_b64 s[2:3], s[2:3], 2
	s_mov_b32 s4, 0
	s_add_nc_u64 s[2:3], s[8:9], s[2:3]
	s_mov_b32 s5, s4
	v_dual_cndmask_b32 v2, v25, v36, vcc_lo :: v_dual_bitop2_b32 v34, 8, v25 bitop3:0x14
	s_mov_b32 s6, s4
	s_barrier_signal -1
	s_delay_alu instid0(VALU_DEP_1) | instskip(NEXT) | instid1(VALU_DEP_2)
	v_lshlrev_b32_e32 v2, 2, v2
	v_cmp_gt_i32_e32 vcc_lo, 32, v34
	s_barrier_wait -1
	v_xor_b32_e32 v35, 4, v25
	ds_bpermute_b32 v2, v2, v1
	v_max_num_f32_e32 v1, v1, v1
	v_dual_cndmask_b32 v4, v25, v34, vcc_lo :: v_dual_lshlrev_b32 v40, 6, v23
	v_cmp_gt_i32_e32 vcc_lo, 32, v35
	v_dual_lshlrev_b32 v8, 1, v48 :: v_dual_mov_b32 v18, s6
	v_dual_mov_b32 v17, s5 :: v_dual_mov_b32 v16, s4
	s_lshl_b32 s4, s14, 2
	s_wait_dscnt 0x0
	v_dual_max_num_f32 v2, v2, v2 :: v_dual_lshlrev_b32 v4, 2, v4
	s_delay_alu instid0(VALU_DEP_1) | instskip(SKIP_3) | instid1(VALU_DEP_1)
	v_max_num_f32_e32 v1, v1, v2
	ds_bpermute_b32 v2, v4, v1
	s_wait_dscnt 0x0
	v_dual_cndmask_b32 v4, v25, v35, vcc_lo :: v_dual_max_num_f32 v2, v2, v2
	v_dual_max_num_f32 v1, v1, v2 :: v_dual_lshlrev_b32 v4, 2, v4
	ds_bpermute_b32 v2, v4, v1
	s_wait_dscnt 0x0
	v_dual_max_num_f32 v2, v2, v2 :: v_dual_bitop2_b32 v37, 2, v25 bitop3:0x14
	s_delay_alu instid0(VALU_DEP_1) | instskip(NEXT) | instid1(VALU_DEP_2)
	v_cmp_gt_i32_e32 vcc_lo, 32, v37
	v_max_num_f32_e32 v1, v1, v2
	v_cndmask_b32_e32 v4, v25, v37, vcc_lo
	v_cmp_gt_i32_e32 vcc_lo, 32, v38
	s_delay_alu instid0(VALU_DEP_2) | instskip(SKIP_3) | instid1(VALU_DEP_1)
	v_lshlrev_b32_e32 v4, 2, v4
	ds_bpermute_b32 v2, v4, v1
	v_cndmask_b32_e32 v4, v25, v38, vcc_lo
	s_wait_dscnt 0x0
	v_dual_lshlrev_b32 v4, 2, v4 :: v_dual_max_num_f32 v2, v2, v2
	s_delay_alu instid0(VALU_DEP_1)
	v_max_num_f32_e32 v1, v1, v2
	ds_bpermute_b32 v2, v4, v1
	v_lshl_add_u32 v4, v23, 1, v53
	v_mov_b32_e32 v23, 0
	s_clause 0x1
	scratch_store_b32 off, v23, off
	scratch_store_b96 off, v[16:18], off offset:4
	v_mul_lo_u32 v10, s14, v4
	v_lshl_or_b32 v78, v4, 8, v22
	v_dual_add_nc_u32 v53, 4, v4 :: v_dual_add_nc_u32 v79, 8, v4
	v_add_nc_u32_e32 v81, 12, v4
	s_delay_alu instid0(VALU_DEP_2) | instskip(NEXT) | instid1(VALU_DEP_3)
	v_lshl_or_b32 v80, v53, 8, v22
	v_lshl_or_b32 v82, v79, 8, v22
	s_delay_alu instid0(VALU_DEP_3) | instskip(SKIP_3) | instid1(VALU_DEP_1)
	v_lshl_or_b32 v83, v81, 8, v22
	v_ashrrev_i32_e32 v11, 31, v10
	s_wait_dscnt 0x0
	v_max_num_f32_e32 v2, v2, v2
	v_max_num_f32_e32 v20, v1, v2
	s_delay_alu instid0(VALU_DEP_1) | instskip(NEXT) | instid1(VALU_DEP_1)
	v_sub_f32_e32 v5, v0, v20
	v_mul_f32_e32 v0, 0x3fb8aa3b, v5
	v_cmp_ngt_f32_e32 vcc_lo, 0xc2ce8ed0, v5
	s_delay_alu instid0(VALU_DEP_2) | instskip(SKIP_1) | instid1(VALU_DEP_1)
	v_fma_f32 v1, 0x3fb8aa3b, v5, -v0
	v_rndne_f32_e32 v2, v0
	v_dual_fmac_f32 v1, 0x32a5705f, v5 :: v_dual_sub_f32 v0, v0, v2
	v_cvt_i32_f32_e32 v2, v2
	s_delay_alu instid0(VALU_DEP_2) | instskip(NEXT) | instid1(VALU_DEP_1)
	v_add_f32_e32 v0, v0, v1
	v_exp_f32_e32 v6, v0
	v_nop
	v_lshlrev_b64_e32 v[0:1], 2, v[10:11]
	s_delay_alu instid0(TRANS32_DEP_1) | instskip(SKIP_1) | instid1(VALU_DEP_3)
	v_ldexp_f32 v9, v6, v2
	v_mov_b32_e32 v2, 0
	v_add_nc_u64_e32 v[6:7], s[2:3], v[0:1]
	s_delay_alu instid0(VALU_DEP_3) | instskip(SKIP_1) | instid1(VALU_DEP_4)
	v_cndmask_b32_e32 v9, 0, v9, vcc_lo
	v_cmp_nlt_f32_e32 vcc_lo, 0x42b17218, v5
	v_add_nc_u64_e32 v[26:27], src_flat_scratch_base_lo, v[2:3]
	s_delay_alu instid0(VALU_DEP_4) | instskip(NEXT) | instid1(VALU_DEP_4)
	v_add_nc_u64_e32 v[2:3], v[6:7], v[22:23]
	v_cndmask_b32_e32 v5, 0x7f800000, v9, vcc_lo
	v_cmp_gt_u32_e32 vcc_lo, s7, v48
	s_delay_alu instid0(VALU_DEP_2) | instskip(SKIP_2) | instid1(VALU_DEP_3)
	v_cndmask_b32_e32 v39, 0, v5, vcc_lo
	v_cmp_gt_i32_e32 vcc_lo, s7, v4
	v_add3_u32 v5, 0x1400, v40, v8
	v_cvt_f16_f32_e32 v6, v39
	v_dual_cndmask_b32 v3, v27, v3 :: v_dual_cndmask_b32 v2, v26, v2
	v_cmp_gt_i32_e32 vcc_lo, s7, v53
	ds_store_b16 v5, v6
	flat_load_b128 v[6:9], v[2:3]
	s_wait_xcnt 0x0
	v_add_nc_u32_e32 v2, s4, v10
	s_clause 0x1
	scratch_store_b32 off, v23, off
	scratch_store_b96 off, v[16:18], off offset:4
	v_ashrrev_i32_e32 v3, 31, v2
	s_delay_alu instid0(VALU_DEP_1) | instskip(NEXT) | instid1(VALU_DEP_1)
	v_lshlrev_b64_e32 v[28:29], 2, v[2:3]
	v_add_nc_u64_e32 v[10:11], s[2:3], v[28:29]
	s_delay_alu instid0(VALU_DEP_1) | instskip(NEXT) | instid1(VALU_DEP_1)
	v_add_nc_u64_e32 v[10:11], v[10:11], v[22:23]
	v_dual_cndmask_b32 v11, v27, v11 :: v_dual_cndmask_b32 v10, v26, v10
	v_cmp_gt_i32_e32 vcc_lo, s7, v79
	v_add_nc_u32_e32 v2, s4, v2
	s_delay_alu instid0(VALU_DEP_1) | instskip(NEXT) | instid1(VALU_DEP_1)
	v_ashrrev_i32_e32 v3, 31, v2
	v_lshlrev_b64_e32 v[30:31], 2, v[2:3]
	s_wait_loadcnt_dscnt 0x0
	ds_store_b128 v78, v[6:9]
	flat_load_b128 v[6:9], v[10:11]
	s_wait_xcnt 0x0
	v_add_nc_u64_e32 v[10:11], s[2:3], v[30:31]
	s_clause 0x1
	scratch_store_b32 off, v23, off
	scratch_store_b96 off, v[16:18], off offset:4
	v_add_nc_u64_e32 v[10:11], v[10:11], v[22:23]
	s_delay_alu instid0(VALU_DEP_1) | instskip(SKIP_3) | instid1(VALU_DEP_2)
	v_dual_cndmask_b32 v11, v27, v11 :: v_dual_cndmask_b32 v10, v26, v10
	v_add_nc_u32_e32 v2, s4, v2
	v_cmp_gt_i32_e32 vcc_lo, s7, v81
	s_add_co_i32 s7, s7, -16
	v_ashrrev_i32_e32 v3, 31, v2
	s_delay_alu instid0(VALU_DEP_1) | instskip(NEXT) | instid1(VALU_DEP_1)
	v_lshlrev_b64_e32 v[32:33], 2, v[2:3]
	v_add_nc_u64_e32 v[2:3], s[2:3], v[32:33]
	s_or_b32 s2, s20, 16
	s_delay_alu instid0(SALU_CYCLE_1) | instskip(NEXT) | instid1(SALU_CYCLE_1)
	s_ashr_i32 s3, s2, 31
	s_mul_u64 s[2:3], s[2:3], s[14:15]
	s_delay_alu instid0(SALU_CYCLE_1) | instskip(NEXT) | instid1(VALU_DEP_1)
	s_lshl_b64 s[2:3], s[2:3], 2
	v_add_nc_u64_e32 v[2:3], v[2:3], v[22:23]
	s_add_nc_u64 s[2:3], s[8:9], s[2:3]
	s_delay_alu instid0(SALU_CYCLE_1) | instskip(SKIP_2) | instid1(VALU_DEP_4)
	v_add_nc_u64_e32 v[0:1], s[2:3], v[0:1]
	v_add_nc_u64_e32 v[28:29], s[2:3], v[28:29]
	;; [unrolled: 1-line block ×3, first 2 shown]
	v_cndmask_b32_e32 v2, v26, v2, vcc_lo
	s_delay_alu instid0(VALU_DEP_4)
	v_add_nc_u64_e32 v[0:1], v[0:1], v[22:23]
	v_cndmask_b32_e32 v3, v27, v3, vcc_lo
	v_cmp_gt_i32_e32 vcc_lo, s7, v4
	v_add_nc_u32_e32 v41, 0x800, v51
	v_add_nc_u64_e32 v[28:29], v[28:29], v[22:23]
	v_add_nc_u64_e32 v[32:33], v[32:33], v[22:23]
	v_dual_cndmask_b32 v47, v27, v1 :: v_dual_cndmask_b32 v46, v26, v0
	v_cmp_gt_i32_e32 vcc_lo, s7, v53
	s_delay_alu instid0(VALU_DEP_4)
	v_dual_cndmask_b32 v29, v27, v29 :: v_dual_cndmask_b32 v28, v26, v28
	v_cmp_gt_i32_e32 vcc_lo, s7, v79
	s_wait_loadcnt_dscnt 0x0
	ds_store_b128 v80, v[6:9]
	flat_load_b128 v[6:9], v[10:11]
	s_clause 0x1
	scratch_store_b32 off, v23, off
	scratch_store_b96 off, v[16:18], off offset:4
	s_wait_loadcnt_dscnt 0x0
	ds_store_b128 v82, v[6:9]
	flat_load_b128 v[6:9], v[2:3]
	s_wait_loadcnt_dscnt 0x0
	ds_store_b128 v83, v[6:9]
	s_wait_storecnt_dscnt 0x0
	s_barrier_signal -1
	s_barrier_wait -1
	ds_load_2addr_b64 v[42:45], v51 offset1:32
	ds_load_b128 v[54:57], v40 offset:5120
	ds_load_b128 v[4:7], v40 offset:5136
	ds_load_2addr_b64 v[58:61], v51 offset0:64 offset1:96
	ds_load_2addr_b64 v[62:65], v51 offset0:128 offset1:160
	;; [unrolled: 1-line block ×3, first 2 shown]
	ds_load_2addr_b64 v[70:73], v41 offset1:32
	ds_load_2addr_b64 v[12:15], v41 offset0:64 offset1:96
	s_wait_xcnt 0x3
	ds_load_2addr_b64 v[8:11], v41 offset0:128 offset1:160
	s_wait_xcnt 0x0
	ds_load_2addr_b64 v[0:3], v41 offset0:192 offset1:224
	s_wait_dscnt 0x0
	s_barrier_signal -1
	s_barrier_wait -1
	s_clause 0x1
	scratch_store_b32 off, v23, off
	scratch_store_b96 off, v[16:18], off offset:4
	flat_load_b128 v[74:77], v[46:47]
	s_clause 0x1
	scratch_store_b32 off, v23, off
	scratch_store_b96 off, v[16:18], off offset:4
	s_wait_loadcnt_dscnt 0x0
	ds_store_b128 v78, v[74:77]
	flat_load_b128 v[74:77], v[28:29]
	s_wait_xcnt 0x0
	v_add_nc_u64_e32 v[28:29], s[2:3], v[30:31]
	s_clause 0x1
	scratch_store_b32 off, v23, off
	scratch_store_b96 off, v[16:18], off offset:4
	v_add_nc_u64_e32 v[28:29], v[28:29], v[22:23]
	s_delay_alu instid0(VALU_DEP_1)
	v_dual_cndmask_b32 v29, v27, v29 :: v_dual_cndmask_b32 v28, v26, v28
	v_cmp_gt_i32_e32 vcc_lo, s7, v81
	v_dual_cndmask_b32 v27, v27, v33 :: v_dual_cndmask_b32 v26, v26, v32
	s_wait_loadcnt_dscnt 0x0
	ds_store_b128 v80, v[74:77]
	flat_load_b128 v[28:31], v[28:29]
	s_clause 0x1
	scratch_store_b32 off, v23, off
	scratch_store_b96 off, v[16:18], off offset:4
	s_wait_xcnt 0x0
	v_sub_f32_e32 v16, v24, v20
	v_and_b32_e32 v24, 0xffff, v55
	s_delay_alu instid0(VALU_DEP_2) | instskip(SKIP_1) | instid1(VALU_DEP_3)
	v_mul_f32_e32 v17, 0x3fb8aa3b, v16
	v_cmp_ngt_f32_e32 vcc_lo, 0xc2ce8ed0, v16
	v_mul_u32_u24_e32 v24, 0x10001, v24
	s_delay_alu instid0(VALU_DEP_3) | instskip(SKIP_1) | instid1(VALU_DEP_1)
	v_fma_f32 v18, 0x3fb8aa3b, v16, -v17
	v_rndne_f32_e32 v22, v17
	v_dual_fmac_f32 v18, 0x32a5705f, v16 :: v_dual_sub_f32 v17, v17, v22
	s_delay_alu instid0(VALU_DEP_1)
	v_add_f32_e32 v17, v17, v18
	v_cvt_i32_f32_e32 v18, v22
	s_wait_loadcnt_dscnt 0x0
	ds_store_b128 v82, v[28:31]
	flat_load_b128 v[26:29], v[26:27]
	v_lshrrev_b32_e32 v30, 16, v55
	v_exp_f32_e32 v17, v17
	v_nop
	s_delay_alu instid0(TRANS32_DEP_1) | instskip(NEXT) | instid1(VALU_DEP_1)
	v_ldexp_f32 v17, v17, v18
	v_dual_cndmask_b32 v17, 0, v17 :: v_dual_lshrrev_b32 v18, 16, v54
	v_cmp_nlt_f32_e32 vcc_lo, 0x42b17218, v16
	s_delay_alu instid0(VALU_DEP_2) | instskip(NEXT) | instid1(VALU_DEP_3)
	v_mul_u32_u24_e32 v18, 0x10001, v18
	v_cndmask_b32_e32 v22, 0x7f800000, v17, vcc_lo
	v_and_b32_e32 v17, 0xffff, v54
	s_delay_alu instid0(VALU_DEP_2) | instskip(NEXT) | instid1(VALU_DEP_2)
	v_cvt_f16_f32_e32 v16, v22
	v_mul_u32_u24_e32 v17, 0x10001, v17
	s_delay_alu instid0(VALU_DEP_2) | instskip(NEXT) | instid1(VALU_DEP_2)
	v_and_b32_e32 v16, 0xffff, v16
	v_pk_mul_f16 v23, v42, v17
	v_pk_mul_f16 v17, v43, v17
	s_delay_alu instid0(VALU_DEP_3) | instskip(NEXT) | instid1(VALU_DEP_1)
	v_mul_u32_u24_e32 v16, 0x10001, v16
	v_pk_fma_f16 v23, v52, v16, v23
	s_delay_alu instid0(VALU_DEP_3) | instskip(SKIP_1) | instid1(VALU_DEP_3)
	v_pk_fma_f16 v16, v19, v16, v17
	v_and_b32_e32 v19, 0xffff, v56
	v_pk_fma_f16 v17, v44, v18, v23
	s_delay_alu instid0(VALU_DEP_3)
	v_pk_fma_f16 v16, v45, v18, v16
	v_mul_u32_u24_e32 v23, 0x10001, v30
	v_lshrrev_b32_e32 v18, 16, v56
	v_mul_u32_u24_e32 v19, 0x10001, v19
	v_pk_fma_f16 v17, v58, v24, v17
	v_pk_fma_f16 v16, v59, v24, v16
	v_and_b32_e32 v24, 0xffff, v57
	v_mul_u32_u24_e32 v18, 0x10001, v18
	s_delay_alu instid0(VALU_DEP_4) | instskip(NEXT) | instid1(VALU_DEP_4)
	v_pk_fma_f16 v17, v60, v23, v17
	v_pk_fma_f16 v16, v61, v23, v16
	v_lshrrev_b32_e32 v23, 16, v57
	v_mul_u32_u24_e32 v24, 0x10001, v24
	s_delay_alu instid0(VALU_DEP_4) | instskip(NEXT) | instid1(VALU_DEP_4)
	v_pk_fma_f16 v17, v62, v19, v17
	v_pk_fma_f16 v16, v63, v19, v16
	v_and_b32_e32 v19, 0xffff, v4
	v_lshrrev_b32_e32 v4, 16, v4
	v_mul_u32_u24_e32 v23, 0x10001, v23
	v_pk_fma_f16 v17, v64, v18, v17
	v_pk_fma_f16 v16, v65, v18, v16
	v_mul_u32_u24_e32 v18, 0x10001, v19
	v_and_b32_e32 v19, 0xffff, v5
	v_mul_u32_u24_e32 v4, 0x10001, v4
	v_pk_fma_f16 v17, v66, v24, v17
	v_pk_fma_f16 v16, v67, v24, v16
	v_lshrrev_b32_e32 v5, 16, v5
	v_mul_u32_u24_e32 v24, 0x10001, v19
	s_delay_alu instid0(VALU_DEP_4) | instskip(NEXT) | instid1(VALU_DEP_4)
	v_pk_fma_f16 v17, v68, v23, v17
	v_pk_fma_f16 v16, v69, v23, v16
	v_and_b32_e32 v23, 0xffff, v6
	v_lshrrev_b32_e32 v6, 16, v6
	v_mul_u32_u24_e32 v5, 0x10001, v5
	v_pk_fma_f16 v17, v70, v18, v17
	v_pk_fma_f16 v16, v71, v18, v16
	v_mul_u32_u24_e32 v23, 0x10001, v23
	v_mul_u32_u24_e32 v6, 0x10001, v6
	s_delay_alu instid0(VALU_DEP_4) | instskip(NEXT) | instid1(VALU_DEP_4)
	v_pk_fma_f16 v17, v72, v4, v17
	v_pk_fma_f16 v4, v73, v4, v16
	s_delay_alu instid0(VALU_DEP_2) | instskip(NEXT) | instid1(VALU_DEP_2)
	v_pk_fma_f16 v12, v12, v24, v17
	v_pk_fma_f16 v4, v13, v24, v4
	v_and_b32_e32 v13, 0xffff, v7
	v_dual_lshrrev_b32 v7, 16, v7 :: v_dual_fmac_f32 v39, v21, v22
	s_delay_alu instid0(VALU_DEP_4) | instskip(NEXT) | instid1(VALU_DEP_4)
	v_pk_fma_f16 v12, v14, v5, v12
	v_pk_fma_f16 v4, v15, v5, v4
	s_delay_alu instid0(VALU_DEP_4) | instskip(NEXT) | instid1(VALU_DEP_4)
	v_mul_u32_u24_e32 v24, 0x10001, v13
	v_mov_b32_e32 v21, v39
	s_delay_alu instid0(VALU_DEP_4) | instskip(NEXT) | instid1(VALU_DEP_4)
	v_pk_fma_f16 v5, v8, v23, v12
	v_pk_fma_f16 v4, v9, v23, v4
	v_mul_u32_u24_e32 v23, 0x10001, v7
	s_delay_alu instid0(VALU_DEP_3) | instskip(NEXT) | instid1(VALU_DEP_1)
	v_pk_fma_f16 v5, v10, v6, v5
	v_pk_fma_f16 v0, v0, v24, v5
	s_wait_loadcnt_dscnt 0x0
	ds_store_b128 v83, v[26:29]
	s_wait_storecnt_dscnt 0x0
	s_barrier_signal -1
	s_barrier_wait -1
	ds_load_b128 v[16:19], v40 offset:5152
	ds_load_2addr_b64 v[12:15], v51 offset1:32
	s_wait_xcnt 0x0
	v_pk_fma_f16 v26, v11, v6, v4
	ds_load_b128 v[4:7], v40 offset:5168
	ds_load_2addr_b64 v[8:11], v51 offset0:64 offset1:96
	v_pk_fma_f16 v1, v1, v24, v26
	v_pk_fma_f16 v24, v2, v23, v0
	s_delay_alu instid0(VALU_DEP_2) | instskip(SKIP_4) | instid1(VALU_DEP_2)
	v_pk_fma_f16 v23, v3, v23, v1
	ds_load_2addr_b64 v[0:3], v51 offset0:128 offset1:160
	s_wait_dscnt 0x4
	v_and_b32_e32 v27, 0xffff, v16
	v_lshrrev_b32_e32 v16, 16, v16
	v_mul_u32_u24_e32 v26, 0x10001, v27
	v_and_b32_e32 v27, 0xffff, v17
	v_lshrrev_b32_e32 v17, 16, v17
	s_delay_alu instid0(VALU_DEP_4)
	v_mul_u32_u24_e32 v16, 0x10001, v16
	s_wait_dscnt 0x3
	v_pk_fma_f16 v12, v12, v26, v24
	v_pk_fma_f16 v13, v13, v26, v23
	v_mul_u32_u24_e32 v23, 0x10001, v27
	v_and_b32_e32 v26, 0xffff, v18
	v_mul_u32_u24_e32 v17, 0x10001, v17
	v_pk_fma_f16 v24, v14, v16, v12
	v_pk_fma_f16 v16, v15, v16, v13
	ds_load_2addr_b64 v[12:15], v51 offset0:192 offset1:224
	s_wait_dscnt 0x2
	v_pk_fma_f16 v8, v8, v23, v24
	v_pk_fma_f16 v9, v9, v23, v16
	v_lshrrev_b32_e32 v16, 16, v18
	v_mul_u32_u24_e32 v18, 0x10001, v26
	v_and_b32_e32 v24, 0xffff, v19
	v_pk_fma_f16 v23, v10, v17, v8
	v_pk_fma_f16 v17, v11, v17, v9
	ds_load_2addr_b64 v[8:11], v41 offset1:32
	s_wait_dscnt 0x2
	v_pk_fma_f16 v0, v0, v18, v23
	v_pk_fma_f16 v1, v1, v18, v17
	v_lshrrev_b32_e32 v17, 16, v19
	v_mul_u32_u24_e32 v16, 0x10001, v16
	v_mul_u32_u24_e32 v18, 0x10001, v24
	v_and_b32_e32 v23, 0xffff, v4
	v_lshrrev_b32_e32 v4, 16, v4
	v_mul_u32_u24_e32 v17, 0x10001, v17
	v_pk_fma_f16 v19, v2, v16, v0
	v_pk_fma_f16 v16, v3, v16, v1
	ds_load_2addr_b64 v[0:3], v41 offset0:64 offset1:96
	v_mov_b32_e32 v24, v20
	s_wait_dscnt 0x2
	v_pk_fma_f16 v12, v12, v18, v19
	v_pk_fma_f16 v13, v13, v18, v16
	v_mul_u32_u24_e32 v16, 0x10001, v23
	v_and_b32_e32 v19, 0xffff, v5
	v_lshrrev_b32_e32 v5, 16, v5
	v_pk_fma_f16 v18, v14, v17, v12
	v_pk_fma_f16 v17, v15, v17, v13
	ds_load_2addr_b64 v[12:15], v41 offset0:128 offset1:160
	v_mul_u32_u24_e32 v4, 0x10001, v4
	v_mul_u32_u24_e32 v5, 0x10001, v5
	s_wait_dscnt 0x2
	v_pk_fma_f16 v8, v8, v16, v18
	v_pk_fma_f16 v9, v9, v16, v17
	v_mul_u32_u24_e32 v16, 0x10001, v19
	v_and_b32_e32 v18, 0xffff, v6
	s_delay_alu instid0(VALU_DEP_4) | instskip(NEXT) | instid1(VALU_DEP_4)
	v_pk_fma_f16 v17, v10, v4, v8
	v_pk_fma_f16 v4, v11, v4, v9
	ds_load_2addr_b64 v[8:11], v41 offset0:192 offset1:224
	s_wait_dscnt 0x0
	s_barrier_signal -1
	v_pk_fma_f16 v0, v0, v16, v17
	v_pk_fma_f16 v1, v1, v16, v4
	v_lshrrev_b32_e32 v4, 16, v6
	v_mul_u32_u24_e32 v6, 0x10001, v18
	s_barrier_wait -1
	v_pk_fma_f16 v0, v2, v5, v0
	v_pk_fma_f16 v1, v3, v5, v1
	v_and_b32_e32 v2, 0xffff, v7
	v_mul_u32_u24_e32 v3, 0x10001, v4
	v_lshrrev_b32_e32 v4, 16, v7
	v_pk_fma_f16 v0, v12, v6, v0
	v_pk_fma_f16 v1, v13, v6, v1
	v_mul_u32_u24_e32 v2, 0x10001, v2
	s_delay_alu instid0(VALU_DEP_3) | instskip(NEXT) | instid1(VALU_DEP_3)
	v_pk_fma_f16 v0, v14, v3, v0
	v_pk_fma_f16 v1, v15, v3, v1
	v_mul_u32_u24_e32 v3, 0x10001, v4
	s_delay_alu instid0(VALU_DEP_3) | instskip(NEXT) | instid1(VALU_DEP_3)
	v_pk_fma_f16 v4, v8, v2, v0
	v_pk_fma_f16 v1, v9, v2, v1
	v_mov_b32_e32 v0, 32
	s_delay_alu instid0(VALU_DEP_3) | instskip(NEXT) | instid1(VALU_DEP_3)
	v_pk_fma_f16 v52, v10, v3, v4
	v_pk_fma_f16 v19, v11, v3, v1
.LBB91_32:
	s_delay_alu instid0(VALU_DEP_3)
	v_cmp_lt_i32_e32 vcc_lo, v36, v0
	s_cmp_eq_u64 s[12:13], 0
	s_cselect_b32 s2, -1, 0
	s_cmp_lg_u32 s10, 0
	v_cndmask_b32_e32 v1, v25, v36, vcc_lo
	v_cmp_lt_i32_e32 vcc_lo, v34, v0
	s_cselect_b32 s3, -1, 0
	s_delay_alu instid0(SALU_CYCLE_1) | instskip(NEXT) | instid1(VALU_DEP_2)
	s_or_b32 s2, s3, s2
	v_dual_cndmask_b32 v2, v25, v34 :: v_dual_lshlrev_b32 v1, 2, v1
	v_cmp_lt_i32_e32 vcc_lo, v35, v0
	s_delay_alu instid0(VALU_DEP_2) | instskip(SKIP_4) | instid1(VALU_DEP_2)
	v_lshlrev_b32_e32 v2, 2, v2
	ds_bpermute_b32 v1, v1, v21
	v_cndmask_b32_e32 v3, v25, v35, vcc_lo
	v_cmp_lt_i32_e32 vcc_lo, v37, v0
	s_wait_dscnt 0x0
	v_dual_lshlrev_b32 v3, 2, v3 :: v_dual_add_f32 v1, v21, v1
	ds_bpermute_b32 v2, v2, v1
	s_wait_dscnt 0x0
	v_add_f32_e32 v1, v1, v2
	ds_bpermute_b32 v2, v3, v1
	v_cndmask_b32_e32 v3, v25, v37, vcc_lo
	v_cmp_lt_i32_e32 vcc_lo, v38, v0
	v_cndmask_b32_e32 v0, v25, v38, vcc_lo
	s_and_b32 vcc_lo, exec_lo, s2
	s_delay_alu instid0(VALU_DEP_1)
	v_dual_lshlrev_b32 v0, 2, v0 :: v_dual_lshlrev_b32 v3, 2, v3
	s_wait_dscnt 0x0
	v_add_f32_e32 v1, v1, v2
	ds_bpermute_b32 v2, v3, v1
	s_wait_dscnt 0x0
	v_add_f32_e32 v1, v1, v2
	ds_bpermute_b32 v0, v0, v1
	s_wait_dscnt 0x0
	v_add_f32_e32 v25, v1, v0
	s_cbranch_vccnz .LBB91_35
; %bb.33:
	v_mov_b32_e32 v0, s33
	global_load_b32 v1, v0, s[12:13] scale_offset
	s_wait_loadcnt 0x0
	v_dual_max_num_f32 v0, v24, v24 :: v_dual_max_num_f32 v2, v1, v1
	s_delay_alu instid0(VALU_DEP_1) | instskip(NEXT) | instid1(VALU_DEP_1)
	v_max_num_f32_e32 v0, v0, v2
	v_sub_f32_e32 v2, v24, v0
	s_delay_alu instid0(VALU_DEP_1) | instskip(NEXT) | instid1(VALU_DEP_1)
	v_mul_f32_e32 v3, 0x3fb8aa3b, v2
	v_fma_f32 v4, 0x3fb8aa3b, v2, -v3
	v_rndne_f32_e32 v5, v3
	s_delay_alu instid0(VALU_DEP_1) | instskip(NEXT) | instid1(VALU_DEP_3)
	v_dual_sub_f32 v3, v3, v5 :: v_dual_sub_f32 v1, v1, v0
	v_fmac_f32_e32 v4, 0x32a5705f, v2
	v_cvt_i32_f32_e32 v5, v5
	v_cmp_ngt_f32_e32 vcc_lo, 0xc2ce8ed0, v2
	s_delay_alu instid0(VALU_DEP_3) | instskip(NEXT) | instid1(VALU_DEP_1)
	v_dual_mul_f32 v6, 0x3fb8aa3b, v1 :: v_dual_add_f32 v3, v3, v4
	v_fma_f32 v7, 0x3fb8aa3b, v1, -v6
	s_delay_alu instid0(VALU_DEP_2) | instskip(SKIP_1) | instid1(VALU_DEP_2)
	v_exp_f32_e32 v3, v3
	v_rndne_f32_e32 v8, v6
	v_fmac_f32_e32 v7, 0x32a5705f, v1
	s_delay_alu instid0(TRANS32_DEP_1) | instskip(NEXT) | instid1(VALU_DEP_3)
	v_ldexp_f32 v3, v3, v5
	v_sub_f32_e32 v4, v6, v8
	v_cvt_i32_f32_e32 v5, v8
	s_delay_alu instid0(VALU_DEP_3) | instskip(SKIP_1) | instid1(VALU_DEP_2)
	v_cndmask_b32_e32 v3, 0, v3, vcc_lo
	v_cmp_nlt_f32_e32 vcc_lo, 0x42b17218, v2
	v_cndmask_b32_e32 v2, 0x7f800000, v3, vcc_lo
	v_add_f32_e32 v4, v4, v7
	v_cmp_ngt_f32_e32 vcc_lo, 0xc2ce8ed0, v1
	s_delay_alu instid0(VALU_DEP_2) | instskip(SKIP_1) | instid1(TRANS32_DEP_1)
	v_exp_f32_e32 v4, v4
	v_nop
	v_ldexp_f32 v3, v4, v5
	v_cvt_f16_f32_e32 v4, v2
	s_delay_alu instid0(VALU_DEP_2) | instskip(SKIP_1) | instid1(VALU_DEP_3)
	v_cndmask_b32_e32 v3, 0, v3, vcc_lo
	v_cmp_nlt_f32_e32 vcc_lo, 0x42b17218, v1
	v_and_b32_e32 v4, 0xffff, v4
	s_delay_alu instid0(VALU_DEP_3) | instskip(NEXT) | instid1(VALU_DEP_2)
	v_cndmask_b32_e32 v1, 0x7f800000, v3, vcc_lo
	v_mul_u32_u24_e32 v3, 0x10001, v4
	s_delay_alu instid0(VALU_DEP_2) | instskip(NEXT) | instid1(VALU_DEP_2)
	v_fmac_f32_e32 v1, v25, v2
	v_pk_mul_f16 v52, v52, v3
	v_pk_mul_f16 v19, v19, v3
	s_delay_alu instid0(VALU_DEP_3)
	v_mov_b64_e32 v[24:25], v[0:1]
	s_mov_b32 s2, exec_lo
	v_cmpx_gt_i32_e64 s22, v49
	s_cbranch_execnz .LBB91_36
.LBB91_34:
	s_sendmsg sendmsg(MSG_DEALLOC_VGPRS)
	s_endpgm
.LBB91_35:
	s_delay_alu instid0(VALU_DEP_1)
	v_mov_b32_e32 v1, v25
	s_mov_b32 s2, exec_lo
	v_cmpx_gt_i32_e64 s22, v49
	s_cbranch_execz .LBB91_34
.LBB91_36:
	s_delay_alu instid0(VALU_DEP_2) | instskip(SKIP_2) | instid1(VALU_DEP_3)
	v_div_scale_f32 v0, null, v1, v1, 1.0
	v_div_scale_f32 v4, vcc_lo, 1.0, v1, 1.0
	v_mad_u32 v5, s28, s22, v49
	v_rcp_f32_e32 v2, v0
	s_load_b32 s0, s[0:1], 0xd4
	v_lshrrev_b32_e32 v7, 16, v19
	s_delay_alu instid0(TRANS32_DEP_1) | instskip(NEXT) | instid1(VALU_DEP_2)
	v_fma_f32 v3, -v0, v2, 1.0
	v_cvt_f32_f16_e32 v7, v7
	s_delay_alu instid0(VALU_DEP_4) | instskip(NEXT) | instid1(VALU_DEP_3)
	v_mad_u32 v5, v5, s23, s33
	v_fmac_f32_e32 v2, v3, v2
	s_delay_alu instid0(VALU_DEP_1) | instskip(SKIP_2) | instid1(VALU_DEP_1)
	v_mul_f32_e32 v6, v4, v2
	s_wait_kmcnt 0x0
	s_cmp_lg_u32 s0, 1
	v_fma_f32 v3, -v0, v6, v4
	s_delay_alu instid0(VALU_DEP_1) | instskip(NEXT) | instid1(VALU_DEP_1)
	v_dual_fmac_f32 v6, v3, v2 :: v_dual_mov_b32 v3, 0
	v_fma_f32 v4, -v0, v6, v4
	v_mad_u32 v0, s0, v5, s10
	v_lshrrev_b32_e32 v5, 16, v52
	s_cselect_b32 s0, -1, 0
	s_delay_alu instid0(VALU_DEP_3)
	v_div_fmas_f32 v2, v4, v2, v6
	v_cvt_f32_f16_e32 v4, v52
	v_cvt_f32_f16_e32 v6, v19
	;; [unrolled: 1-line block ×3, first 2 shown]
	v_cmp_eq_u32_e32 vcc_lo, 0, v48
	v_div_fixup_f32 v1, v2, v1, 1.0
	v_lshl_add_u32 v2, v0, 7, v50
	s_delay_alu instid0(VALU_DEP_2) | instskip(SKIP_1) | instid1(VALU_DEP_2)
	v_cndmask_b32_e64 v8, v1, 1.0, s0
	s_and_b32 s0, vcc_lo, s0
	v_lshl_add_u64 v[10:11], v[2:3], 2, s[16:17]
	s_delay_alu instid0(VALU_DEP_2)
	v_pk_mul_f32 v[2:3], v[8:9], v[4:5] op_sel_hi:[0,1]
	v_pk_mul_f32 v[4:5], v[8:9], v[6:7] op_sel_hi:[0,1]
	global_store_b128 v[10:11], v[2:5], off
	s_wait_xcnt 0x0
	s_and_b32 exec_lo, exec_lo, s0
	s_cbranch_execz .LBB91_34
; %bb.37:
	global_store_b64 v0, v[24:25], s[18:19] scale_offset
	s_sendmsg sendmsg(MSG_DEALLOC_VGPRS)
	s_endpgm
	.section	.rodata,"a",@progbits
	.p2align	6, 0x0
	.amdhsa_kernel _ZL15flash_attn_tileILi128ELi128ELi2ELi1ELb1EEvPKcS1_S1_S1_S1_PKiPfP15HIP_vector_typeIfLj2EEffffjfiS5_IjLj3EEiiiiiiiiiiiliiliiiiil
		.amdhsa_group_segment_fixed_size 5248
		.amdhsa_private_segment_fixed_size 32
		.amdhsa_kernarg_size 464
		.amdhsa_user_sgpr_count 2
		.amdhsa_user_sgpr_dispatch_ptr 0
		.amdhsa_user_sgpr_queue_ptr 0
		.amdhsa_user_sgpr_kernarg_segment_ptr 1
		.amdhsa_user_sgpr_dispatch_id 0
		.amdhsa_user_sgpr_kernarg_preload_length 0
		.amdhsa_user_sgpr_kernarg_preload_offset 0
		.amdhsa_user_sgpr_private_segment_size 0
		.amdhsa_wavefront_size32 1
		.amdhsa_uses_dynamic_stack 0
		.amdhsa_enable_private_segment 1
		.amdhsa_system_sgpr_workgroup_id_x 1
		.amdhsa_system_sgpr_workgroup_id_y 1
		.amdhsa_system_sgpr_workgroup_id_z 1
		.amdhsa_system_sgpr_workgroup_info 0
		.amdhsa_system_vgpr_workitem_id 1
		.amdhsa_next_free_vgpr 112
		.amdhsa_next_free_sgpr 48
		.amdhsa_named_barrier_count 0
		.amdhsa_reserve_vcc 1
		.amdhsa_float_round_mode_32 0
		.amdhsa_float_round_mode_16_64 0
		.amdhsa_float_denorm_mode_32 3
		.amdhsa_float_denorm_mode_16_64 3
		.amdhsa_fp16_overflow 0
		.amdhsa_memory_ordered 1
		.amdhsa_forward_progress 1
		.amdhsa_inst_pref_size 89
		.amdhsa_round_robin_scheduling 0
		.amdhsa_exception_fp_ieee_invalid_op 0
		.amdhsa_exception_fp_denorm_src 0
		.amdhsa_exception_fp_ieee_div_zero 0
		.amdhsa_exception_fp_ieee_overflow 0
		.amdhsa_exception_fp_ieee_underflow 0
		.amdhsa_exception_fp_ieee_inexact 0
		.amdhsa_exception_int_div_zero 0
	.end_amdhsa_kernel
	.section	.text._ZL15flash_attn_tileILi128ELi128ELi2ELi1ELb1EEvPKcS1_S1_S1_S1_PKiPfP15HIP_vector_typeIfLj2EEffffjfiS5_IjLj3EEiiiiiiiiiiiliiliiiiil,"axG",@progbits,_ZL15flash_attn_tileILi128ELi128ELi2ELi1ELb1EEvPKcS1_S1_S1_S1_PKiPfP15HIP_vector_typeIfLj2EEffffjfiS5_IjLj3EEiiiiiiiiiiiliiliiiiil,comdat
.Lfunc_end91:
	.size	_ZL15flash_attn_tileILi128ELi128ELi2ELi1ELb1EEvPKcS1_S1_S1_S1_PKiPfP15HIP_vector_typeIfLj2EEffffjfiS5_IjLj3EEiiiiiiiiiiiliiliiiiil, .Lfunc_end91-_ZL15flash_attn_tileILi128ELi128ELi2ELi1ELb1EEvPKcS1_S1_S1_S1_PKiPfP15HIP_vector_typeIfLj2EEffffjfiS5_IjLj3EEiiiiiiiiiiiliiliiiiil
                                        ; -- End function
	.set _ZL15flash_attn_tileILi128ELi128ELi2ELi1ELb1EEvPKcS1_S1_S1_S1_PKiPfP15HIP_vector_typeIfLj2EEffffjfiS5_IjLj3EEiiiiiiiiiiiliiliiiiil.num_vgpr, 112
	.set _ZL15flash_attn_tileILi128ELi128ELi2ELi1ELb1EEvPKcS1_S1_S1_S1_PKiPfP15HIP_vector_typeIfLj2EEffffjfiS5_IjLj3EEiiiiiiiiiiiliiliiiiil.num_agpr, 0
	.set _ZL15flash_attn_tileILi128ELi128ELi2ELi1ELb1EEvPKcS1_S1_S1_S1_PKiPfP15HIP_vector_typeIfLj2EEffffjfiS5_IjLj3EEiiiiiiiiiiiliiliiiiil.numbered_sgpr, 48
	.set _ZL15flash_attn_tileILi128ELi128ELi2ELi1ELb1EEvPKcS1_S1_S1_S1_PKiPfP15HIP_vector_typeIfLj2EEffffjfiS5_IjLj3EEiiiiiiiiiiiliiliiiiil.num_named_barrier, 0
	.set _ZL15flash_attn_tileILi128ELi128ELi2ELi1ELb1EEvPKcS1_S1_S1_S1_PKiPfP15HIP_vector_typeIfLj2EEffffjfiS5_IjLj3EEiiiiiiiiiiiliiliiiiil.private_seg_size, 32
	.set _ZL15flash_attn_tileILi128ELi128ELi2ELi1ELb1EEvPKcS1_S1_S1_S1_PKiPfP15HIP_vector_typeIfLj2EEffffjfiS5_IjLj3EEiiiiiiiiiiiliiliiiiil.uses_vcc, 1
	.set _ZL15flash_attn_tileILi128ELi128ELi2ELi1ELb1EEvPKcS1_S1_S1_S1_PKiPfP15HIP_vector_typeIfLj2EEffffjfiS5_IjLj3EEiiiiiiiiiiiliiliiiiil.uses_flat_scratch, 1
	.set _ZL15flash_attn_tileILi128ELi128ELi2ELi1ELb1EEvPKcS1_S1_S1_S1_PKiPfP15HIP_vector_typeIfLj2EEffffjfiS5_IjLj3EEiiiiiiiiiiiliiliiiiil.has_dyn_sized_stack, 0
	.set _ZL15flash_attn_tileILi128ELi128ELi2ELi1ELb1EEvPKcS1_S1_S1_S1_PKiPfP15HIP_vector_typeIfLj2EEffffjfiS5_IjLj3EEiiiiiiiiiiiliiliiiiil.has_recursion, 0
	.set _ZL15flash_attn_tileILi128ELi128ELi2ELi1ELb1EEvPKcS1_S1_S1_S1_PKiPfP15HIP_vector_typeIfLj2EEffffjfiS5_IjLj3EEiiiiiiiiiiiliiliiiiil.has_indirect_call, 0
	.section	.AMDGPU.csdata,"",@progbits
; Kernel info:
; codeLenInByte = 11340
; TotalNumSgprs: 50
; NumVgprs: 112
; ScratchSize: 32
; MemoryBound: 0
; FloatMode: 240
; IeeeMode: 1
; LDSByteSize: 5248 bytes/workgroup (compile time only)
; SGPRBlocks: 0
; VGPRBlocks: 6
; NumSGPRsForWavesPerEU: 50
; NumVGPRsForWavesPerEU: 112
; NamedBarCnt: 0
; Occupancy: 9
; WaveLimiterHint : 1
; COMPUTE_PGM_RSRC2:SCRATCH_EN: 1
; COMPUTE_PGM_RSRC2:USER_SGPR: 2
; COMPUTE_PGM_RSRC2:TRAP_HANDLER: 0
; COMPUTE_PGM_RSRC2:TGID_X_EN: 1
; COMPUTE_PGM_RSRC2:TGID_Y_EN: 1
; COMPUTE_PGM_RSRC2:TGID_Z_EN: 1
; COMPUTE_PGM_RSRC2:TIDIG_COMP_CNT: 1
	.section	.AMDGPU.gpr_maximums,"",@progbits
	.set amdgpu.max_num_vgpr, 0
	.set amdgpu.max_num_agpr, 0
	.set amdgpu.max_num_sgpr, 0
	.section	.AMDGPU.csdata,"",@progbits
	.type	__hip_cuid_143f13d95789b38b,@object ; @__hip_cuid_143f13d95789b38b
	.section	.bss,"aw",@nobits
	.globl	__hip_cuid_143f13d95789b38b
__hip_cuid_143f13d95789b38b:
	.byte	0                               ; 0x0
	.size	__hip_cuid_143f13d95789b38b, 1

	.ident	"AMD clang version 22.0.0git (https://github.com/RadeonOpenCompute/llvm-project roc-7.2.4 26084 f58b06dce1f9c15707c5f808fd002e18c2accf7e)"
	.section	".note.GNU-stack","",@progbits
	.addrsig
	.addrsig_sym __hip_cuid_143f13d95789b38b
	.amdgpu_metadata
---
amdhsa.kernels:
  - .args:
      - .address_space:  global
        .offset:         0
        .size:           8
        .value_kind:     global_buffer
      - .address_space:  global
        .offset:         8
        .size:           8
        .value_kind:     global_buffer
      - .address_space:  global
        .offset:         16
        .size:           8
        .value_kind:     global_buffer
      - .address_space:  global
        .offset:         24
        .size:           8
        .value_kind:     global_buffer
      - .address_space:  global
        .offset:         32
        .size:           8
        .value_kind:     global_buffer
      - .address_space:  global
        .offset:         40
        .size:           8
        .value_kind:     global_buffer
      - .address_space:  global
        .offset:         48
        .size:           8
        .value_kind:     global_buffer
      - .address_space:  global
        .offset:         56
        .size:           8
        .value_kind:     global_buffer
      - .offset:         64
        .size:           4
        .value_kind:     by_value
      - .offset:         68
        .size:           4
        .value_kind:     by_value
      - .offset:         72
        .size:           4
        .value_kind:     by_value
      - .offset:         76
        .size:           4
        .value_kind:     by_value
      - .offset:         80
        .size:           4
        .value_kind:     by_value
      - .offset:         84
        .size:           4
        .value_kind:     by_value
      - .offset:         88
        .size:           4
        .value_kind:     by_value
      - .offset:         92
        .size:           12
        .value_kind:     by_value
      - .offset:         104
        .size:           4
        .value_kind:     by_value
      - .offset:         108
        .size:           4
        .value_kind:     by_value
      - .offset:         112
        .size:           4
        .value_kind:     by_value
      - .offset:         116
        .size:           4
        .value_kind:     by_value
      - .offset:         120
        .size:           4
        .value_kind:     by_value
      - .offset:         124
        .size:           4
        .value_kind:     by_value
      - .offset:         128
        .size:           4
        .value_kind:     by_value
      - .offset:         132
        .size:           4
        .value_kind:     by_value
      - .offset:         136
        .size:           4
        .value_kind:     by_value
      - .offset:         140
        .size:           4
        .value_kind:     by_value
      - .offset:         144
        .size:           4
        .value_kind:     by_value
      - .offset:         152
        .size:           8
        .value_kind:     by_value
      - .offset:         160
        .size:           4
        .value_kind:     by_value
      - .offset:         164
        .size:           4
        .value_kind:     by_value
      - .offset:         168
        .size:           8
        .value_kind:     by_value
      - .offset:         176
        .size:           4
        .value_kind:     by_value
      - .offset:         180
        .size:           4
        .value_kind:     by_value
      - .offset:         184
        .size:           4
        .value_kind:     by_value
      - .offset:         188
        .size:           4
        .value_kind:     by_value
      - .offset:         192
        .size:           4
        .value_kind:     by_value
      - .offset:         200
        .size:           8
        .value_kind:     by_value
      - .offset:         208
        .size:           4
        .value_kind:     hidden_block_count_x
      - .offset:         212
        .size:           4
        .value_kind:     hidden_block_count_y
      - .offset:         216
        .size:           4
        .value_kind:     hidden_block_count_z
      - .offset:         220
        .size:           2
        .value_kind:     hidden_group_size_x
      - .offset:         222
        .size:           2
        .value_kind:     hidden_group_size_y
      - .offset:         224
        .size:           2
        .value_kind:     hidden_group_size_z
      - .offset:         226
        .size:           2
        .value_kind:     hidden_remainder_x
      - .offset:         228
        .size:           2
        .value_kind:     hidden_remainder_y
      - .offset:         230
        .size:           2
        .value_kind:     hidden_remainder_z
      - .offset:         248
        .size:           8
        .value_kind:     hidden_global_offset_x
      - .offset:         256
        .size:           8
        .value_kind:     hidden_global_offset_y
      - .offset:         264
        .size:           8
        .value_kind:     hidden_global_offset_z
      - .offset:         272
        .size:           2
        .value_kind:     hidden_grid_dims
    .group_segment_fixed_size: 33792
    .kernarg_segment_align: 8
    .kernarg_segment_size: 464
    .language:       OpenCL C
    .language_version:
      - 2
      - 0
    .max_flat_workgroup_size: 256
    .name:           _ZL15flash_attn_tileILi128ELi128ELi8ELi8ELb0EEvPKcS1_S1_S1_S1_PKiPfP15HIP_vector_typeIfLj2EEffffjfiS5_IjLj3EEiiiiiiiiiiiliiliiiiil
    .private_segment_fixed_size: 0
    .sgpr_count:     50
    .sgpr_spill_count: 0
    .symbol:         _ZL15flash_attn_tileILi128ELi128ELi8ELi8ELb0EEvPKcS1_S1_S1_S1_PKiPfP15HIP_vector_typeIfLj2EEffffjfiS5_IjLj3EEiiiiiiiiiiiliiliiiiil.kd
    .uniform_work_group_size: 1
    .uses_dynamic_stack: false
    .vgpr_count:     178
    .vgpr_spill_count: 0
    .wavefront_size: 32
  - .args:
      - .actual_access:  read_only
        .address_space:  global
        .offset:         0
        .size:           8
        .value_kind:     global_buffer
      - .actual_access:  write_only
        .address_space:  global
        .offset:         8
        .size:           8
        .value_kind:     global_buffer
      - .offset:         16
        .size:           4
        .value_kind:     by_value
      - .offset:         20
        .size:           4
        .value_kind:     by_value
      - .offset:         24
        .size:           4
        .value_kind:     by_value
      - .offset:         32
        .size:           4
        .value_kind:     hidden_block_count_x
      - .offset:         36
        .size:           4
        .value_kind:     hidden_block_count_y
      - .offset:         40
        .size:           4
        .value_kind:     hidden_block_count_z
      - .offset:         44
        .size:           2
        .value_kind:     hidden_group_size_x
      - .offset:         46
        .size:           2
        .value_kind:     hidden_group_size_y
      - .offset:         48
        .size:           2
        .value_kind:     hidden_group_size_z
      - .offset:         50
        .size:           2
        .value_kind:     hidden_remainder_x
      - .offset:         52
        .size:           2
        .value_kind:     hidden_remainder_y
      - .offset:         54
        .size:           2
        .value_kind:     hidden_remainder_z
      - .offset:         72
        .size:           8
        .value_kind:     hidden_global_offset_x
      - .offset:         80
        .size:           8
        .value_kind:     hidden_global_offset_y
      - .offset:         88
        .size:           8
        .value_kind:     hidden_global_offset_z
      - .offset:         96
        .size:           2
        .value_kind:     hidden_grid_dims
    .group_segment_fixed_size: 128
    .kernarg_segment_align: 8
    .kernarg_segment_size: 288
    .language:       OpenCL C
    .language_version:
      - 2
      - 0
    .max_flat_workgroup_size: 128
    .name:           _ZL25flash_attn_mask_to_KV_maxILi8EEvPK7__half2Piiii
    .private_segment_fixed_size: 0
    .sgpr_count:     29
    .sgpr_spill_count: 0
    .symbol:         _ZL25flash_attn_mask_to_KV_maxILi8EEvPK7__half2Piiii.kd
    .uniform_work_group_size: 1
    .uses_dynamic_stack: false
    .vgpr_count:     6
    .vgpr_spill_count: 0
    .wavefront_size: 32
  - .args:
      - .address_space:  global
        .offset:         0
        .size:           8
        .value_kind:     global_buffer
      - .address_space:  global
        .offset:         8
        .size:           8
        .value_kind:     global_buffer
      - .offset:         16
        .size:           4
        .value_kind:     by_value
      - .offset:         20
        .size:           4
        .value_kind:     by_value
      - .offset:         24
        .size:           4
        .value_kind:     by_value
      - .offset:         28
        .size:           4
        .value_kind:     by_value
      - .offset:         32
        .size:           4
        .value_kind:     by_value
      - .offset:         36
        .size:           4
        .value_kind:     by_value
      - .offset:         40
        .size:           12
        .value_kind:     by_value
      - .offset:         52
        .size:           12
        .value_kind:     by_value
      - .offset:         64
        .size:           12
        .value_kind:     by_value
    .group_segment_fixed_size: 0
    .kernarg_segment_align: 8
    .kernarg_segment_size: 76
    .language:       OpenCL C
    .language_version:
      - 2
      - 0
    .max_flat_workgroup_size: 128
    .name:           _ZL33flash_attn_stream_k_fixup_uniformILi128ELi8ELi8EEvPfPK15HIP_vector_typeIfLj2EEiiiiiiS1_IjLj3EES5_S5_
    .private_segment_fixed_size: 0
    .sgpr_count:     23
    .sgpr_spill_count: 0
    .symbol:         _ZL33flash_attn_stream_k_fixup_uniformILi128ELi8ELi8EEvPfPK15HIP_vector_typeIfLj2EEiiiiiiS1_IjLj3EES5_S5_.kd
    .uniform_work_group_size: 1
    .uses_dynamic_stack: false
    .vgpr_count:     12
    .vgpr_spill_count: 0
    .wavefront_size: 32
  - .args:
      - .address_space:  global
        .offset:         0
        .size:           8
        .value_kind:     global_buffer
      - .address_space:  global
        .offset:         8
        .size:           8
        .value_kind:     global_buffer
      - .offset:         16
        .size:           4
        .value_kind:     by_value
      - .offset:         20
        .size:           4
        .value_kind:     by_value
      - .offset:         24
        .size:           4
        .value_kind:     by_value
      - .offset:         28
        .size:           4
        .value_kind:     by_value
      - .offset:         32
        .size:           12
        .value_kind:     by_value
      - .offset:         44
        .size:           12
        .value_kind:     by_value
      - .offset:         56
        .size:           12
        .value_kind:     by_value
      - .offset:         68
        .size:           12
        .value_kind:     by_value
      - .offset:         80
        .size:           4
        .value_kind:     hidden_block_count_x
      - .offset:         84
        .size:           4
        .value_kind:     hidden_block_count_y
      - .offset:         88
        .size:           4
        .value_kind:     hidden_block_count_z
      - .offset:         92
        .size:           2
        .value_kind:     hidden_group_size_x
      - .offset:         94
        .size:           2
        .value_kind:     hidden_group_size_y
      - .offset:         96
        .size:           2
        .value_kind:     hidden_group_size_z
      - .offset:         98
        .size:           2
        .value_kind:     hidden_remainder_x
      - .offset:         100
        .size:           2
        .value_kind:     hidden_remainder_y
      - .offset:         102
        .size:           2
        .value_kind:     hidden_remainder_z
      - .offset:         120
        .size:           8
        .value_kind:     hidden_global_offset_x
      - .offset:         128
        .size:           8
        .value_kind:     hidden_global_offset_y
      - .offset:         136
        .size:           8
        .value_kind:     hidden_global_offset_z
      - .offset:         144
        .size:           2
        .value_kind:     hidden_grid_dims
    .group_segment_fixed_size: 0
    .kernarg_segment_align: 8
    .kernarg_segment_size: 336
    .language:       OpenCL C
    .language_version:
      - 2
      - 0
    .max_flat_workgroup_size: 128
    .name:           _ZL33flash_attn_stream_k_fixup_generalILi128ELi8ELi8EEvPfPK15HIP_vector_typeIfLj2EEiiiiS1_IjLj3EES5_S5_S5_
    .private_segment_fixed_size: 0
    .sgpr_count:     48
    .sgpr_spill_count: 0
    .symbol:         _ZL33flash_attn_stream_k_fixup_generalILi128ELi8ELi8EEvPfPK15HIP_vector_typeIfLj2EEiiiiS1_IjLj3EES5_S5_S5_.kd
    .uniform_work_group_size: 1
    .uses_dynamic_stack: false
    .vgpr_count:     12
    .vgpr_spill_count: 0
    .wavefront_size: 32
  - .args:
      - .address_space:  global
        .offset:         0
        .size:           8
        .value_kind:     global_buffer
      - .address_space:  global
        .offset:         8
        .size:           8
        .value_kind:     global_buffer
      - .address_space:  global
        .offset:         16
        .size:           8
        .value_kind:     global_buffer
      - .offset:         24
        .size:           4
        .value_kind:     by_value
      - .offset:         32
        .size:           4
        .value_kind:     hidden_block_count_x
      - .offset:         36
        .size:           4
        .value_kind:     hidden_block_count_y
      - .offset:         40
        .size:           4
        .value_kind:     hidden_block_count_z
      - .offset:         44
        .size:           2
        .value_kind:     hidden_group_size_x
      - .offset:         46
        .size:           2
        .value_kind:     hidden_group_size_y
      - .offset:         48
        .size:           2
        .value_kind:     hidden_group_size_z
      - .offset:         50
        .size:           2
        .value_kind:     hidden_remainder_x
      - .offset:         52
        .size:           2
        .value_kind:     hidden_remainder_y
      - .offset:         54
        .size:           2
        .value_kind:     hidden_remainder_z
      - .offset:         72
        .size:           8
        .value_kind:     hidden_global_offset_x
      - .offset:         80
        .size:           8
        .value_kind:     hidden_global_offset_y
      - .offset:         88
        .size:           8
        .value_kind:     hidden_global_offset_z
      - .offset:         96
        .size:           2
        .value_kind:     hidden_grid_dims
      - .offset:         152
        .size:           4
        .value_kind:     hidden_dynamic_lds_size
    .group_segment_fixed_size: 0
    .kernarg_segment_align: 8
    .kernarg_segment_size: 288
    .language:       OpenCL C
    .language_version:
      - 2
      - 0
    .max_flat_workgroup_size: 128
    .name:           _ZL26flash_attn_combine_resultsILi128EEvPKfPK15HIP_vector_typeIfLj2EEPfi
    .private_segment_fixed_size: 0
    .sgpr_count:     45
    .sgpr_spill_count: 0
    .symbol:         _ZL26flash_attn_combine_resultsILi128EEvPKfPK15HIP_vector_typeIfLj2EEPfi.kd
    .uniform_work_group_size: 1
    .uses_dynamic_stack: false
    .vgpr_count:     36
    .vgpr_spill_count: 0
    .wavefront_size: 32
  - .args:
      - .address_space:  global
        .offset:         0
        .size:           8
        .value_kind:     global_buffer
      - .address_space:  global
        .offset:         8
        .size:           8
        .value_kind:     global_buffer
      - .address_space:  global
        .offset:         16
        .size:           8
        .value_kind:     global_buffer
      - .address_space:  global
        .offset:         24
        .size:           8
        .value_kind:     global_buffer
      - .address_space:  global
        .offset:         32
        .size:           8
        .value_kind:     global_buffer
      - .address_space:  global
        .offset:         40
        .size:           8
        .value_kind:     global_buffer
      - .address_space:  global
        .offset:         48
        .size:           8
        .value_kind:     global_buffer
      - .address_space:  global
        .offset:         56
        .size:           8
        .value_kind:     global_buffer
      - .offset:         64
        .size:           4
        .value_kind:     by_value
      - .offset:         68
        .size:           4
        .value_kind:     by_value
      - .offset:         72
        .size:           4
        .value_kind:     by_value
      - .offset:         76
        .size:           4
        .value_kind:     by_value
      - .offset:         80
        .size:           4
        .value_kind:     by_value
      - .offset:         84
        .size:           4
        .value_kind:     by_value
      - .offset:         88
        .size:           4
        .value_kind:     by_value
      - .offset:         92
        .size:           12
        .value_kind:     by_value
      - .offset:         104
        .size:           4
        .value_kind:     by_value
      - .offset:         108
        .size:           4
        .value_kind:     by_value
      - .offset:         112
        .size:           4
        .value_kind:     by_value
      - .offset:         116
        .size:           4
        .value_kind:     by_value
      - .offset:         120
        .size:           4
        .value_kind:     by_value
      - .offset:         124
        .size:           4
        .value_kind:     by_value
      - .offset:         128
        .size:           4
        .value_kind:     by_value
      - .offset:         132
        .size:           4
        .value_kind:     by_value
      - .offset:         136
        .size:           4
        .value_kind:     by_value
      - .offset:         140
        .size:           4
        .value_kind:     by_value
      - .offset:         144
        .size:           4
        .value_kind:     by_value
      - .offset:         152
        .size:           8
        .value_kind:     by_value
      - .offset:         160
        .size:           4
        .value_kind:     by_value
      - .offset:         164
        .size:           4
        .value_kind:     by_value
      - .offset:         168
        .size:           8
        .value_kind:     by_value
      - .offset:         176
        .size:           4
        .value_kind:     by_value
      - .offset:         180
        .size:           4
        .value_kind:     by_value
      - .offset:         184
        .size:           4
        .value_kind:     by_value
      - .offset:         188
        .size:           4
        .value_kind:     by_value
      - .offset:         192
        .size:           4
        .value_kind:     by_value
      - .offset:         200
        .size:           8
        .value_kind:     by_value
      - .offset:         208
        .size:           4
        .value_kind:     hidden_block_count_x
      - .offset:         212
        .size:           4
        .value_kind:     hidden_block_count_y
      - .offset:         216
        .size:           4
        .value_kind:     hidden_block_count_z
      - .offset:         220
        .size:           2
        .value_kind:     hidden_group_size_x
      - .offset:         222
        .size:           2
        .value_kind:     hidden_group_size_y
      - .offset:         224
        .size:           2
        .value_kind:     hidden_group_size_z
      - .offset:         226
        .size:           2
        .value_kind:     hidden_remainder_x
      - .offset:         228
        .size:           2
        .value_kind:     hidden_remainder_y
      - .offset:         230
        .size:           2
        .value_kind:     hidden_remainder_z
      - .offset:         248
        .size:           8
        .value_kind:     hidden_global_offset_x
      - .offset:         256
        .size:           8
        .value_kind:     hidden_global_offset_y
      - .offset:         264
        .size:           8
        .value_kind:     hidden_global_offset_z
      - .offset:         272
        .size:           2
        .value_kind:     hidden_grid_dims
    .group_segment_fixed_size: 34816
    .kernarg_segment_align: 8
    .kernarg_segment_size: 464
    .language:       OpenCL C
    .language_version:
      - 2
      - 0
    .max_flat_workgroup_size: 256
    .name:           _ZL15flash_attn_tileILi128ELi128ELi4ELi8ELb0EEvPKcS1_S1_S1_S1_PKiPfP15HIP_vector_typeIfLj2EEffffjfiS5_IjLj3EEiiiiiiiiiiiliiliiiiil
    .private_segment_fixed_size: 0
    .sgpr_count:     49
    .sgpr_spill_count: 0
    .symbol:         _ZL15flash_attn_tileILi128ELi128ELi4ELi8ELb0EEvPKcS1_S1_S1_S1_PKiPfP15HIP_vector_typeIfLj2EEffffjfiS5_IjLj3EEiiiiiiiiiiiliiliiiiil.kd
    .uniform_work_group_size: 1
    .uses_dynamic_stack: false
    .vgpr_count:     164
    .vgpr_spill_count: 0
    .wavefront_size: 32
  - .args:
      - .actual_access:  read_only
        .address_space:  global
        .offset:         0
        .size:           8
        .value_kind:     global_buffer
      - .actual_access:  write_only
        .address_space:  global
        .offset:         8
        .size:           8
        .value_kind:     global_buffer
      - .offset:         16
        .size:           4
        .value_kind:     by_value
      - .offset:         20
        .size:           4
        .value_kind:     by_value
      - .offset:         24
        .size:           4
        .value_kind:     by_value
      - .offset:         32
        .size:           4
        .value_kind:     hidden_block_count_x
      - .offset:         36
        .size:           4
        .value_kind:     hidden_block_count_y
      - .offset:         40
        .size:           4
        .value_kind:     hidden_block_count_z
      - .offset:         44
        .size:           2
        .value_kind:     hidden_group_size_x
      - .offset:         46
        .size:           2
        .value_kind:     hidden_group_size_y
      - .offset:         48
        .size:           2
        .value_kind:     hidden_group_size_z
      - .offset:         50
        .size:           2
        .value_kind:     hidden_remainder_x
      - .offset:         52
        .size:           2
        .value_kind:     hidden_remainder_y
      - .offset:         54
        .size:           2
        .value_kind:     hidden_remainder_z
      - .offset:         72
        .size:           8
        .value_kind:     hidden_global_offset_x
      - .offset:         80
        .size:           8
        .value_kind:     hidden_global_offset_y
      - .offset:         88
        .size:           8
        .value_kind:     hidden_global_offset_z
      - .offset:         96
        .size:           2
        .value_kind:     hidden_grid_dims
    .group_segment_fixed_size: 128
    .kernarg_segment_align: 8
    .kernarg_segment_size: 288
    .language:       OpenCL C
    .language_version:
      - 2
      - 0
    .max_flat_workgroup_size: 128
    .name:           _ZL25flash_attn_mask_to_KV_maxILi4EEvPK7__half2Piiii
    .private_segment_fixed_size: 0
    .sgpr_count:     21
    .sgpr_spill_count: 0
    .symbol:         _ZL25flash_attn_mask_to_KV_maxILi4EEvPK7__half2Piiii.kd
    .uniform_work_group_size: 1
    .uses_dynamic_stack: false
    .vgpr_count:     6
    .vgpr_spill_count: 0
    .wavefront_size: 32
  - .args:
      - .address_space:  global
        .offset:         0
        .size:           8
        .value_kind:     global_buffer
      - .address_space:  global
        .offset:         8
        .size:           8
        .value_kind:     global_buffer
      - .offset:         16
        .size:           4
        .value_kind:     by_value
      - .offset:         20
        .size:           4
        .value_kind:     by_value
      - .offset:         24
        .size:           4
        .value_kind:     by_value
      - .offset:         28
        .size:           4
        .value_kind:     by_value
      - .offset:         32
        .size:           4
        .value_kind:     by_value
      - .offset:         36
        .size:           4
        .value_kind:     by_value
      - .offset:         40
        .size:           12
        .value_kind:     by_value
      - .offset:         52
        .size:           12
        .value_kind:     by_value
      - .offset:         64
        .size:           12
        .value_kind:     by_value
    .group_segment_fixed_size: 0
    .kernarg_segment_align: 8
    .kernarg_segment_size: 76
    .language:       OpenCL C
    .language_version:
      - 2
      - 0
    .max_flat_workgroup_size: 128
    .name:           _ZL33flash_attn_stream_k_fixup_uniformILi128ELi4ELi8EEvPfPK15HIP_vector_typeIfLj2EEiiiiiiS1_IjLj3EES5_S5_
    .private_segment_fixed_size: 0
    .sgpr_count:     23
    .sgpr_spill_count: 0
    .symbol:         _ZL33flash_attn_stream_k_fixup_uniformILi128ELi4ELi8EEvPfPK15HIP_vector_typeIfLj2EEiiiiiiS1_IjLj3EES5_S5_.kd
    .uniform_work_group_size: 1
    .uses_dynamic_stack: false
    .vgpr_count:     12
    .vgpr_spill_count: 0
    .wavefront_size: 32
  - .args:
      - .address_space:  global
        .offset:         0
        .size:           8
        .value_kind:     global_buffer
      - .address_space:  global
        .offset:         8
        .size:           8
        .value_kind:     global_buffer
      - .offset:         16
        .size:           4
        .value_kind:     by_value
      - .offset:         20
        .size:           4
        .value_kind:     by_value
      - .offset:         24
        .size:           4
        .value_kind:     by_value
      - .offset:         28
        .size:           4
        .value_kind:     by_value
      - .offset:         32
        .size:           12
        .value_kind:     by_value
      - .offset:         44
        .size:           12
        .value_kind:     by_value
      - .offset:         56
        .size:           12
        .value_kind:     by_value
      - .offset:         68
        .size:           12
        .value_kind:     by_value
      - .offset:         80
        .size:           4
        .value_kind:     hidden_block_count_x
      - .offset:         84
        .size:           4
        .value_kind:     hidden_block_count_y
      - .offset:         88
        .size:           4
        .value_kind:     hidden_block_count_z
      - .offset:         92
        .size:           2
        .value_kind:     hidden_group_size_x
      - .offset:         94
        .size:           2
        .value_kind:     hidden_group_size_y
      - .offset:         96
        .size:           2
        .value_kind:     hidden_group_size_z
      - .offset:         98
        .size:           2
        .value_kind:     hidden_remainder_x
      - .offset:         100
        .size:           2
        .value_kind:     hidden_remainder_y
      - .offset:         102
        .size:           2
        .value_kind:     hidden_remainder_z
      - .offset:         120
        .size:           8
        .value_kind:     hidden_global_offset_x
      - .offset:         128
        .size:           8
        .value_kind:     hidden_global_offset_y
      - .offset:         136
        .size:           8
        .value_kind:     hidden_global_offset_z
      - .offset:         144
        .size:           2
        .value_kind:     hidden_grid_dims
    .group_segment_fixed_size: 0
    .kernarg_segment_align: 8
    .kernarg_segment_size: 336
    .language:       OpenCL C
    .language_version:
      - 2
      - 0
    .max_flat_workgroup_size: 128
    .name:           _ZL33flash_attn_stream_k_fixup_generalILi128ELi4ELi8EEvPfPK15HIP_vector_typeIfLj2EEiiiiS1_IjLj3EES5_S5_S5_
    .private_segment_fixed_size: 0
    .sgpr_count:     48
    .sgpr_spill_count: 0
    .symbol:         _ZL33flash_attn_stream_k_fixup_generalILi128ELi4ELi8EEvPfPK15HIP_vector_typeIfLj2EEiiiiS1_IjLj3EES5_S5_S5_.kd
    .uniform_work_group_size: 1
    .uses_dynamic_stack: false
    .vgpr_count:     12
    .vgpr_spill_count: 0
    .wavefront_size: 32
  - .args:
      - .address_space:  global
        .offset:         0
        .size:           8
        .value_kind:     global_buffer
      - .address_space:  global
        .offset:         8
        .size:           8
        .value_kind:     global_buffer
      - .address_space:  global
        .offset:         16
        .size:           8
        .value_kind:     global_buffer
      - .address_space:  global
        .offset:         24
        .size:           8
        .value_kind:     global_buffer
      - .address_space:  global
        .offset:         32
        .size:           8
        .value_kind:     global_buffer
      - .address_space:  global
        .offset:         40
        .size:           8
        .value_kind:     global_buffer
      - .address_space:  global
        .offset:         48
        .size:           8
        .value_kind:     global_buffer
      - .address_space:  global
        .offset:         56
        .size:           8
        .value_kind:     global_buffer
      - .offset:         64
        .size:           4
        .value_kind:     by_value
      - .offset:         68
        .size:           4
        .value_kind:     by_value
      - .offset:         72
        .size:           4
        .value_kind:     by_value
      - .offset:         76
        .size:           4
        .value_kind:     by_value
      - .offset:         80
        .size:           4
        .value_kind:     by_value
      - .offset:         84
        .size:           4
        .value_kind:     by_value
      - .offset:         88
        .size:           4
        .value_kind:     by_value
      - .offset:         92
        .size:           12
        .value_kind:     by_value
      - .offset:         104
        .size:           4
        .value_kind:     by_value
      - .offset:         108
        .size:           4
        .value_kind:     by_value
      - .offset:         112
        .size:           4
        .value_kind:     by_value
      - .offset:         116
        .size:           4
        .value_kind:     by_value
      - .offset:         120
        .size:           4
        .value_kind:     by_value
      - .offset:         124
        .size:           4
        .value_kind:     by_value
      - .offset:         128
        .size:           4
        .value_kind:     by_value
      - .offset:         132
        .size:           4
        .value_kind:     by_value
      - .offset:         136
        .size:           4
        .value_kind:     by_value
      - .offset:         140
        .size:           4
        .value_kind:     by_value
      - .offset:         144
        .size:           4
        .value_kind:     by_value
      - .offset:         152
        .size:           8
        .value_kind:     by_value
      - .offset:         160
        .size:           4
        .value_kind:     by_value
      - .offset:         164
        .size:           4
        .value_kind:     by_value
      - .offset:         168
        .size:           8
        .value_kind:     by_value
      - .offset:         176
        .size:           4
        .value_kind:     by_value
      - .offset:         180
        .size:           4
        .value_kind:     by_value
      - .offset:         184
        .size:           4
        .value_kind:     by_value
      - .offset:         188
        .size:           4
        .value_kind:     by_value
      - .offset:         192
        .size:           4
        .value_kind:     by_value
      - .offset:         200
        .size:           8
        .value_kind:     by_value
      - .offset:         208
        .size:           4
        .value_kind:     hidden_block_count_x
      - .offset:         212
        .size:           4
        .value_kind:     hidden_block_count_y
      - .offset:         216
        .size:           4
        .value_kind:     hidden_block_count_z
      - .offset:         220
        .size:           2
        .value_kind:     hidden_group_size_x
      - .offset:         222
        .size:           2
        .value_kind:     hidden_group_size_y
      - .offset:         224
        .size:           2
        .value_kind:     hidden_group_size_z
      - .offset:         226
        .size:           2
        .value_kind:     hidden_remainder_x
      - .offset:         228
        .size:           2
        .value_kind:     hidden_remainder_y
      - .offset:         230
        .size:           2
        .value_kind:     hidden_remainder_z
      - .offset:         248
        .size:           8
        .value_kind:     hidden_global_offset_x
      - .offset:         256
        .size:           8
        .value_kind:     hidden_global_offset_y
      - .offset:         264
        .size:           8
        .value_kind:     hidden_global_offset_z
      - .offset:         272
        .size:           2
        .value_kind:     hidden_grid_dims
    .group_segment_fixed_size: 43008
    .kernarg_segment_align: 8
    .kernarg_segment_size: 464
    .language:       OpenCL C
    .language_version:
      - 2
      - 0
    .max_flat_workgroup_size: 256
    .name:           _ZL15flash_attn_tileILi128ELi128ELi2ELi8ELb0EEvPKcS1_S1_S1_S1_PKiPfP15HIP_vector_typeIfLj2EEffffjfiS5_IjLj3EEiiiiiiiiiiiliiliiiiil
    .private_segment_fixed_size: 0
    .sgpr_count:     44
    .sgpr_spill_count: 0
    .symbol:         _ZL15flash_attn_tileILi128ELi128ELi2ELi8ELb0EEvPKcS1_S1_S1_S1_PKiPfP15HIP_vector_typeIfLj2EEffffjfiS5_IjLj3EEiiiiiiiiiiiliiliiiiil.kd
    .uniform_work_group_size: 1
    .uses_dynamic_stack: false
    .vgpr_count:     138
    .vgpr_spill_count: 0
    .wavefront_size: 32
  - .args:
      - .actual_access:  read_only
        .address_space:  global
        .offset:         0
        .size:           8
        .value_kind:     global_buffer
      - .actual_access:  write_only
        .address_space:  global
        .offset:         8
        .size:           8
        .value_kind:     global_buffer
      - .offset:         16
        .size:           4
        .value_kind:     by_value
      - .offset:         20
        .size:           4
        .value_kind:     by_value
      - .offset:         24
        .size:           4
        .value_kind:     by_value
      - .offset:         32
        .size:           4
        .value_kind:     hidden_block_count_x
      - .offset:         36
        .size:           4
        .value_kind:     hidden_block_count_y
      - .offset:         40
        .size:           4
        .value_kind:     hidden_block_count_z
      - .offset:         44
        .size:           2
        .value_kind:     hidden_group_size_x
      - .offset:         46
        .size:           2
        .value_kind:     hidden_group_size_y
      - .offset:         48
        .size:           2
        .value_kind:     hidden_group_size_z
      - .offset:         50
        .size:           2
        .value_kind:     hidden_remainder_x
      - .offset:         52
        .size:           2
        .value_kind:     hidden_remainder_y
      - .offset:         54
        .size:           2
        .value_kind:     hidden_remainder_z
      - .offset:         72
        .size:           8
        .value_kind:     hidden_global_offset_x
      - .offset:         80
        .size:           8
        .value_kind:     hidden_global_offset_y
      - .offset:         88
        .size:           8
        .value_kind:     hidden_global_offset_z
      - .offset:         96
        .size:           2
        .value_kind:     hidden_grid_dims
    .group_segment_fixed_size: 128
    .kernarg_segment_align: 8
    .kernarg_segment_size: 288
    .language:       OpenCL C
    .language_version:
      - 2
      - 0
    .max_flat_workgroup_size: 128
    .name:           _ZL25flash_attn_mask_to_KV_maxILi2EEvPK7__half2Piiii
    .private_segment_fixed_size: 0
    .sgpr_count:     17
    .sgpr_spill_count: 0
    .symbol:         _ZL25flash_attn_mask_to_KV_maxILi2EEvPK7__half2Piiii.kd
    .uniform_work_group_size: 1
    .uses_dynamic_stack: false
    .vgpr_count:     6
    .vgpr_spill_count: 0
    .wavefront_size: 32
  - .args:
      - .address_space:  global
        .offset:         0
        .size:           8
        .value_kind:     global_buffer
      - .address_space:  global
        .offset:         8
        .size:           8
        .value_kind:     global_buffer
      - .offset:         16
        .size:           4
        .value_kind:     by_value
      - .offset:         20
        .size:           4
        .value_kind:     by_value
      - .offset:         24
        .size:           4
        .value_kind:     by_value
      - .offset:         28
        .size:           4
        .value_kind:     by_value
      - .offset:         32
        .size:           4
        .value_kind:     by_value
      - .offset:         36
        .size:           4
        .value_kind:     by_value
      - .offset:         40
        .size:           12
        .value_kind:     by_value
      - .offset:         52
        .size:           12
        .value_kind:     by_value
      - .offset:         64
        .size:           12
        .value_kind:     by_value
    .group_segment_fixed_size: 0
    .kernarg_segment_align: 8
    .kernarg_segment_size: 76
    .language:       OpenCL C
    .language_version:
      - 2
      - 0
    .max_flat_workgroup_size: 128
    .name:           _ZL33flash_attn_stream_k_fixup_uniformILi128ELi2ELi8EEvPfPK15HIP_vector_typeIfLj2EEiiiiiiS1_IjLj3EES5_S5_
    .private_segment_fixed_size: 0
    .sgpr_count:     23
    .sgpr_spill_count: 0
    .symbol:         _ZL33flash_attn_stream_k_fixup_uniformILi128ELi2ELi8EEvPfPK15HIP_vector_typeIfLj2EEiiiiiiS1_IjLj3EES5_S5_.kd
    .uniform_work_group_size: 1
    .uses_dynamic_stack: false
    .vgpr_count:     12
    .vgpr_spill_count: 0
    .wavefront_size: 32
  - .args:
      - .address_space:  global
        .offset:         0
        .size:           8
        .value_kind:     global_buffer
      - .address_space:  global
        .offset:         8
        .size:           8
        .value_kind:     global_buffer
      - .offset:         16
        .size:           4
        .value_kind:     by_value
      - .offset:         20
        .size:           4
        .value_kind:     by_value
      - .offset:         24
        .size:           4
        .value_kind:     by_value
      - .offset:         28
        .size:           4
        .value_kind:     by_value
      - .offset:         32
        .size:           12
        .value_kind:     by_value
      - .offset:         44
        .size:           12
        .value_kind:     by_value
      - .offset:         56
        .size:           12
        .value_kind:     by_value
      - .offset:         68
        .size:           12
        .value_kind:     by_value
      - .offset:         80
        .size:           4
        .value_kind:     hidden_block_count_x
      - .offset:         84
        .size:           4
        .value_kind:     hidden_block_count_y
      - .offset:         88
        .size:           4
        .value_kind:     hidden_block_count_z
      - .offset:         92
        .size:           2
        .value_kind:     hidden_group_size_x
      - .offset:         94
        .size:           2
        .value_kind:     hidden_group_size_y
      - .offset:         96
        .size:           2
        .value_kind:     hidden_group_size_z
      - .offset:         98
        .size:           2
        .value_kind:     hidden_remainder_x
      - .offset:         100
        .size:           2
        .value_kind:     hidden_remainder_y
      - .offset:         102
        .size:           2
        .value_kind:     hidden_remainder_z
      - .offset:         120
        .size:           8
        .value_kind:     hidden_global_offset_x
      - .offset:         128
        .size:           8
        .value_kind:     hidden_global_offset_y
      - .offset:         136
        .size:           8
        .value_kind:     hidden_global_offset_z
      - .offset:         144
        .size:           2
        .value_kind:     hidden_grid_dims
    .group_segment_fixed_size: 0
    .kernarg_segment_align: 8
    .kernarg_segment_size: 336
    .language:       OpenCL C
    .language_version:
      - 2
      - 0
    .max_flat_workgroup_size: 128
    .name:           _ZL33flash_attn_stream_k_fixup_generalILi128ELi2ELi8EEvPfPK15HIP_vector_typeIfLj2EEiiiiS1_IjLj3EES5_S5_S5_
    .private_segment_fixed_size: 0
    .sgpr_count:     48
    .sgpr_spill_count: 0
    .symbol:         _ZL33flash_attn_stream_k_fixup_generalILi128ELi2ELi8EEvPfPK15HIP_vector_typeIfLj2EEiiiiS1_IjLj3EES5_S5_S5_.kd
    .uniform_work_group_size: 1
    .uses_dynamic_stack: false
    .vgpr_count:     12
    .vgpr_spill_count: 0
    .wavefront_size: 32
  - .args:
      - .address_space:  global
        .offset:         0
        .size:           8
        .value_kind:     global_buffer
      - .address_space:  global
        .offset:         8
        .size:           8
        .value_kind:     global_buffer
      - .address_space:  global
        .offset:         16
        .size:           8
        .value_kind:     global_buffer
      - .address_space:  global
        .offset:         24
        .size:           8
        .value_kind:     global_buffer
      - .address_space:  global
        .offset:         32
        .size:           8
        .value_kind:     global_buffer
      - .address_space:  global
        .offset:         40
        .size:           8
        .value_kind:     global_buffer
      - .address_space:  global
        .offset:         48
        .size:           8
        .value_kind:     global_buffer
      - .address_space:  global
        .offset:         56
        .size:           8
        .value_kind:     global_buffer
      - .offset:         64
        .size:           4
        .value_kind:     by_value
      - .offset:         68
        .size:           4
        .value_kind:     by_value
      - .offset:         72
        .size:           4
        .value_kind:     by_value
      - .offset:         76
        .size:           4
        .value_kind:     by_value
      - .offset:         80
        .size:           4
        .value_kind:     by_value
      - .offset:         84
        .size:           4
        .value_kind:     by_value
      - .offset:         88
        .size:           4
        .value_kind:     by_value
      - .offset:         92
        .size:           12
        .value_kind:     by_value
      - .offset:         104
        .size:           4
        .value_kind:     by_value
      - .offset:         108
        .size:           4
        .value_kind:     by_value
      - .offset:         112
        .size:           4
        .value_kind:     by_value
      - .offset:         116
        .size:           4
        .value_kind:     by_value
      - .offset:         120
        .size:           4
        .value_kind:     by_value
      - .offset:         124
        .size:           4
        .value_kind:     by_value
      - .offset:         128
        .size:           4
        .value_kind:     by_value
      - .offset:         132
        .size:           4
        .value_kind:     by_value
      - .offset:         136
        .size:           4
        .value_kind:     by_value
      - .offset:         140
        .size:           4
        .value_kind:     by_value
      - .offset:         144
        .size:           4
        .value_kind:     by_value
      - .offset:         152
        .size:           8
        .value_kind:     by_value
      - .offset:         160
        .size:           4
        .value_kind:     by_value
      - .offset:         164
        .size:           4
        .value_kind:     by_value
      - .offset:         168
        .size:           8
        .value_kind:     by_value
      - .offset:         176
        .size:           4
        .value_kind:     by_value
      - .offset:         180
        .size:           4
        .value_kind:     by_value
      - .offset:         184
        .size:           4
        .value_kind:     by_value
      - .offset:         188
        .size:           4
        .value_kind:     by_value
      - .offset:         192
        .size:           4
        .value_kind:     by_value
      - .offset:         200
        .size:           8
        .value_kind:     by_value
      - .offset:         208
        .size:           4
        .value_kind:     hidden_block_count_x
      - .offset:         212
        .size:           4
        .value_kind:     hidden_block_count_y
      - .offset:         216
        .size:           4
        .value_kind:     hidden_block_count_z
      - .offset:         220
        .size:           2
        .value_kind:     hidden_group_size_x
      - .offset:         222
        .size:           2
        .value_kind:     hidden_group_size_y
      - .offset:         224
        .size:           2
        .value_kind:     hidden_group_size_z
      - .offset:         226
        .size:           2
        .value_kind:     hidden_remainder_x
      - .offset:         228
        .size:           2
        .value_kind:     hidden_remainder_y
      - .offset:         230
        .size:           2
        .value_kind:     hidden_remainder_z
      - .offset:         248
        .size:           8
        .value_kind:     hidden_global_offset_x
      - .offset:         256
        .size:           8
        .value_kind:     hidden_global_offset_y
      - .offset:         264
        .size:           8
        .value_kind:     hidden_global_offset_z
      - .offset:         272
        .size:           2
        .value_kind:     hidden_grid_dims
    .group_segment_fixed_size: 12288
    .kernarg_segment_align: 8
    .kernarg_segment_size: 464
    .language:       OpenCL C
    .language_version:
      - 2
      - 0
    .max_flat_workgroup_size: 128
    .name:           _ZL15flash_attn_tileILi128ELi128ELi1ELi8ELb0EEvPKcS1_S1_S1_S1_PKiPfP15HIP_vector_typeIfLj2EEffffjfiS5_IjLj3EEiiiiiiiiiiiliiliiiiil
    .private_segment_fixed_size: 0
    .sgpr_count:     44
    .sgpr_spill_count: 0
    .symbol:         _ZL15flash_attn_tileILi128ELi128ELi1ELi8ELb0EEvPKcS1_S1_S1_S1_PKiPfP15HIP_vector_typeIfLj2EEffffjfiS5_IjLj3EEiiiiiiiiiiiliiliiiiil.kd
    .uniform_work_group_size: 1
    .uses_dynamic_stack: false
    .vgpr_count:     112
    .vgpr_spill_count: 0
    .wavefront_size: 32
  - .args:
      - .actual_access:  read_only
        .address_space:  global
        .offset:         0
        .size:           8
        .value_kind:     global_buffer
      - .actual_access:  write_only
        .address_space:  global
        .offset:         8
        .size:           8
        .value_kind:     global_buffer
      - .offset:         16
        .size:           4
        .value_kind:     by_value
      - .offset:         20
        .size:           4
        .value_kind:     by_value
      - .offset:         24
        .size:           4
        .value_kind:     by_value
      - .offset:         32
        .size:           4
        .value_kind:     hidden_block_count_x
      - .offset:         36
        .size:           4
        .value_kind:     hidden_block_count_y
      - .offset:         40
        .size:           4
        .value_kind:     hidden_block_count_z
      - .offset:         44
        .size:           2
        .value_kind:     hidden_group_size_x
      - .offset:         46
        .size:           2
        .value_kind:     hidden_group_size_y
      - .offset:         48
        .size:           2
        .value_kind:     hidden_group_size_z
      - .offset:         50
        .size:           2
        .value_kind:     hidden_remainder_x
      - .offset:         52
        .size:           2
        .value_kind:     hidden_remainder_y
      - .offset:         54
        .size:           2
        .value_kind:     hidden_remainder_z
      - .offset:         72
        .size:           8
        .value_kind:     hidden_global_offset_x
      - .offset:         80
        .size:           8
        .value_kind:     hidden_global_offset_y
      - .offset:         88
        .size:           8
        .value_kind:     hidden_global_offset_z
      - .offset:         96
        .size:           2
        .value_kind:     hidden_grid_dims
    .group_segment_fixed_size: 128
    .kernarg_segment_align: 8
    .kernarg_segment_size: 288
    .language:       OpenCL C
    .language_version:
      - 2
      - 0
    .max_flat_workgroup_size: 128
    .name:           _ZL25flash_attn_mask_to_KV_maxILi1EEvPK7__half2Piiii
    .private_segment_fixed_size: 0
    .sgpr_count:     15
    .sgpr_spill_count: 0
    .symbol:         _ZL25flash_attn_mask_to_KV_maxILi1EEvPK7__half2Piiii.kd
    .uniform_work_group_size: 1
    .uses_dynamic_stack: false
    .vgpr_count:     5
    .vgpr_spill_count: 0
    .wavefront_size: 32
  - .args:
      - .address_space:  global
        .offset:         0
        .size:           8
        .value_kind:     global_buffer
      - .address_space:  global
        .offset:         8
        .size:           8
        .value_kind:     global_buffer
      - .offset:         16
        .size:           4
        .value_kind:     by_value
      - .offset:         20
        .size:           4
        .value_kind:     by_value
      - .offset:         24
        .size:           4
        .value_kind:     by_value
      - .offset:         28
        .size:           4
        .value_kind:     by_value
      - .offset:         32
        .size:           4
        .value_kind:     by_value
      - .offset:         36
        .size:           4
        .value_kind:     by_value
      - .offset:         40
        .size:           12
        .value_kind:     by_value
      - .offset:         52
        .size:           12
        .value_kind:     by_value
      - .offset:         64
        .size:           12
        .value_kind:     by_value
    .group_segment_fixed_size: 0
    .kernarg_segment_align: 8
    .kernarg_segment_size: 76
    .language:       OpenCL C
    .language_version:
      - 2
      - 0
    .max_flat_workgroup_size: 128
    .name:           _ZL33flash_attn_stream_k_fixup_uniformILi128ELi1ELi8EEvPfPK15HIP_vector_typeIfLj2EEiiiiiiS1_IjLj3EES5_S5_
    .private_segment_fixed_size: 0
    .sgpr_count:     23
    .sgpr_spill_count: 0
    .symbol:         _ZL33flash_attn_stream_k_fixup_uniformILi128ELi1ELi8EEvPfPK15HIP_vector_typeIfLj2EEiiiiiiS1_IjLj3EES5_S5_.kd
    .uniform_work_group_size: 1
    .uses_dynamic_stack: false
    .vgpr_count:     12
    .vgpr_spill_count: 0
    .wavefront_size: 32
  - .args:
      - .address_space:  global
        .offset:         0
        .size:           8
        .value_kind:     global_buffer
      - .address_space:  global
        .offset:         8
        .size:           8
        .value_kind:     global_buffer
      - .offset:         16
        .size:           4
        .value_kind:     by_value
      - .offset:         20
        .size:           4
        .value_kind:     by_value
      - .offset:         24
        .size:           4
        .value_kind:     by_value
      - .offset:         28
        .size:           4
        .value_kind:     by_value
      - .offset:         32
        .size:           12
        .value_kind:     by_value
      - .offset:         44
        .size:           12
        .value_kind:     by_value
      - .offset:         56
        .size:           12
        .value_kind:     by_value
      - .offset:         68
        .size:           12
        .value_kind:     by_value
      - .offset:         80
        .size:           4
        .value_kind:     hidden_block_count_x
      - .offset:         84
        .size:           4
        .value_kind:     hidden_block_count_y
      - .offset:         88
        .size:           4
        .value_kind:     hidden_block_count_z
      - .offset:         92
        .size:           2
        .value_kind:     hidden_group_size_x
      - .offset:         94
        .size:           2
        .value_kind:     hidden_group_size_y
      - .offset:         96
        .size:           2
        .value_kind:     hidden_group_size_z
      - .offset:         98
        .size:           2
        .value_kind:     hidden_remainder_x
      - .offset:         100
        .size:           2
        .value_kind:     hidden_remainder_y
      - .offset:         102
        .size:           2
        .value_kind:     hidden_remainder_z
      - .offset:         120
        .size:           8
        .value_kind:     hidden_global_offset_x
      - .offset:         128
        .size:           8
        .value_kind:     hidden_global_offset_y
      - .offset:         136
        .size:           8
        .value_kind:     hidden_global_offset_z
      - .offset:         144
        .size:           2
        .value_kind:     hidden_grid_dims
    .group_segment_fixed_size: 0
    .kernarg_segment_align: 8
    .kernarg_segment_size: 336
    .language:       OpenCL C
    .language_version:
      - 2
      - 0
    .max_flat_workgroup_size: 128
    .name:           _ZL33flash_attn_stream_k_fixup_generalILi128ELi1ELi8EEvPfPK15HIP_vector_typeIfLj2EEiiiiS1_IjLj3EES5_S5_S5_
    .private_segment_fixed_size: 0
    .sgpr_count:     48
    .sgpr_spill_count: 0
    .symbol:         _ZL33flash_attn_stream_k_fixup_generalILi128ELi1ELi8EEvPfPK15HIP_vector_typeIfLj2EEiiiiS1_IjLj3EES5_S5_S5_.kd
    .uniform_work_group_size: 1
    .uses_dynamic_stack: false
    .vgpr_count:     12
    .vgpr_spill_count: 0
    .wavefront_size: 32
  - .args:
      - .address_space:  global
        .offset:         0
        .size:           8
        .value_kind:     global_buffer
      - .address_space:  global
        .offset:         8
        .size:           8
        .value_kind:     global_buffer
      - .address_space:  global
        .offset:         16
        .size:           8
        .value_kind:     global_buffer
      - .address_space:  global
        .offset:         24
        .size:           8
        .value_kind:     global_buffer
      - .address_space:  global
        .offset:         32
        .size:           8
        .value_kind:     global_buffer
      - .address_space:  global
        .offset:         40
        .size:           8
        .value_kind:     global_buffer
      - .address_space:  global
        .offset:         48
        .size:           8
        .value_kind:     global_buffer
      - .address_space:  global
        .offset:         56
        .size:           8
        .value_kind:     global_buffer
      - .offset:         64
        .size:           4
        .value_kind:     by_value
      - .offset:         68
        .size:           4
        .value_kind:     by_value
      - .offset:         72
        .size:           4
        .value_kind:     by_value
      - .offset:         76
        .size:           4
        .value_kind:     by_value
      - .offset:         80
        .size:           4
        .value_kind:     by_value
      - .offset:         84
        .size:           4
        .value_kind:     by_value
      - .offset:         88
        .size:           4
        .value_kind:     by_value
      - .offset:         92
        .size:           12
        .value_kind:     by_value
      - .offset:         104
        .size:           4
        .value_kind:     by_value
      - .offset:         108
        .size:           4
        .value_kind:     by_value
      - .offset:         112
        .size:           4
        .value_kind:     by_value
      - .offset:         116
        .size:           4
        .value_kind:     by_value
      - .offset:         120
        .size:           4
        .value_kind:     by_value
      - .offset:         124
        .size:           4
        .value_kind:     by_value
      - .offset:         128
        .size:           4
        .value_kind:     by_value
      - .offset:         132
        .size:           4
        .value_kind:     by_value
      - .offset:         136
        .size:           4
        .value_kind:     by_value
      - .offset:         140
        .size:           4
        .value_kind:     by_value
      - .offset:         144
        .size:           4
        .value_kind:     by_value
      - .offset:         152
        .size:           8
        .value_kind:     by_value
      - .offset:         160
        .size:           4
        .value_kind:     by_value
      - .offset:         164
        .size:           4
        .value_kind:     by_value
      - .offset:         168
        .size:           8
        .value_kind:     by_value
      - .offset:         176
        .size:           4
        .value_kind:     by_value
      - .offset:         180
        .size:           4
        .value_kind:     by_value
      - .offset:         184
        .size:           4
        .value_kind:     by_value
      - .offset:         188
        .size:           4
        .value_kind:     by_value
      - .offset:         192
        .size:           4
        .value_kind:     by_value
      - .offset:         200
        .size:           8
        .value_kind:     by_value
      - .offset:         208
        .size:           4
        .value_kind:     hidden_block_count_x
      - .offset:         212
        .size:           4
        .value_kind:     hidden_block_count_y
      - .offset:         216
        .size:           4
        .value_kind:     hidden_block_count_z
      - .offset:         220
        .size:           2
        .value_kind:     hidden_group_size_x
      - .offset:         222
        .size:           2
        .value_kind:     hidden_group_size_y
      - .offset:         224
        .size:           2
        .value_kind:     hidden_group_size_z
      - .offset:         226
        .size:           2
        .value_kind:     hidden_remainder_x
      - .offset:         228
        .size:           2
        .value_kind:     hidden_remainder_y
      - .offset:         230
        .size:           2
        .value_kind:     hidden_remainder_z
      - .offset:         248
        .size:           8
        .value_kind:     hidden_global_offset_x
      - .offset:         256
        .size:           8
        .value_kind:     hidden_global_offset_y
      - .offset:         264
        .size:           8
        .value_kind:     hidden_global_offset_z
      - .offset:         272
        .size:           2
        .value_kind:     hidden_grid_dims
    .group_segment_fixed_size: 33792
    .kernarg_segment_align: 8
    .kernarg_segment_size: 464
    .language:       OpenCL C
    .language_version:
      - 2
      - 0
    .max_flat_workgroup_size: 256
    .name:           _ZL15flash_attn_tileILi128ELi128ELi16ELi4ELb0EEvPKcS1_S1_S1_S1_PKiPfP15HIP_vector_typeIfLj2EEffffjfiS5_IjLj3EEiiiiiiiiiiiliiliiiiil
    .private_segment_fixed_size: 0
    .sgpr_count:     50
    .sgpr_spill_count: 0
    .symbol:         _ZL15flash_attn_tileILi128ELi128ELi16ELi4ELb0EEvPKcS1_S1_S1_S1_PKiPfP15HIP_vector_typeIfLj2EEffffjfiS5_IjLj3EEiiiiiiiiiiiliiliiiiil.kd
    .uniform_work_group_size: 1
    .uses_dynamic_stack: false
    .vgpr_count:     196
    .vgpr_spill_count: 0
    .wavefront_size: 32
  - .args:
      - .actual_access:  read_only
        .address_space:  global
        .offset:         0
        .size:           8
        .value_kind:     global_buffer
      - .actual_access:  write_only
        .address_space:  global
        .offset:         8
        .size:           8
        .value_kind:     global_buffer
      - .offset:         16
        .size:           4
        .value_kind:     by_value
      - .offset:         20
        .size:           4
        .value_kind:     by_value
      - .offset:         24
        .size:           4
        .value_kind:     by_value
      - .offset:         32
        .size:           4
        .value_kind:     hidden_block_count_x
      - .offset:         36
        .size:           4
        .value_kind:     hidden_block_count_y
      - .offset:         40
        .size:           4
        .value_kind:     hidden_block_count_z
      - .offset:         44
        .size:           2
        .value_kind:     hidden_group_size_x
      - .offset:         46
        .size:           2
        .value_kind:     hidden_group_size_y
      - .offset:         48
        .size:           2
        .value_kind:     hidden_group_size_z
      - .offset:         50
        .size:           2
        .value_kind:     hidden_remainder_x
      - .offset:         52
        .size:           2
        .value_kind:     hidden_remainder_y
      - .offset:         54
        .size:           2
        .value_kind:     hidden_remainder_z
      - .offset:         72
        .size:           8
        .value_kind:     hidden_global_offset_x
      - .offset:         80
        .size:           8
        .value_kind:     hidden_global_offset_y
      - .offset:         88
        .size:           8
        .value_kind:     hidden_global_offset_z
      - .offset:         96
        .size:           2
        .value_kind:     hidden_grid_dims
    .group_segment_fixed_size: 128
    .kernarg_segment_align: 8
    .kernarg_segment_size: 288
    .language:       OpenCL C
    .language_version:
      - 2
      - 0
    .max_flat_workgroup_size: 128
    .name:           _ZL25flash_attn_mask_to_KV_maxILi16EEvPK7__half2Piiii
    .private_segment_fixed_size: 0
    .sgpr_count:     46
    .sgpr_spill_count: 0
    .symbol:         _ZL25flash_attn_mask_to_KV_maxILi16EEvPK7__half2Piiii.kd
    .uniform_work_group_size: 1
    .uses_dynamic_stack: false
    .vgpr_count:     6
    .vgpr_spill_count: 0
    .wavefront_size: 32
  - .args:
      - .address_space:  global
        .offset:         0
        .size:           8
        .value_kind:     global_buffer
      - .address_space:  global
        .offset:         8
        .size:           8
        .value_kind:     global_buffer
      - .offset:         16
        .size:           4
        .value_kind:     by_value
      - .offset:         20
        .size:           4
        .value_kind:     by_value
      - .offset:         24
        .size:           4
        .value_kind:     by_value
      - .offset:         28
        .size:           4
        .value_kind:     by_value
      - .offset:         32
        .size:           4
        .value_kind:     by_value
      - .offset:         36
        .size:           4
        .value_kind:     by_value
      - .offset:         40
        .size:           12
        .value_kind:     by_value
      - .offset:         52
        .size:           12
        .value_kind:     by_value
      - .offset:         64
        .size:           12
        .value_kind:     by_value
    .group_segment_fixed_size: 0
    .kernarg_segment_align: 8
    .kernarg_segment_size: 76
    .language:       OpenCL C
    .language_version:
      - 2
      - 0
    .max_flat_workgroup_size: 128
    .name:           _ZL33flash_attn_stream_k_fixup_uniformILi128ELi16ELi4EEvPfPK15HIP_vector_typeIfLj2EEiiiiiiS1_IjLj3EES5_S5_
    .private_segment_fixed_size: 0
    .sgpr_count:     23
    .sgpr_spill_count: 0
    .symbol:         _ZL33flash_attn_stream_k_fixup_uniformILi128ELi16ELi4EEvPfPK15HIP_vector_typeIfLj2EEiiiiiiS1_IjLj3EES5_S5_.kd
    .uniform_work_group_size: 1
    .uses_dynamic_stack: false
    .vgpr_count:     12
    .vgpr_spill_count: 0
    .wavefront_size: 32
  - .args:
      - .address_space:  global
        .offset:         0
        .size:           8
        .value_kind:     global_buffer
      - .address_space:  global
        .offset:         8
        .size:           8
        .value_kind:     global_buffer
      - .offset:         16
        .size:           4
        .value_kind:     by_value
      - .offset:         20
        .size:           4
        .value_kind:     by_value
      - .offset:         24
        .size:           4
        .value_kind:     by_value
      - .offset:         28
        .size:           4
        .value_kind:     by_value
      - .offset:         32
        .size:           12
        .value_kind:     by_value
      - .offset:         44
        .size:           12
        .value_kind:     by_value
      - .offset:         56
        .size:           12
        .value_kind:     by_value
      - .offset:         68
        .size:           12
        .value_kind:     by_value
      - .offset:         80
        .size:           4
        .value_kind:     hidden_block_count_x
      - .offset:         84
        .size:           4
        .value_kind:     hidden_block_count_y
      - .offset:         88
        .size:           4
        .value_kind:     hidden_block_count_z
      - .offset:         92
        .size:           2
        .value_kind:     hidden_group_size_x
      - .offset:         94
        .size:           2
        .value_kind:     hidden_group_size_y
      - .offset:         96
        .size:           2
        .value_kind:     hidden_group_size_z
      - .offset:         98
        .size:           2
        .value_kind:     hidden_remainder_x
      - .offset:         100
        .size:           2
        .value_kind:     hidden_remainder_y
      - .offset:         102
        .size:           2
        .value_kind:     hidden_remainder_z
      - .offset:         120
        .size:           8
        .value_kind:     hidden_global_offset_x
      - .offset:         128
        .size:           8
        .value_kind:     hidden_global_offset_y
      - .offset:         136
        .size:           8
        .value_kind:     hidden_global_offset_z
      - .offset:         144
        .size:           2
        .value_kind:     hidden_grid_dims
    .group_segment_fixed_size: 0
    .kernarg_segment_align: 8
    .kernarg_segment_size: 336
    .language:       OpenCL C
    .language_version:
      - 2
      - 0
    .max_flat_workgroup_size: 128
    .name:           _ZL33flash_attn_stream_k_fixup_generalILi128ELi16ELi4EEvPfPK15HIP_vector_typeIfLj2EEiiiiS1_IjLj3EES5_S5_S5_
    .private_segment_fixed_size: 0
    .sgpr_count:     48
    .sgpr_spill_count: 0
    .symbol:         _ZL33flash_attn_stream_k_fixup_generalILi128ELi16ELi4EEvPfPK15HIP_vector_typeIfLj2EEiiiiS1_IjLj3EES5_S5_S5_.kd
    .uniform_work_group_size: 1
    .uses_dynamic_stack: false
    .vgpr_count:     12
    .vgpr_spill_count: 0
    .wavefront_size: 32
  - .args:
      - .address_space:  global
        .offset:         0
        .size:           8
        .value_kind:     global_buffer
      - .address_space:  global
        .offset:         8
        .size:           8
        .value_kind:     global_buffer
      - .address_space:  global
        .offset:         16
        .size:           8
        .value_kind:     global_buffer
      - .address_space:  global
        .offset:         24
        .size:           8
        .value_kind:     global_buffer
      - .address_space:  global
        .offset:         32
        .size:           8
        .value_kind:     global_buffer
      - .address_space:  global
        .offset:         40
        .size:           8
        .value_kind:     global_buffer
      - .address_space:  global
        .offset:         48
        .size:           8
        .value_kind:     global_buffer
      - .address_space:  global
        .offset:         56
        .size:           8
        .value_kind:     global_buffer
      - .offset:         64
        .size:           4
        .value_kind:     by_value
      - .offset:         68
        .size:           4
        .value_kind:     by_value
      - .offset:         72
        .size:           4
        .value_kind:     by_value
      - .offset:         76
        .size:           4
        .value_kind:     by_value
      - .offset:         80
        .size:           4
        .value_kind:     by_value
      - .offset:         84
        .size:           4
        .value_kind:     by_value
      - .offset:         88
        .size:           4
        .value_kind:     by_value
      - .offset:         92
        .size:           12
        .value_kind:     by_value
      - .offset:         104
        .size:           4
        .value_kind:     by_value
      - .offset:         108
        .size:           4
        .value_kind:     by_value
      - .offset:         112
        .size:           4
        .value_kind:     by_value
      - .offset:         116
        .size:           4
        .value_kind:     by_value
      - .offset:         120
        .size:           4
        .value_kind:     by_value
      - .offset:         124
        .size:           4
        .value_kind:     by_value
      - .offset:         128
        .size:           4
        .value_kind:     by_value
      - .offset:         132
        .size:           4
        .value_kind:     by_value
      - .offset:         136
        .size:           4
        .value_kind:     by_value
      - .offset:         140
        .size:           4
        .value_kind:     by_value
      - .offset:         144
        .size:           4
        .value_kind:     by_value
      - .offset:         152
        .size:           8
        .value_kind:     by_value
      - .offset:         160
        .size:           4
        .value_kind:     by_value
      - .offset:         164
        .size:           4
        .value_kind:     by_value
      - .offset:         168
        .size:           8
        .value_kind:     by_value
      - .offset:         176
        .size:           4
        .value_kind:     by_value
      - .offset:         180
        .size:           4
        .value_kind:     by_value
      - .offset:         184
        .size:           4
        .value_kind:     by_value
      - .offset:         188
        .size:           4
        .value_kind:     by_value
      - .offset:         192
        .size:           4
        .value_kind:     by_value
      - .offset:         200
        .size:           8
        .value_kind:     by_value
      - .offset:         208
        .size:           4
        .value_kind:     hidden_block_count_x
      - .offset:         212
        .size:           4
        .value_kind:     hidden_block_count_y
      - .offset:         216
        .size:           4
        .value_kind:     hidden_block_count_z
      - .offset:         220
        .size:           2
        .value_kind:     hidden_group_size_x
      - .offset:         222
        .size:           2
        .value_kind:     hidden_group_size_y
      - .offset:         224
        .size:           2
        .value_kind:     hidden_group_size_z
      - .offset:         226
        .size:           2
        .value_kind:     hidden_remainder_x
      - .offset:         228
        .size:           2
        .value_kind:     hidden_remainder_y
      - .offset:         230
        .size:           2
        .value_kind:     hidden_remainder_z
      - .offset:         248
        .size:           8
        .value_kind:     hidden_global_offset_x
      - .offset:         256
        .size:           8
        .value_kind:     hidden_global_offset_y
      - .offset:         264
        .size:           8
        .value_kind:     hidden_global_offset_z
      - .offset:         272
        .size:           2
        .value_kind:     hidden_grid_dims
    .group_segment_fixed_size: 34816
    .kernarg_segment_align: 8
    .kernarg_segment_size: 464
    .language:       OpenCL C
    .language_version:
      - 2
      - 0
    .max_flat_workgroup_size: 256
    .name:           _ZL15flash_attn_tileILi128ELi128ELi8ELi4ELb0EEvPKcS1_S1_S1_S1_PKiPfP15HIP_vector_typeIfLj2EEffffjfiS5_IjLj3EEiiiiiiiiiiiliiliiiiil
    .private_segment_fixed_size: 0
    .sgpr_count:     50
    .sgpr_spill_count: 0
    .symbol:         _ZL15flash_attn_tileILi128ELi128ELi8ELi4ELb0EEvPKcS1_S1_S1_S1_PKiPfP15HIP_vector_typeIfLj2EEffffjfiS5_IjLj3EEiiiiiiiiiiiliiliiiiil.kd
    .uniform_work_group_size: 1
    .uses_dynamic_stack: false
    .vgpr_count:     163
    .vgpr_spill_count: 0
    .wavefront_size: 32
  - .args:
      - .address_space:  global
        .offset:         0
        .size:           8
        .value_kind:     global_buffer
      - .address_space:  global
        .offset:         8
        .size:           8
        .value_kind:     global_buffer
      - .offset:         16
        .size:           4
        .value_kind:     by_value
      - .offset:         20
        .size:           4
        .value_kind:     by_value
      - .offset:         24
        .size:           4
        .value_kind:     by_value
      - .offset:         28
        .size:           4
        .value_kind:     by_value
      - .offset:         32
        .size:           4
        .value_kind:     by_value
      - .offset:         36
        .size:           4
        .value_kind:     by_value
      - .offset:         40
        .size:           12
        .value_kind:     by_value
      - .offset:         52
        .size:           12
        .value_kind:     by_value
      - .offset:         64
        .size:           12
        .value_kind:     by_value
    .group_segment_fixed_size: 0
    .kernarg_segment_align: 8
    .kernarg_segment_size: 76
    .language:       OpenCL C
    .language_version:
      - 2
      - 0
    .max_flat_workgroup_size: 128
    .name:           _ZL33flash_attn_stream_k_fixup_uniformILi128ELi8ELi4EEvPfPK15HIP_vector_typeIfLj2EEiiiiiiS1_IjLj3EES5_S5_
    .private_segment_fixed_size: 0
    .sgpr_count:     23
    .sgpr_spill_count: 0
    .symbol:         _ZL33flash_attn_stream_k_fixup_uniformILi128ELi8ELi4EEvPfPK15HIP_vector_typeIfLj2EEiiiiiiS1_IjLj3EES5_S5_.kd
    .uniform_work_group_size: 1
    .uses_dynamic_stack: false
    .vgpr_count:     12
    .vgpr_spill_count: 0
    .wavefront_size: 32
  - .args:
      - .address_space:  global
        .offset:         0
        .size:           8
        .value_kind:     global_buffer
      - .address_space:  global
        .offset:         8
        .size:           8
        .value_kind:     global_buffer
      - .offset:         16
        .size:           4
        .value_kind:     by_value
      - .offset:         20
        .size:           4
        .value_kind:     by_value
      - .offset:         24
        .size:           4
        .value_kind:     by_value
      - .offset:         28
        .size:           4
        .value_kind:     by_value
      - .offset:         32
        .size:           12
        .value_kind:     by_value
      - .offset:         44
        .size:           12
        .value_kind:     by_value
      - .offset:         56
        .size:           12
        .value_kind:     by_value
      - .offset:         68
        .size:           12
        .value_kind:     by_value
      - .offset:         80
        .size:           4
        .value_kind:     hidden_block_count_x
      - .offset:         84
        .size:           4
        .value_kind:     hidden_block_count_y
      - .offset:         88
        .size:           4
        .value_kind:     hidden_block_count_z
      - .offset:         92
        .size:           2
        .value_kind:     hidden_group_size_x
      - .offset:         94
        .size:           2
        .value_kind:     hidden_group_size_y
      - .offset:         96
        .size:           2
        .value_kind:     hidden_group_size_z
      - .offset:         98
        .size:           2
        .value_kind:     hidden_remainder_x
      - .offset:         100
        .size:           2
        .value_kind:     hidden_remainder_y
      - .offset:         102
        .size:           2
        .value_kind:     hidden_remainder_z
      - .offset:         120
        .size:           8
        .value_kind:     hidden_global_offset_x
      - .offset:         128
        .size:           8
        .value_kind:     hidden_global_offset_y
      - .offset:         136
        .size:           8
        .value_kind:     hidden_global_offset_z
      - .offset:         144
        .size:           2
        .value_kind:     hidden_grid_dims
    .group_segment_fixed_size: 0
    .kernarg_segment_align: 8
    .kernarg_segment_size: 336
    .language:       OpenCL C
    .language_version:
      - 2
      - 0
    .max_flat_workgroup_size: 128
    .name:           _ZL33flash_attn_stream_k_fixup_generalILi128ELi8ELi4EEvPfPK15HIP_vector_typeIfLj2EEiiiiS1_IjLj3EES5_S5_S5_
    .private_segment_fixed_size: 0
    .sgpr_count:     48
    .sgpr_spill_count: 0
    .symbol:         _ZL33flash_attn_stream_k_fixup_generalILi128ELi8ELi4EEvPfPK15HIP_vector_typeIfLj2EEiiiiS1_IjLj3EES5_S5_S5_.kd
    .uniform_work_group_size: 1
    .uses_dynamic_stack: false
    .vgpr_count:     12
    .vgpr_spill_count: 0
    .wavefront_size: 32
  - .args:
      - .address_space:  global
        .offset:         0
        .size:           8
        .value_kind:     global_buffer
      - .address_space:  global
        .offset:         8
        .size:           8
        .value_kind:     global_buffer
      - .address_space:  global
        .offset:         16
        .size:           8
        .value_kind:     global_buffer
      - .address_space:  global
        .offset:         24
        .size:           8
        .value_kind:     global_buffer
      - .address_space:  global
        .offset:         32
        .size:           8
        .value_kind:     global_buffer
      - .address_space:  global
        .offset:         40
        .size:           8
        .value_kind:     global_buffer
      - .address_space:  global
        .offset:         48
        .size:           8
        .value_kind:     global_buffer
      - .address_space:  global
        .offset:         56
        .size:           8
        .value_kind:     global_buffer
      - .offset:         64
        .size:           4
        .value_kind:     by_value
      - .offset:         68
        .size:           4
        .value_kind:     by_value
      - .offset:         72
        .size:           4
        .value_kind:     by_value
      - .offset:         76
        .size:           4
        .value_kind:     by_value
      - .offset:         80
        .size:           4
        .value_kind:     by_value
      - .offset:         84
        .size:           4
        .value_kind:     by_value
      - .offset:         88
        .size:           4
        .value_kind:     by_value
      - .offset:         92
        .size:           12
        .value_kind:     by_value
      - .offset:         104
        .size:           4
        .value_kind:     by_value
      - .offset:         108
        .size:           4
        .value_kind:     by_value
      - .offset:         112
        .size:           4
        .value_kind:     by_value
      - .offset:         116
        .size:           4
        .value_kind:     by_value
      - .offset:         120
        .size:           4
        .value_kind:     by_value
      - .offset:         124
        .size:           4
        .value_kind:     by_value
      - .offset:         128
        .size:           4
        .value_kind:     by_value
      - .offset:         132
        .size:           4
        .value_kind:     by_value
      - .offset:         136
        .size:           4
        .value_kind:     by_value
      - .offset:         140
        .size:           4
        .value_kind:     by_value
      - .offset:         144
        .size:           4
        .value_kind:     by_value
      - .offset:         152
        .size:           8
        .value_kind:     by_value
      - .offset:         160
        .size:           4
        .value_kind:     by_value
      - .offset:         164
        .size:           4
        .value_kind:     by_value
      - .offset:         168
        .size:           8
        .value_kind:     by_value
      - .offset:         176
        .size:           4
        .value_kind:     by_value
      - .offset:         180
        .size:           4
        .value_kind:     by_value
      - .offset:         184
        .size:           4
        .value_kind:     by_value
      - .offset:         188
        .size:           4
        .value_kind:     by_value
      - .offset:         192
        .size:           4
        .value_kind:     by_value
      - .offset:         200
        .size:           8
        .value_kind:     by_value
      - .offset:         208
        .size:           4
        .value_kind:     hidden_block_count_x
      - .offset:         212
        .size:           4
        .value_kind:     hidden_block_count_y
      - .offset:         216
        .size:           4
        .value_kind:     hidden_block_count_z
      - .offset:         220
        .size:           2
        .value_kind:     hidden_group_size_x
      - .offset:         222
        .size:           2
        .value_kind:     hidden_group_size_y
      - .offset:         224
        .size:           2
        .value_kind:     hidden_group_size_z
      - .offset:         226
        .size:           2
        .value_kind:     hidden_remainder_x
      - .offset:         228
        .size:           2
        .value_kind:     hidden_remainder_y
      - .offset:         230
        .size:           2
        .value_kind:     hidden_remainder_z
      - .offset:         248
        .size:           8
        .value_kind:     hidden_global_offset_x
      - .offset:         256
        .size:           8
        .value_kind:     hidden_global_offset_y
      - .offset:         264
        .size:           8
        .value_kind:     hidden_global_offset_z
      - .offset:         272
        .size:           2
        .value_kind:     hidden_grid_dims
    .group_segment_fixed_size: 43008
    .kernarg_segment_align: 8
    .kernarg_segment_size: 464
    .language:       OpenCL C
    .language_version:
      - 2
      - 0
    .max_flat_workgroup_size: 256
    .name:           _ZL15flash_attn_tileILi128ELi128ELi4ELi4ELb0EEvPKcS1_S1_S1_S1_PKiPfP15HIP_vector_typeIfLj2EEffffjfiS5_IjLj3EEiiiiiiiiiiiliiliiiiil
    .private_segment_fixed_size: 0
    .sgpr_count:     44
    .sgpr_spill_count: 0
    .symbol:         _ZL15flash_attn_tileILi128ELi128ELi4ELi4ELb0EEvPKcS1_S1_S1_S1_PKiPfP15HIP_vector_typeIfLj2EEffffjfiS5_IjLj3EEiiiiiiiiiiiliiliiiiil.kd
    .uniform_work_group_size: 1
    .uses_dynamic_stack: false
    .vgpr_count:     138
    .vgpr_spill_count: 0
    .wavefront_size: 32
  - .args:
      - .address_space:  global
        .offset:         0
        .size:           8
        .value_kind:     global_buffer
      - .address_space:  global
        .offset:         8
        .size:           8
        .value_kind:     global_buffer
      - .offset:         16
        .size:           4
        .value_kind:     by_value
      - .offset:         20
        .size:           4
        .value_kind:     by_value
      - .offset:         24
        .size:           4
        .value_kind:     by_value
      - .offset:         28
        .size:           4
        .value_kind:     by_value
      - .offset:         32
        .size:           4
        .value_kind:     by_value
      - .offset:         36
        .size:           4
        .value_kind:     by_value
      - .offset:         40
        .size:           12
        .value_kind:     by_value
      - .offset:         52
        .size:           12
        .value_kind:     by_value
      - .offset:         64
        .size:           12
        .value_kind:     by_value
    .group_segment_fixed_size: 0
    .kernarg_segment_align: 8
    .kernarg_segment_size: 76
    .language:       OpenCL C
    .language_version:
      - 2
      - 0
    .max_flat_workgroup_size: 128
    .name:           _ZL33flash_attn_stream_k_fixup_uniformILi128ELi4ELi4EEvPfPK15HIP_vector_typeIfLj2EEiiiiiiS1_IjLj3EES5_S5_
    .private_segment_fixed_size: 0
    .sgpr_count:     23
    .sgpr_spill_count: 0
    .symbol:         _ZL33flash_attn_stream_k_fixup_uniformILi128ELi4ELi4EEvPfPK15HIP_vector_typeIfLj2EEiiiiiiS1_IjLj3EES5_S5_.kd
    .uniform_work_group_size: 1
    .uses_dynamic_stack: false
    .vgpr_count:     12
    .vgpr_spill_count: 0
    .wavefront_size: 32
  - .args:
      - .address_space:  global
        .offset:         0
        .size:           8
        .value_kind:     global_buffer
      - .address_space:  global
        .offset:         8
        .size:           8
        .value_kind:     global_buffer
      - .offset:         16
        .size:           4
        .value_kind:     by_value
      - .offset:         20
        .size:           4
        .value_kind:     by_value
      - .offset:         24
        .size:           4
        .value_kind:     by_value
      - .offset:         28
        .size:           4
        .value_kind:     by_value
      - .offset:         32
        .size:           12
        .value_kind:     by_value
      - .offset:         44
        .size:           12
        .value_kind:     by_value
      - .offset:         56
        .size:           12
        .value_kind:     by_value
      - .offset:         68
        .size:           12
        .value_kind:     by_value
      - .offset:         80
        .size:           4
        .value_kind:     hidden_block_count_x
      - .offset:         84
        .size:           4
        .value_kind:     hidden_block_count_y
      - .offset:         88
        .size:           4
        .value_kind:     hidden_block_count_z
      - .offset:         92
        .size:           2
        .value_kind:     hidden_group_size_x
      - .offset:         94
        .size:           2
        .value_kind:     hidden_group_size_y
      - .offset:         96
        .size:           2
        .value_kind:     hidden_group_size_z
      - .offset:         98
        .size:           2
        .value_kind:     hidden_remainder_x
      - .offset:         100
        .size:           2
        .value_kind:     hidden_remainder_y
      - .offset:         102
        .size:           2
        .value_kind:     hidden_remainder_z
      - .offset:         120
        .size:           8
        .value_kind:     hidden_global_offset_x
      - .offset:         128
        .size:           8
        .value_kind:     hidden_global_offset_y
      - .offset:         136
        .size:           8
        .value_kind:     hidden_global_offset_z
      - .offset:         144
        .size:           2
        .value_kind:     hidden_grid_dims
    .group_segment_fixed_size: 0
    .kernarg_segment_align: 8
    .kernarg_segment_size: 336
    .language:       OpenCL C
    .language_version:
      - 2
      - 0
    .max_flat_workgroup_size: 128
    .name:           _ZL33flash_attn_stream_k_fixup_generalILi128ELi4ELi4EEvPfPK15HIP_vector_typeIfLj2EEiiiiS1_IjLj3EES5_S5_S5_
    .private_segment_fixed_size: 0
    .sgpr_count:     48
    .sgpr_spill_count: 0
    .symbol:         _ZL33flash_attn_stream_k_fixup_generalILi128ELi4ELi4EEvPfPK15HIP_vector_typeIfLj2EEiiiiS1_IjLj3EES5_S5_S5_.kd
    .uniform_work_group_size: 1
    .uses_dynamic_stack: false
    .vgpr_count:     12
    .vgpr_spill_count: 0
    .wavefront_size: 32
  - .args:
      - .address_space:  global
        .offset:         0
        .size:           8
        .value_kind:     global_buffer
      - .address_space:  global
        .offset:         8
        .size:           8
        .value_kind:     global_buffer
      - .address_space:  global
        .offset:         16
        .size:           8
        .value_kind:     global_buffer
      - .address_space:  global
        .offset:         24
        .size:           8
        .value_kind:     global_buffer
      - .address_space:  global
        .offset:         32
        .size:           8
        .value_kind:     global_buffer
      - .address_space:  global
        .offset:         40
        .size:           8
        .value_kind:     global_buffer
      - .address_space:  global
        .offset:         48
        .size:           8
        .value_kind:     global_buffer
      - .address_space:  global
        .offset:         56
        .size:           8
        .value_kind:     global_buffer
      - .offset:         64
        .size:           4
        .value_kind:     by_value
      - .offset:         68
        .size:           4
        .value_kind:     by_value
      - .offset:         72
        .size:           4
        .value_kind:     by_value
      - .offset:         76
        .size:           4
        .value_kind:     by_value
      - .offset:         80
        .size:           4
        .value_kind:     by_value
      - .offset:         84
        .size:           4
        .value_kind:     by_value
      - .offset:         88
        .size:           4
        .value_kind:     by_value
      - .offset:         92
        .size:           12
        .value_kind:     by_value
      - .offset:         104
        .size:           4
        .value_kind:     by_value
      - .offset:         108
        .size:           4
        .value_kind:     by_value
      - .offset:         112
        .size:           4
        .value_kind:     by_value
      - .offset:         116
        .size:           4
        .value_kind:     by_value
      - .offset:         120
        .size:           4
        .value_kind:     by_value
      - .offset:         124
        .size:           4
        .value_kind:     by_value
      - .offset:         128
        .size:           4
        .value_kind:     by_value
      - .offset:         132
        .size:           4
        .value_kind:     by_value
      - .offset:         136
        .size:           4
        .value_kind:     by_value
      - .offset:         140
        .size:           4
        .value_kind:     by_value
      - .offset:         144
        .size:           4
        .value_kind:     by_value
      - .offset:         152
        .size:           8
        .value_kind:     by_value
      - .offset:         160
        .size:           4
        .value_kind:     by_value
      - .offset:         164
        .size:           4
        .value_kind:     by_value
      - .offset:         168
        .size:           8
        .value_kind:     by_value
      - .offset:         176
        .size:           4
        .value_kind:     by_value
      - .offset:         180
        .size:           4
        .value_kind:     by_value
      - .offset:         184
        .size:           4
        .value_kind:     by_value
      - .offset:         188
        .size:           4
        .value_kind:     by_value
      - .offset:         192
        .size:           4
        .value_kind:     by_value
      - .offset:         200
        .size:           8
        .value_kind:     by_value
      - .offset:         208
        .size:           4
        .value_kind:     hidden_block_count_x
      - .offset:         212
        .size:           4
        .value_kind:     hidden_block_count_y
      - .offset:         216
        .size:           4
        .value_kind:     hidden_block_count_z
      - .offset:         220
        .size:           2
        .value_kind:     hidden_group_size_x
      - .offset:         222
        .size:           2
        .value_kind:     hidden_group_size_y
      - .offset:         224
        .size:           2
        .value_kind:     hidden_group_size_z
      - .offset:         226
        .size:           2
        .value_kind:     hidden_remainder_x
      - .offset:         228
        .size:           2
        .value_kind:     hidden_remainder_y
      - .offset:         230
        .size:           2
        .value_kind:     hidden_remainder_z
      - .offset:         248
        .size:           8
        .value_kind:     hidden_global_offset_x
      - .offset:         256
        .size:           8
        .value_kind:     hidden_global_offset_y
      - .offset:         264
        .size:           8
        .value_kind:     hidden_global_offset_z
      - .offset:         272
        .size:           2
        .value_kind:     hidden_grid_dims
    .group_segment_fixed_size: 12288
    .kernarg_segment_align: 8
    .kernarg_segment_size: 464
    .language:       OpenCL C
    .language_version:
      - 2
      - 0
    .max_flat_workgroup_size: 128
    .name:           _ZL15flash_attn_tileILi128ELi128ELi2ELi4ELb0EEvPKcS1_S1_S1_S1_PKiPfP15HIP_vector_typeIfLj2EEffffjfiS5_IjLj3EEiiiiiiiiiiiliiliiiiil
    .private_segment_fixed_size: 0
    .sgpr_count:     44
    .sgpr_spill_count: 0
    .symbol:         _ZL15flash_attn_tileILi128ELi128ELi2ELi4ELb0EEvPKcS1_S1_S1_S1_PKiPfP15HIP_vector_typeIfLj2EEffffjfiS5_IjLj3EEiiiiiiiiiiiliiliiiiil.kd
    .uniform_work_group_size: 1
    .uses_dynamic_stack: false
    .vgpr_count:     112
    .vgpr_spill_count: 0
    .wavefront_size: 32
  - .args:
      - .address_space:  global
        .offset:         0
        .size:           8
        .value_kind:     global_buffer
      - .address_space:  global
        .offset:         8
        .size:           8
        .value_kind:     global_buffer
      - .offset:         16
        .size:           4
        .value_kind:     by_value
      - .offset:         20
        .size:           4
        .value_kind:     by_value
      - .offset:         24
        .size:           4
        .value_kind:     by_value
      - .offset:         28
        .size:           4
        .value_kind:     by_value
      - .offset:         32
        .size:           4
        .value_kind:     by_value
      - .offset:         36
        .size:           4
        .value_kind:     by_value
      - .offset:         40
        .size:           12
        .value_kind:     by_value
      - .offset:         52
        .size:           12
        .value_kind:     by_value
      - .offset:         64
        .size:           12
        .value_kind:     by_value
    .group_segment_fixed_size: 0
    .kernarg_segment_align: 8
    .kernarg_segment_size: 76
    .language:       OpenCL C
    .language_version:
      - 2
      - 0
    .max_flat_workgroup_size: 128
    .name:           _ZL33flash_attn_stream_k_fixup_uniformILi128ELi2ELi4EEvPfPK15HIP_vector_typeIfLj2EEiiiiiiS1_IjLj3EES5_S5_
    .private_segment_fixed_size: 0
    .sgpr_count:     23
    .sgpr_spill_count: 0
    .symbol:         _ZL33flash_attn_stream_k_fixup_uniformILi128ELi2ELi4EEvPfPK15HIP_vector_typeIfLj2EEiiiiiiS1_IjLj3EES5_S5_.kd
    .uniform_work_group_size: 1
    .uses_dynamic_stack: false
    .vgpr_count:     12
    .vgpr_spill_count: 0
    .wavefront_size: 32
  - .args:
      - .address_space:  global
        .offset:         0
        .size:           8
        .value_kind:     global_buffer
      - .address_space:  global
        .offset:         8
        .size:           8
        .value_kind:     global_buffer
      - .offset:         16
        .size:           4
        .value_kind:     by_value
      - .offset:         20
        .size:           4
        .value_kind:     by_value
      - .offset:         24
        .size:           4
        .value_kind:     by_value
      - .offset:         28
        .size:           4
        .value_kind:     by_value
      - .offset:         32
        .size:           12
        .value_kind:     by_value
      - .offset:         44
        .size:           12
        .value_kind:     by_value
      - .offset:         56
        .size:           12
        .value_kind:     by_value
      - .offset:         68
        .size:           12
        .value_kind:     by_value
      - .offset:         80
        .size:           4
        .value_kind:     hidden_block_count_x
      - .offset:         84
        .size:           4
        .value_kind:     hidden_block_count_y
      - .offset:         88
        .size:           4
        .value_kind:     hidden_block_count_z
      - .offset:         92
        .size:           2
        .value_kind:     hidden_group_size_x
      - .offset:         94
        .size:           2
        .value_kind:     hidden_group_size_y
      - .offset:         96
        .size:           2
        .value_kind:     hidden_group_size_z
      - .offset:         98
        .size:           2
        .value_kind:     hidden_remainder_x
      - .offset:         100
        .size:           2
        .value_kind:     hidden_remainder_y
      - .offset:         102
        .size:           2
        .value_kind:     hidden_remainder_z
      - .offset:         120
        .size:           8
        .value_kind:     hidden_global_offset_x
      - .offset:         128
        .size:           8
        .value_kind:     hidden_global_offset_y
      - .offset:         136
        .size:           8
        .value_kind:     hidden_global_offset_z
      - .offset:         144
        .size:           2
        .value_kind:     hidden_grid_dims
    .group_segment_fixed_size: 0
    .kernarg_segment_align: 8
    .kernarg_segment_size: 336
    .language:       OpenCL C
    .language_version:
      - 2
      - 0
    .max_flat_workgroup_size: 128
    .name:           _ZL33flash_attn_stream_k_fixup_generalILi128ELi2ELi4EEvPfPK15HIP_vector_typeIfLj2EEiiiiS1_IjLj3EES5_S5_S5_
    .private_segment_fixed_size: 0
    .sgpr_count:     48
    .sgpr_spill_count: 0
    .symbol:         _ZL33flash_attn_stream_k_fixup_generalILi128ELi2ELi4EEvPfPK15HIP_vector_typeIfLj2EEiiiiS1_IjLj3EES5_S5_S5_.kd
    .uniform_work_group_size: 1
    .uses_dynamic_stack: false
    .vgpr_count:     12
    .vgpr_spill_count: 0
    .wavefront_size: 32
  - .args:
      - .address_space:  global
        .offset:         0
        .size:           8
        .value_kind:     global_buffer
      - .address_space:  global
        .offset:         8
        .size:           8
        .value_kind:     global_buffer
      - .address_space:  global
        .offset:         16
        .size:           8
        .value_kind:     global_buffer
      - .address_space:  global
        .offset:         24
        .size:           8
        .value_kind:     global_buffer
      - .address_space:  global
        .offset:         32
        .size:           8
        .value_kind:     global_buffer
      - .address_space:  global
        .offset:         40
        .size:           8
        .value_kind:     global_buffer
      - .address_space:  global
        .offset:         48
        .size:           8
        .value_kind:     global_buffer
      - .address_space:  global
        .offset:         56
        .size:           8
        .value_kind:     global_buffer
      - .offset:         64
        .size:           4
        .value_kind:     by_value
      - .offset:         68
        .size:           4
        .value_kind:     by_value
      - .offset:         72
        .size:           4
        .value_kind:     by_value
      - .offset:         76
        .size:           4
        .value_kind:     by_value
      - .offset:         80
        .size:           4
        .value_kind:     by_value
      - .offset:         84
        .size:           4
        .value_kind:     by_value
      - .offset:         88
        .size:           4
        .value_kind:     by_value
      - .offset:         92
        .size:           12
        .value_kind:     by_value
      - .offset:         104
        .size:           4
        .value_kind:     by_value
      - .offset:         108
        .size:           4
        .value_kind:     by_value
      - .offset:         112
        .size:           4
        .value_kind:     by_value
      - .offset:         116
        .size:           4
        .value_kind:     by_value
      - .offset:         120
        .size:           4
        .value_kind:     by_value
      - .offset:         124
        .size:           4
        .value_kind:     by_value
      - .offset:         128
        .size:           4
        .value_kind:     by_value
      - .offset:         132
        .size:           4
        .value_kind:     by_value
      - .offset:         136
        .size:           4
        .value_kind:     by_value
      - .offset:         140
        .size:           4
        .value_kind:     by_value
      - .offset:         144
        .size:           4
        .value_kind:     by_value
      - .offset:         152
        .size:           8
        .value_kind:     by_value
      - .offset:         160
        .size:           4
        .value_kind:     by_value
      - .offset:         164
        .size:           4
        .value_kind:     by_value
      - .offset:         168
        .size:           8
        .value_kind:     by_value
      - .offset:         176
        .size:           4
        .value_kind:     by_value
      - .offset:         180
        .size:           4
        .value_kind:     by_value
      - .offset:         184
        .size:           4
        .value_kind:     by_value
      - .offset:         188
        .size:           4
        .value_kind:     by_value
      - .offset:         192
        .size:           4
        .value_kind:     by_value
      - .offset:         200
        .size:           8
        .value_kind:     by_value
      - .offset:         208
        .size:           4
        .value_kind:     hidden_block_count_x
      - .offset:         212
        .size:           4
        .value_kind:     hidden_block_count_y
      - .offset:         216
        .size:           4
        .value_kind:     hidden_block_count_z
      - .offset:         220
        .size:           2
        .value_kind:     hidden_group_size_x
      - .offset:         222
        .size:           2
        .value_kind:     hidden_group_size_y
      - .offset:         224
        .size:           2
        .value_kind:     hidden_group_size_z
      - .offset:         226
        .size:           2
        .value_kind:     hidden_remainder_x
      - .offset:         228
        .size:           2
        .value_kind:     hidden_remainder_y
      - .offset:         230
        .size:           2
        .value_kind:     hidden_remainder_z
      - .offset:         248
        .size:           8
        .value_kind:     hidden_global_offset_x
      - .offset:         256
        .size:           8
        .value_kind:     hidden_global_offset_y
      - .offset:         264
        .size:           8
        .value_kind:     hidden_global_offset_z
      - .offset:         272
        .size:           2
        .value_kind:     hidden_grid_dims
    .group_segment_fixed_size: 10752
    .kernarg_segment_align: 8
    .kernarg_segment_size: 464
    .language:       OpenCL C
    .language_version:
      - 2
      - 0
    .max_flat_workgroup_size: 128
    .name:           _ZL15flash_attn_tileILi128ELi128ELi1ELi4ELb0EEvPKcS1_S1_S1_S1_PKiPfP15HIP_vector_typeIfLj2EEffffjfiS5_IjLj3EEiiiiiiiiiiiliiliiiiil
    .private_segment_fixed_size: 0
    .sgpr_count:     45
    .sgpr_spill_count: 0
    .symbol:         _ZL15flash_attn_tileILi128ELi128ELi1ELi4ELb0EEvPKcS1_S1_S1_S1_PKiPfP15HIP_vector_typeIfLj2EEffffjfiS5_IjLj3EEiiiiiiiiiiiliiliiiiil.kd
    .uniform_work_group_size: 1
    .uses_dynamic_stack: false
    .vgpr_count:     88
    .vgpr_spill_count: 0
    .wavefront_size: 32
  - .args:
      - .address_space:  global
        .offset:         0
        .size:           8
        .value_kind:     global_buffer
      - .address_space:  global
        .offset:         8
        .size:           8
        .value_kind:     global_buffer
      - .offset:         16
        .size:           4
        .value_kind:     by_value
      - .offset:         20
        .size:           4
        .value_kind:     by_value
      - .offset:         24
        .size:           4
        .value_kind:     by_value
      - .offset:         28
        .size:           4
        .value_kind:     by_value
      - .offset:         32
        .size:           4
        .value_kind:     by_value
      - .offset:         36
        .size:           4
        .value_kind:     by_value
      - .offset:         40
        .size:           12
        .value_kind:     by_value
      - .offset:         52
        .size:           12
        .value_kind:     by_value
      - .offset:         64
        .size:           12
        .value_kind:     by_value
    .group_segment_fixed_size: 0
    .kernarg_segment_align: 8
    .kernarg_segment_size: 76
    .language:       OpenCL C
    .language_version:
      - 2
      - 0
    .max_flat_workgroup_size: 128
    .name:           _ZL33flash_attn_stream_k_fixup_uniformILi128ELi1ELi4EEvPfPK15HIP_vector_typeIfLj2EEiiiiiiS1_IjLj3EES5_S5_
    .private_segment_fixed_size: 0
    .sgpr_count:     23
    .sgpr_spill_count: 0
    .symbol:         _ZL33flash_attn_stream_k_fixup_uniformILi128ELi1ELi4EEvPfPK15HIP_vector_typeIfLj2EEiiiiiiS1_IjLj3EES5_S5_.kd
    .uniform_work_group_size: 1
    .uses_dynamic_stack: false
    .vgpr_count:     12
    .vgpr_spill_count: 0
    .wavefront_size: 32
  - .args:
      - .address_space:  global
        .offset:         0
        .size:           8
        .value_kind:     global_buffer
      - .address_space:  global
        .offset:         8
        .size:           8
        .value_kind:     global_buffer
      - .offset:         16
        .size:           4
        .value_kind:     by_value
      - .offset:         20
        .size:           4
        .value_kind:     by_value
      - .offset:         24
        .size:           4
        .value_kind:     by_value
      - .offset:         28
        .size:           4
        .value_kind:     by_value
      - .offset:         32
        .size:           12
        .value_kind:     by_value
      - .offset:         44
        .size:           12
        .value_kind:     by_value
      - .offset:         56
        .size:           12
        .value_kind:     by_value
      - .offset:         68
        .size:           12
        .value_kind:     by_value
      - .offset:         80
        .size:           4
        .value_kind:     hidden_block_count_x
      - .offset:         84
        .size:           4
        .value_kind:     hidden_block_count_y
      - .offset:         88
        .size:           4
        .value_kind:     hidden_block_count_z
      - .offset:         92
        .size:           2
        .value_kind:     hidden_group_size_x
      - .offset:         94
        .size:           2
        .value_kind:     hidden_group_size_y
      - .offset:         96
        .size:           2
        .value_kind:     hidden_group_size_z
      - .offset:         98
        .size:           2
        .value_kind:     hidden_remainder_x
      - .offset:         100
        .size:           2
        .value_kind:     hidden_remainder_y
      - .offset:         102
        .size:           2
        .value_kind:     hidden_remainder_z
      - .offset:         120
        .size:           8
        .value_kind:     hidden_global_offset_x
      - .offset:         128
        .size:           8
        .value_kind:     hidden_global_offset_y
      - .offset:         136
        .size:           8
        .value_kind:     hidden_global_offset_z
      - .offset:         144
        .size:           2
        .value_kind:     hidden_grid_dims
    .group_segment_fixed_size: 0
    .kernarg_segment_align: 8
    .kernarg_segment_size: 336
    .language:       OpenCL C
    .language_version:
      - 2
      - 0
    .max_flat_workgroup_size: 128
    .name:           _ZL33flash_attn_stream_k_fixup_generalILi128ELi1ELi4EEvPfPK15HIP_vector_typeIfLj2EEiiiiS1_IjLj3EES5_S5_S5_
    .private_segment_fixed_size: 0
    .sgpr_count:     48
    .sgpr_spill_count: 0
    .symbol:         _ZL33flash_attn_stream_k_fixup_generalILi128ELi1ELi4EEvPfPK15HIP_vector_typeIfLj2EEiiiiS1_IjLj3EES5_S5_S5_.kd
    .uniform_work_group_size: 1
    .uses_dynamic_stack: false
    .vgpr_count:     12
    .vgpr_spill_count: 0
    .wavefront_size: 32
  - .args:
      - .address_space:  global
        .offset:         0
        .size:           8
        .value_kind:     global_buffer
      - .address_space:  global
        .offset:         8
        .size:           8
        .value_kind:     global_buffer
      - .address_space:  global
        .offset:         16
        .size:           8
        .value_kind:     global_buffer
      - .address_space:  global
        .offset:         24
        .size:           8
        .value_kind:     global_buffer
      - .address_space:  global
        .offset:         32
        .size:           8
        .value_kind:     global_buffer
      - .address_space:  global
        .offset:         40
        .size:           8
        .value_kind:     global_buffer
      - .address_space:  global
        .offset:         48
        .size:           8
        .value_kind:     global_buffer
      - .address_space:  global
        .offset:         56
        .size:           8
        .value_kind:     global_buffer
      - .offset:         64
        .size:           4
        .value_kind:     by_value
      - .offset:         68
        .size:           4
        .value_kind:     by_value
      - .offset:         72
        .size:           4
        .value_kind:     by_value
      - .offset:         76
        .size:           4
        .value_kind:     by_value
      - .offset:         80
        .size:           4
        .value_kind:     by_value
      - .offset:         84
        .size:           4
        .value_kind:     by_value
      - .offset:         88
        .size:           4
        .value_kind:     by_value
      - .offset:         92
        .size:           12
        .value_kind:     by_value
      - .offset:         104
        .size:           4
        .value_kind:     by_value
      - .offset:         108
        .size:           4
        .value_kind:     by_value
      - .offset:         112
        .size:           4
        .value_kind:     by_value
      - .offset:         116
        .size:           4
        .value_kind:     by_value
      - .offset:         120
        .size:           4
        .value_kind:     by_value
      - .offset:         124
        .size:           4
        .value_kind:     by_value
      - .offset:         128
        .size:           4
        .value_kind:     by_value
      - .offset:         132
        .size:           4
        .value_kind:     by_value
      - .offset:         136
        .size:           4
        .value_kind:     by_value
      - .offset:         140
        .size:           4
        .value_kind:     by_value
      - .offset:         144
        .size:           4
        .value_kind:     by_value
      - .offset:         152
        .size:           8
        .value_kind:     by_value
      - .offset:         160
        .size:           4
        .value_kind:     by_value
      - .offset:         164
        .size:           4
        .value_kind:     by_value
      - .offset:         168
        .size:           8
        .value_kind:     by_value
      - .offset:         176
        .size:           4
        .value_kind:     by_value
      - .offset:         180
        .size:           4
        .value_kind:     by_value
      - .offset:         184
        .size:           4
        .value_kind:     by_value
      - .offset:         188
        .size:           4
        .value_kind:     by_value
      - .offset:         192
        .size:           4
        .value_kind:     by_value
      - .offset:         200
        .size:           8
        .value_kind:     by_value
      - .offset:         208
        .size:           4
        .value_kind:     hidden_block_count_x
      - .offset:         212
        .size:           4
        .value_kind:     hidden_block_count_y
      - .offset:         216
        .size:           4
        .value_kind:     hidden_block_count_z
      - .offset:         220
        .size:           2
        .value_kind:     hidden_group_size_x
      - .offset:         222
        .size:           2
        .value_kind:     hidden_group_size_y
      - .offset:         224
        .size:           2
        .value_kind:     hidden_group_size_z
      - .offset:         226
        .size:           2
        .value_kind:     hidden_remainder_x
      - .offset:         228
        .size:           2
        .value_kind:     hidden_remainder_y
      - .offset:         230
        .size:           2
        .value_kind:     hidden_remainder_z
      - .offset:         248
        .size:           8
        .value_kind:     hidden_global_offset_x
      - .offset:         256
        .size:           8
        .value_kind:     hidden_global_offset_y
      - .offset:         264
        .size:           8
        .value_kind:     hidden_global_offset_z
      - .offset:         272
        .size:           2
        .value_kind:     hidden_grid_dims
    .group_segment_fixed_size: 33792
    .kernarg_segment_align: 8
    .kernarg_segment_size: 464
    .language:       OpenCL C
    .language_version:
      - 2
      - 0
    .max_flat_workgroup_size: 256
    .name:           _ZL15flash_attn_tileILi128ELi128ELi32ELi2ELb0EEvPKcS1_S1_S1_S1_PKiPfP15HIP_vector_typeIfLj2EEffffjfiS5_IjLj3EEiiiiiiiiiiiliiliiiiil
    .private_segment_fixed_size: 0
    .sgpr_count:     50
    .sgpr_spill_count: 0
    .symbol:         _ZL15flash_attn_tileILi128ELi128ELi32ELi2ELb0EEvPKcS1_S1_S1_S1_PKiPfP15HIP_vector_typeIfLj2EEffffjfiS5_IjLj3EEiiiiiiiiiiiliiliiiiil.kd
    .uniform_work_group_size: 1
    .uses_dynamic_stack: false
    .vgpr_count:     240
    .vgpr_spill_count: 0
    .wavefront_size: 32
  - .args:
      - .actual_access:  read_only
        .address_space:  global
        .offset:         0
        .size:           8
        .value_kind:     global_buffer
      - .actual_access:  write_only
        .address_space:  global
        .offset:         8
        .size:           8
        .value_kind:     global_buffer
      - .offset:         16
        .size:           4
        .value_kind:     by_value
      - .offset:         20
        .size:           4
        .value_kind:     by_value
      - .offset:         24
        .size:           4
        .value_kind:     by_value
      - .offset:         32
        .size:           4
        .value_kind:     hidden_block_count_x
      - .offset:         36
        .size:           4
        .value_kind:     hidden_block_count_y
      - .offset:         40
        .size:           4
        .value_kind:     hidden_block_count_z
      - .offset:         44
        .size:           2
        .value_kind:     hidden_group_size_x
      - .offset:         46
        .size:           2
        .value_kind:     hidden_group_size_y
      - .offset:         48
        .size:           2
        .value_kind:     hidden_group_size_z
      - .offset:         50
        .size:           2
        .value_kind:     hidden_remainder_x
      - .offset:         52
        .size:           2
        .value_kind:     hidden_remainder_y
      - .offset:         54
        .size:           2
        .value_kind:     hidden_remainder_z
      - .offset:         72
        .size:           8
        .value_kind:     hidden_global_offset_x
      - .offset:         80
        .size:           8
        .value_kind:     hidden_global_offset_y
      - .offset:         88
        .size:           8
        .value_kind:     hidden_global_offset_z
      - .offset:         96
        .size:           2
        .value_kind:     hidden_grid_dims
    .group_segment_fixed_size: 128
    .kernarg_segment_align: 8
    .kernarg_segment_size: 288
    .language:       OpenCL C
    .language_version:
      - 2
      - 0
    .max_flat_workgroup_size: 128
    .name:           _ZL25flash_attn_mask_to_KV_maxILi32EEvPK7__half2Piiii
    .private_segment_fixed_size: 0
    .sgpr_count:     78
    .sgpr_spill_count: 0
    .symbol:         _ZL25flash_attn_mask_to_KV_maxILi32EEvPK7__half2Piiii.kd
    .uniform_work_group_size: 1
    .uses_dynamic_stack: false
    .vgpr_count:     6
    .vgpr_spill_count: 0
    .wavefront_size: 32
  - .args:
      - .address_space:  global
        .offset:         0
        .size:           8
        .value_kind:     global_buffer
      - .address_space:  global
        .offset:         8
        .size:           8
        .value_kind:     global_buffer
      - .offset:         16
        .size:           4
        .value_kind:     by_value
      - .offset:         20
        .size:           4
        .value_kind:     by_value
      - .offset:         24
        .size:           4
        .value_kind:     by_value
      - .offset:         28
        .size:           4
        .value_kind:     by_value
      - .offset:         32
        .size:           4
        .value_kind:     by_value
      - .offset:         36
        .size:           4
        .value_kind:     by_value
      - .offset:         40
        .size:           12
        .value_kind:     by_value
      - .offset:         52
        .size:           12
        .value_kind:     by_value
      - .offset:         64
        .size:           12
        .value_kind:     by_value
    .group_segment_fixed_size: 0
    .kernarg_segment_align: 8
    .kernarg_segment_size: 76
    .language:       OpenCL C
    .language_version:
      - 2
      - 0
    .max_flat_workgroup_size: 128
    .name:           _ZL33flash_attn_stream_k_fixup_uniformILi128ELi32ELi2EEvPfPK15HIP_vector_typeIfLj2EEiiiiiiS1_IjLj3EES5_S5_
    .private_segment_fixed_size: 0
    .sgpr_count:     23
    .sgpr_spill_count: 0
    .symbol:         _ZL33flash_attn_stream_k_fixup_uniformILi128ELi32ELi2EEvPfPK15HIP_vector_typeIfLj2EEiiiiiiS1_IjLj3EES5_S5_.kd
    .uniform_work_group_size: 1
    .uses_dynamic_stack: false
    .vgpr_count:     12
    .vgpr_spill_count: 0
    .wavefront_size: 32
  - .args:
      - .address_space:  global
        .offset:         0
        .size:           8
        .value_kind:     global_buffer
      - .address_space:  global
        .offset:         8
        .size:           8
        .value_kind:     global_buffer
      - .offset:         16
        .size:           4
        .value_kind:     by_value
      - .offset:         20
        .size:           4
        .value_kind:     by_value
      - .offset:         24
        .size:           4
        .value_kind:     by_value
      - .offset:         28
        .size:           4
        .value_kind:     by_value
      - .offset:         32
        .size:           12
        .value_kind:     by_value
      - .offset:         44
        .size:           12
        .value_kind:     by_value
      - .offset:         56
        .size:           12
        .value_kind:     by_value
      - .offset:         68
        .size:           12
        .value_kind:     by_value
      - .offset:         80
        .size:           4
        .value_kind:     hidden_block_count_x
      - .offset:         84
        .size:           4
        .value_kind:     hidden_block_count_y
      - .offset:         88
        .size:           4
        .value_kind:     hidden_block_count_z
      - .offset:         92
        .size:           2
        .value_kind:     hidden_group_size_x
      - .offset:         94
        .size:           2
        .value_kind:     hidden_group_size_y
      - .offset:         96
        .size:           2
        .value_kind:     hidden_group_size_z
      - .offset:         98
        .size:           2
        .value_kind:     hidden_remainder_x
      - .offset:         100
        .size:           2
        .value_kind:     hidden_remainder_y
      - .offset:         102
        .size:           2
        .value_kind:     hidden_remainder_z
      - .offset:         120
        .size:           8
        .value_kind:     hidden_global_offset_x
      - .offset:         128
        .size:           8
        .value_kind:     hidden_global_offset_y
      - .offset:         136
        .size:           8
        .value_kind:     hidden_global_offset_z
      - .offset:         144
        .size:           2
        .value_kind:     hidden_grid_dims
    .group_segment_fixed_size: 0
    .kernarg_segment_align: 8
    .kernarg_segment_size: 336
    .language:       OpenCL C
    .language_version:
      - 2
      - 0
    .max_flat_workgroup_size: 128
    .name:           _ZL33flash_attn_stream_k_fixup_generalILi128ELi32ELi2EEvPfPK15HIP_vector_typeIfLj2EEiiiiS1_IjLj3EES5_S5_S5_
    .private_segment_fixed_size: 0
    .sgpr_count:     48
    .sgpr_spill_count: 0
    .symbol:         _ZL33flash_attn_stream_k_fixup_generalILi128ELi32ELi2EEvPfPK15HIP_vector_typeIfLj2EEiiiiS1_IjLj3EES5_S5_S5_.kd
    .uniform_work_group_size: 1
    .uses_dynamic_stack: false
    .vgpr_count:     12
    .vgpr_spill_count: 0
    .wavefront_size: 32
  - .args:
      - .address_space:  global
        .offset:         0
        .size:           8
        .value_kind:     global_buffer
      - .address_space:  global
        .offset:         8
        .size:           8
        .value_kind:     global_buffer
      - .address_space:  global
        .offset:         16
        .size:           8
        .value_kind:     global_buffer
      - .address_space:  global
        .offset:         24
        .size:           8
        .value_kind:     global_buffer
      - .address_space:  global
        .offset:         32
        .size:           8
        .value_kind:     global_buffer
      - .address_space:  global
        .offset:         40
        .size:           8
        .value_kind:     global_buffer
      - .address_space:  global
        .offset:         48
        .size:           8
        .value_kind:     global_buffer
      - .address_space:  global
        .offset:         56
        .size:           8
        .value_kind:     global_buffer
      - .offset:         64
        .size:           4
        .value_kind:     by_value
      - .offset:         68
        .size:           4
        .value_kind:     by_value
      - .offset:         72
        .size:           4
        .value_kind:     by_value
      - .offset:         76
        .size:           4
        .value_kind:     by_value
      - .offset:         80
        .size:           4
        .value_kind:     by_value
      - .offset:         84
        .size:           4
        .value_kind:     by_value
      - .offset:         88
        .size:           4
        .value_kind:     by_value
      - .offset:         92
        .size:           12
        .value_kind:     by_value
      - .offset:         104
        .size:           4
        .value_kind:     by_value
      - .offset:         108
        .size:           4
        .value_kind:     by_value
      - .offset:         112
        .size:           4
        .value_kind:     by_value
      - .offset:         116
        .size:           4
        .value_kind:     by_value
      - .offset:         120
        .size:           4
        .value_kind:     by_value
      - .offset:         124
        .size:           4
        .value_kind:     by_value
      - .offset:         128
        .size:           4
        .value_kind:     by_value
      - .offset:         132
        .size:           4
        .value_kind:     by_value
      - .offset:         136
        .size:           4
        .value_kind:     by_value
      - .offset:         140
        .size:           4
        .value_kind:     by_value
      - .offset:         144
        .size:           4
        .value_kind:     by_value
      - .offset:         152
        .size:           8
        .value_kind:     by_value
      - .offset:         160
        .size:           4
        .value_kind:     by_value
      - .offset:         164
        .size:           4
        .value_kind:     by_value
      - .offset:         168
        .size:           8
        .value_kind:     by_value
      - .offset:         176
        .size:           4
        .value_kind:     by_value
      - .offset:         180
        .size:           4
        .value_kind:     by_value
      - .offset:         184
        .size:           4
        .value_kind:     by_value
      - .offset:         188
        .size:           4
        .value_kind:     by_value
      - .offset:         192
        .size:           4
        .value_kind:     by_value
      - .offset:         200
        .size:           8
        .value_kind:     by_value
      - .offset:         208
        .size:           4
        .value_kind:     hidden_block_count_x
      - .offset:         212
        .size:           4
        .value_kind:     hidden_block_count_y
      - .offset:         216
        .size:           4
        .value_kind:     hidden_block_count_z
      - .offset:         220
        .size:           2
        .value_kind:     hidden_group_size_x
      - .offset:         222
        .size:           2
        .value_kind:     hidden_group_size_y
      - .offset:         224
        .size:           2
        .value_kind:     hidden_group_size_z
      - .offset:         226
        .size:           2
        .value_kind:     hidden_remainder_x
      - .offset:         228
        .size:           2
        .value_kind:     hidden_remainder_y
      - .offset:         230
        .size:           2
        .value_kind:     hidden_remainder_z
      - .offset:         248
        .size:           8
        .value_kind:     hidden_global_offset_x
      - .offset:         256
        .size:           8
        .value_kind:     hidden_global_offset_y
      - .offset:         264
        .size:           8
        .value_kind:     hidden_global_offset_z
      - .offset:         272
        .size:           2
        .value_kind:     hidden_grid_dims
    .group_segment_fixed_size: 34816
    .kernarg_segment_align: 8
    .kernarg_segment_size: 464
    .language:       OpenCL C
    .language_version:
      - 2
      - 0
    .max_flat_workgroup_size: 256
    .name:           _ZL15flash_attn_tileILi128ELi128ELi16ELi2ELb0EEvPKcS1_S1_S1_S1_PKiPfP15HIP_vector_typeIfLj2EEffffjfiS5_IjLj3EEiiiiiiiiiiiliiliiiiil
    .private_segment_fixed_size: 0
    .sgpr_count:     54
    .sgpr_spill_count: 0
    .symbol:         _ZL15flash_attn_tileILi128ELi128ELi16ELi2ELb0EEvPKcS1_S1_S1_S1_PKiPfP15HIP_vector_typeIfLj2EEffffjfiS5_IjLj3EEiiiiiiiiiiiliiliiiiil.kd
    .uniform_work_group_size: 1
    .uses_dynamic_stack: false
    .vgpr_count:     159
    .vgpr_spill_count: 0
    .wavefront_size: 32
  - .args:
      - .address_space:  global
        .offset:         0
        .size:           8
        .value_kind:     global_buffer
      - .address_space:  global
        .offset:         8
        .size:           8
        .value_kind:     global_buffer
      - .offset:         16
        .size:           4
        .value_kind:     by_value
      - .offset:         20
        .size:           4
        .value_kind:     by_value
      - .offset:         24
        .size:           4
        .value_kind:     by_value
      - .offset:         28
        .size:           4
        .value_kind:     by_value
      - .offset:         32
        .size:           4
        .value_kind:     by_value
      - .offset:         36
        .size:           4
        .value_kind:     by_value
      - .offset:         40
        .size:           12
        .value_kind:     by_value
      - .offset:         52
        .size:           12
        .value_kind:     by_value
      - .offset:         64
        .size:           12
        .value_kind:     by_value
    .group_segment_fixed_size: 0
    .kernarg_segment_align: 8
    .kernarg_segment_size: 76
    .language:       OpenCL C
    .language_version:
      - 2
      - 0
    .max_flat_workgroup_size: 128
    .name:           _ZL33flash_attn_stream_k_fixup_uniformILi128ELi16ELi2EEvPfPK15HIP_vector_typeIfLj2EEiiiiiiS1_IjLj3EES5_S5_
    .private_segment_fixed_size: 0
    .sgpr_count:     23
    .sgpr_spill_count: 0
    .symbol:         _ZL33flash_attn_stream_k_fixup_uniformILi128ELi16ELi2EEvPfPK15HIP_vector_typeIfLj2EEiiiiiiS1_IjLj3EES5_S5_.kd
    .uniform_work_group_size: 1
    .uses_dynamic_stack: false
    .vgpr_count:     12
    .vgpr_spill_count: 0
    .wavefront_size: 32
  - .args:
      - .address_space:  global
        .offset:         0
        .size:           8
        .value_kind:     global_buffer
      - .address_space:  global
        .offset:         8
        .size:           8
        .value_kind:     global_buffer
      - .offset:         16
        .size:           4
        .value_kind:     by_value
      - .offset:         20
        .size:           4
        .value_kind:     by_value
      - .offset:         24
        .size:           4
        .value_kind:     by_value
      - .offset:         28
        .size:           4
        .value_kind:     by_value
      - .offset:         32
        .size:           12
        .value_kind:     by_value
      - .offset:         44
        .size:           12
        .value_kind:     by_value
      - .offset:         56
        .size:           12
        .value_kind:     by_value
      - .offset:         68
        .size:           12
        .value_kind:     by_value
      - .offset:         80
        .size:           4
        .value_kind:     hidden_block_count_x
      - .offset:         84
        .size:           4
        .value_kind:     hidden_block_count_y
      - .offset:         88
        .size:           4
        .value_kind:     hidden_block_count_z
      - .offset:         92
        .size:           2
        .value_kind:     hidden_group_size_x
      - .offset:         94
        .size:           2
        .value_kind:     hidden_group_size_y
      - .offset:         96
        .size:           2
        .value_kind:     hidden_group_size_z
      - .offset:         98
        .size:           2
        .value_kind:     hidden_remainder_x
      - .offset:         100
        .size:           2
        .value_kind:     hidden_remainder_y
      - .offset:         102
        .size:           2
        .value_kind:     hidden_remainder_z
      - .offset:         120
        .size:           8
        .value_kind:     hidden_global_offset_x
      - .offset:         128
        .size:           8
        .value_kind:     hidden_global_offset_y
      - .offset:         136
        .size:           8
        .value_kind:     hidden_global_offset_z
      - .offset:         144
        .size:           2
        .value_kind:     hidden_grid_dims
    .group_segment_fixed_size: 0
    .kernarg_segment_align: 8
    .kernarg_segment_size: 336
    .language:       OpenCL C
    .language_version:
      - 2
      - 0
    .max_flat_workgroup_size: 128
    .name:           _ZL33flash_attn_stream_k_fixup_generalILi128ELi16ELi2EEvPfPK15HIP_vector_typeIfLj2EEiiiiS1_IjLj3EES5_S5_S5_
    .private_segment_fixed_size: 0
    .sgpr_count:     48
    .sgpr_spill_count: 0
    .symbol:         _ZL33flash_attn_stream_k_fixup_generalILi128ELi16ELi2EEvPfPK15HIP_vector_typeIfLj2EEiiiiS1_IjLj3EES5_S5_S5_.kd
    .uniform_work_group_size: 1
    .uses_dynamic_stack: false
    .vgpr_count:     12
    .vgpr_spill_count: 0
    .wavefront_size: 32
  - .args:
      - .address_space:  global
        .offset:         0
        .size:           8
        .value_kind:     global_buffer
      - .address_space:  global
        .offset:         8
        .size:           8
        .value_kind:     global_buffer
      - .address_space:  global
        .offset:         16
        .size:           8
        .value_kind:     global_buffer
      - .address_space:  global
        .offset:         24
        .size:           8
        .value_kind:     global_buffer
      - .address_space:  global
        .offset:         32
        .size:           8
        .value_kind:     global_buffer
      - .address_space:  global
        .offset:         40
        .size:           8
        .value_kind:     global_buffer
      - .address_space:  global
        .offset:         48
        .size:           8
        .value_kind:     global_buffer
      - .address_space:  global
        .offset:         56
        .size:           8
        .value_kind:     global_buffer
      - .offset:         64
        .size:           4
        .value_kind:     by_value
      - .offset:         68
        .size:           4
        .value_kind:     by_value
      - .offset:         72
        .size:           4
        .value_kind:     by_value
      - .offset:         76
        .size:           4
        .value_kind:     by_value
      - .offset:         80
        .size:           4
        .value_kind:     by_value
      - .offset:         84
        .size:           4
        .value_kind:     by_value
      - .offset:         88
        .size:           4
        .value_kind:     by_value
      - .offset:         92
        .size:           12
        .value_kind:     by_value
      - .offset:         104
        .size:           4
        .value_kind:     by_value
      - .offset:         108
        .size:           4
        .value_kind:     by_value
      - .offset:         112
        .size:           4
        .value_kind:     by_value
      - .offset:         116
        .size:           4
        .value_kind:     by_value
      - .offset:         120
        .size:           4
        .value_kind:     by_value
      - .offset:         124
        .size:           4
        .value_kind:     by_value
      - .offset:         128
        .size:           4
        .value_kind:     by_value
      - .offset:         132
        .size:           4
        .value_kind:     by_value
      - .offset:         136
        .size:           4
        .value_kind:     by_value
      - .offset:         140
        .size:           4
        .value_kind:     by_value
      - .offset:         144
        .size:           4
        .value_kind:     by_value
      - .offset:         152
        .size:           8
        .value_kind:     by_value
      - .offset:         160
        .size:           4
        .value_kind:     by_value
      - .offset:         164
        .size:           4
        .value_kind:     by_value
      - .offset:         168
        .size:           8
        .value_kind:     by_value
      - .offset:         176
        .size:           4
        .value_kind:     by_value
      - .offset:         180
        .size:           4
        .value_kind:     by_value
      - .offset:         184
        .size:           4
        .value_kind:     by_value
      - .offset:         188
        .size:           4
        .value_kind:     by_value
      - .offset:         192
        .size:           4
        .value_kind:     by_value
      - .offset:         200
        .size:           8
        .value_kind:     by_value
      - .offset:         208
        .size:           4
        .value_kind:     hidden_block_count_x
      - .offset:         212
        .size:           4
        .value_kind:     hidden_block_count_y
      - .offset:         216
        .size:           4
        .value_kind:     hidden_block_count_z
      - .offset:         220
        .size:           2
        .value_kind:     hidden_group_size_x
      - .offset:         222
        .size:           2
        .value_kind:     hidden_group_size_y
      - .offset:         224
        .size:           2
        .value_kind:     hidden_group_size_z
      - .offset:         226
        .size:           2
        .value_kind:     hidden_remainder_x
      - .offset:         228
        .size:           2
        .value_kind:     hidden_remainder_y
      - .offset:         230
        .size:           2
        .value_kind:     hidden_remainder_z
      - .offset:         248
        .size:           8
        .value_kind:     hidden_global_offset_x
      - .offset:         256
        .size:           8
        .value_kind:     hidden_global_offset_y
      - .offset:         264
        .size:           8
        .value_kind:     hidden_global_offset_z
      - .offset:         272
        .size:           2
        .value_kind:     hidden_grid_dims
    .group_segment_fixed_size: 43008
    .kernarg_segment_align: 8
    .kernarg_segment_size: 464
    .language:       OpenCL C
    .language_version:
      - 2
      - 0
    .max_flat_workgroup_size: 256
    .name:           _ZL15flash_attn_tileILi128ELi128ELi8ELi2ELb0EEvPKcS1_S1_S1_S1_PKiPfP15HIP_vector_typeIfLj2EEffffjfiS5_IjLj3EEiiiiiiiiiiiliiliiiiil
    .private_segment_fixed_size: 0
    .sgpr_count:     45
    .sgpr_spill_count: 0
    .symbol:         _ZL15flash_attn_tileILi128ELi128ELi8ELi2ELb0EEvPKcS1_S1_S1_S1_PKiPfP15HIP_vector_typeIfLj2EEffffjfiS5_IjLj3EEiiiiiiiiiiiliiliiiiil.kd
    .uniform_work_group_size: 1
    .uses_dynamic_stack: false
    .vgpr_count:     138
    .vgpr_spill_count: 0
    .wavefront_size: 32
  - .args:
      - .address_space:  global
        .offset:         0
        .size:           8
        .value_kind:     global_buffer
      - .address_space:  global
        .offset:         8
        .size:           8
        .value_kind:     global_buffer
      - .offset:         16
        .size:           4
        .value_kind:     by_value
      - .offset:         20
        .size:           4
        .value_kind:     by_value
      - .offset:         24
        .size:           4
        .value_kind:     by_value
      - .offset:         28
        .size:           4
        .value_kind:     by_value
      - .offset:         32
        .size:           4
        .value_kind:     by_value
      - .offset:         36
        .size:           4
        .value_kind:     by_value
      - .offset:         40
        .size:           12
        .value_kind:     by_value
      - .offset:         52
        .size:           12
        .value_kind:     by_value
      - .offset:         64
        .size:           12
        .value_kind:     by_value
    .group_segment_fixed_size: 0
    .kernarg_segment_align: 8
    .kernarg_segment_size: 76
    .language:       OpenCL C
    .language_version:
      - 2
      - 0
    .max_flat_workgroup_size: 128
    .name:           _ZL33flash_attn_stream_k_fixup_uniformILi128ELi8ELi2EEvPfPK15HIP_vector_typeIfLj2EEiiiiiiS1_IjLj3EES5_S5_
    .private_segment_fixed_size: 0
    .sgpr_count:     23
    .sgpr_spill_count: 0
    .symbol:         _ZL33flash_attn_stream_k_fixup_uniformILi128ELi8ELi2EEvPfPK15HIP_vector_typeIfLj2EEiiiiiiS1_IjLj3EES5_S5_.kd
    .uniform_work_group_size: 1
    .uses_dynamic_stack: false
    .vgpr_count:     12
    .vgpr_spill_count: 0
    .wavefront_size: 32
  - .args:
      - .address_space:  global
        .offset:         0
        .size:           8
        .value_kind:     global_buffer
      - .address_space:  global
        .offset:         8
        .size:           8
        .value_kind:     global_buffer
      - .offset:         16
        .size:           4
        .value_kind:     by_value
      - .offset:         20
        .size:           4
        .value_kind:     by_value
      - .offset:         24
        .size:           4
        .value_kind:     by_value
      - .offset:         28
        .size:           4
        .value_kind:     by_value
      - .offset:         32
        .size:           12
        .value_kind:     by_value
      - .offset:         44
        .size:           12
        .value_kind:     by_value
      - .offset:         56
        .size:           12
        .value_kind:     by_value
      - .offset:         68
        .size:           12
        .value_kind:     by_value
      - .offset:         80
        .size:           4
        .value_kind:     hidden_block_count_x
      - .offset:         84
        .size:           4
        .value_kind:     hidden_block_count_y
      - .offset:         88
        .size:           4
        .value_kind:     hidden_block_count_z
      - .offset:         92
        .size:           2
        .value_kind:     hidden_group_size_x
      - .offset:         94
        .size:           2
        .value_kind:     hidden_group_size_y
      - .offset:         96
        .size:           2
        .value_kind:     hidden_group_size_z
      - .offset:         98
        .size:           2
        .value_kind:     hidden_remainder_x
      - .offset:         100
        .size:           2
        .value_kind:     hidden_remainder_y
      - .offset:         102
        .size:           2
        .value_kind:     hidden_remainder_z
      - .offset:         120
        .size:           8
        .value_kind:     hidden_global_offset_x
      - .offset:         128
        .size:           8
        .value_kind:     hidden_global_offset_y
      - .offset:         136
        .size:           8
        .value_kind:     hidden_global_offset_z
      - .offset:         144
        .size:           2
        .value_kind:     hidden_grid_dims
    .group_segment_fixed_size: 0
    .kernarg_segment_align: 8
    .kernarg_segment_size: 336
    .language:       OpenCL C
    .language_version:
      - 2
      - 0
    .max_flat_workgroup_size: 128
    .name:           _ZL33flash_attn_stream_k_fixup_generalILi128ELi8ELi2EEvPfPK15HIP_vector_typeIfLj2EEiiiiS1_IjLj3EES5_S5_S5_
    .private_segment_fixed_size: 0
    .sgpr_count:     48
    .sgpr_spill_count: 0
    .symbol:         _ZL33flash_attn_stream_k_fixup_generalILi128ELi8ELi2EEvPfPK15HIP_vector_typeIfLj2EEiiiiS1_IjLj3EES5_S5_S5_.kd
    .uniform_work_group_size: 1
    .uses_dynamic_stack: false
    .vgpr_count:     12
    .vgpr_spill_count: 0
    .wavefront_size: 32
  - .args:
      - .address_space:  global
        .offset:         0
        .size:           8
        .value_kind:     global_buffer
      - .address_space:  global
        .offset:         8
        .size:           8
        .value_kind:     global_buffer
      - .address_space:  global
        .offset:         16
        .size:           8
        .value_kind:     global_buffer
      - .address_space:  global
        .offset:         24
        .size:           8
        .value_kind:     global_buffer
      - .address_space:  global
        .offset:         32
        .size:           8
        .value_kind:     global_buffer
      - .address_space:  global
        .offset:         40
        .size:           8
        .value_kind:     global_buffer
      - .address_space:  global
        .offset:         48
        .size:           8
        .value_kind:     global_buffer
      - .address_space:  global
        .offset:         56
        .size:           8
        .value_kind:     global_buffer
      - .offset:         64
        .size:           4
        .value_kind:     by_value
      - .offset:         68
        .size:           4
        .value_kind:     by_value
      - .offset:         72
        .size:           4
        .value_kind:     by_value
      - .offset:         76
        .size:           4
        .value_kind:     by_value
      - .offset:         80
        .size:           4
        .value_kind:     by_value
      - .offset:         84
        .size:           4
        .value_kind:     by_value
      - .offset:         88
        .size:           4
        .value_kind:     by_value
      - .offset:         92
        .size:           12
        .value_kind:     by_value
      - .offset:         104
        .size:           4
        .value_kind:     by_value
      - .offset:         108
        .size:           4
        .value_kind:     by_value
      - .offset:         112
        .size:           4
        .value_kind:     by_value
      - .offset:         116
        .size:           4
        .value_kind:     by_value
      - .offset:         120
        .size:           4
        .value_kind:     by_value
      - .offset:         124
        .size:           4
        .value_kind:     by_value
      - .offset:         128
        .size:           4
        .value_kind:     by_value
      - .offset:         132
        .size:           4
        .value_kind:     by_value
      - .offset:         136
        .size:           4
        .value_kind:     by_value
      - .offset:         140
        .size:           4
        .value_kind:     by_value
      - .offset:         144
        .size:           4
        .value_kind:     by_value
      - .offset:         152
        .size:           8
        .value_kind:     by_value
      - .offset:         160
        .size:           4
        .value_kind:     by_value
      - .offset:         164
        .size:           4
        .value_kind:     by_value
      - .offset:         168
        .size:           8
        .value_kind:     by_value
      - .offset:         176
        .size:           4
        .value_kind:     by_value
      - .offset:         180
        .size:           4
        .value_kind:     by_value
      - .offset:         184
        .size:           4
        .value_kind:     by_value
      - .offset:         188
        .size:           4
        .value_kind:     by_value
      - .offset:         192
        .size:           4
        .value_kind:     by_value
      - .offset:         200
        .size:           8
        .value_kind:     by_value
      - .offset:         208
        .size:           4
        .value_kind:     hidden_block_count_x
      - .offset:         212
        .size:           4
        .value_kind:     hidden_block_count_y
      - .offset:         216
        .size:           4
        .value_kind:     hidden_block_count_z
      - .offset:         220
        .size:           2
        .value_kind:     hidden_group_size_x
      - .offset:         222
        .size:           2
        .value_kind:     hidden_group_size_y
      - .offset:         224
        .size:           2
        .value_kind:     hidden_group_size_z
      - .offset:         226
        .size:           2
        .value_kind:     hidden_remainder_x
      - .offset:         228
        .size:           2
        .value_kind:     hidden_remainder_y
      - .offset:         230
        .size:           2
        .value_kind:     hidden_remainder_z
      - .offset:         248
        .size:           8
        .value_kind:     hidden_global_offset_x
      - .offset:         256
        .size:           8
        .value_kind:     hidden_global_offset_y
      - .offset:         264
        .size:           8
        .value_kind:     hidden_global_offset_z
      - .offset:         272
        .size:           2
        .value_kind:     hidden_grid_dims
    .group_segment_fixed_size: 12288
    .kernarg_segment_align: 8
    .kernarg_segment_size: 464
    .language:       OpenCL C
    .language_version:
      - 2
      - 0
    .max_flat_workgroup_size: 128
    .name:           _ZL15flash_attn_tileILi128ELi128ELi4ELi2ELb0EEvPKcS1_S1_S1_S1_PKiPfP15HIP_vector_typeIfLj2EEffffjfiS5_IjLj3EEiiiiiiiiiiiliiliiiiil
    .private_segment_fixed_size: 0
    .sgpr_count:     45
    .sgpr_spill_count: 0
    .symbol:         _ZL15flash_attn_tileILi128ELi128ELi4ELi2ELb0EEvPKcS1_S1_S1_S1_PKiPfP15HIP_vector_typeIfLj2EEffffjfiS5_IjLj3EEiiiiiiiiiiiliiliiiiil.kd
    .uniform_work_group_size: 1
    .uses_dynamic_stack: false
    .vgpr_count:     110
    .vgpr_spill_count: 0
    .wavefront_size: 32
  - .args:
      - .address_space:  global
        .offset:         0
        .size:           8
        .value_kind:     global_buffer
      - .address_space:  global
        .offset:         8
        .size:           8
        .value_kind:     global_buffer
      - .offset:         16
        .size:           4
        .value_kind:     by_value
      - .offset:         20
        .size:           4
        .value_kind:     by_value
      - .offset:         24
        .size:           4
        .value_kind:     by_value
      - .offset:         28
        .size:           4
        .value_kind:     by_value
      - .offset:         32
        .size:           4
        .value_kind:     by_value
      - .offset:         36
        .size:           4
        .value_kind:     by_value
      - .offset:         40
        .size:           12
        .value_kind:     by_value
      - .offset:         52
        .size:           12
        .value_kind:     by_value
      - .offset:         64
        .size:           12
        .value_kind:     by_value
    .group_segment_fixed_size: 0
    .kernarg_segment_align: 8
    .kernarg_segment_size: 76
    .language:       OpenCL C
    .language_version:
      - 2
      - 0
    .max_flat_workgroup_size: 128
    .name:           _ZL33flash_attn_stream_k_fixup_uniformILi128ELi4ELi2EEvPfPK15HIP_vector_typeIfLj2EEiiiiiiS1_IjLj3EES5_S5_
    .private_segment_fixed_size: 0
    .sgpr_count:     23
    .sgpr_spill_count: 0
    .symbol:         _ZL33flash_attn_stream_k_fixup_uniformILi128ELi4ELi2EEvPfPK15HIP_vector_typeIfLj2EEiiiiiiS1_IjLj3EES5_S5_.kd
    .uniform_work_group_size: 1
    .uses_dynamic_stack: false
    .vgpr_count:     12
    .vgpr_spill_count: 0
    .wavefront_size: 32
  - .args:
      - .address_space:  global
        .offset:         0
        .size:           8
        .value_kind:     global_buffer
      - .address_space:  global
        .offset:         8
        .size:           8
        .value_kind:     global_buffer
      - .offset:         16
        .size:           4
        .value_kind:     by_value
      - .offset:         20
        .size:           4
        .value_kind:     by_value
      - .offset:         24
        .size:           4
        .value_kind:     by_value
      - .offset:         28
        .size:           4
        .value_kind:     by_value
      - .offset:         32
        .size:           12
        .value_kind:     by_value
      - .offset:         44
        .size:           12
        .value_kind:     by_value
      - .offset:         56
        .size:           12
        .value_kind:     by_value
      - .offset:         68
        .size:           12
        .value_kind:     by_value
      - .offset:         80
        .size:           4
        .value_kind:     hidden_block_count_x
      - .offset:         84
        .size:           4
        .value_kind:     hidden_block_count_y
      - .offset:         88
        .size:           4
        .value_kind:     hidden_block_count_z
      - .offset:         92
        .size:           2
        .value_kind:     hidden_group_size_x
      - .offset:         94
        .size:           2
        .value_kind:     hidden_group_size_y
      - .offset:         96
        .size:           2
        .value_kind:     hidden_group_size_z
      - .offset:         98
        .size:           2
        .value_kind:     hidden_remainder_x
      - .offset:         100
        .size:           2
        .value_kind:     hidden_remainder_y
      - .offset:         102
        .size:           2
        .value_kind:     hidden_remainder_z
      - .offset:         120
        .size:           8
        .value_kind:     hidden_global_offset_x
      - .offset:         128
        .size:           8
        .value_kind:     hidden_global_offset_y
      - .offset:         136
        .size:           8
        .value_kind:     hidden_global_offset_z
      - .offset:         144
        .size:           2
        .value_kind:     hidden_grid_dims
    .group_segment_fixed_size: 0
    .kernarg_segment_align: 8
    .kernarg_segment_size: 336
    .language:       OpenCL C
    .language_version:
      - 2
      - 0
    .max_flat_workgroup_size: 128
    .name:           _ZL33flash_attn_stream_k_fixup_generalILi128ELi4ELi2EEvPfPK15HIP_vector_typeIfLj2EEiiiiS1_IjLj3EES5_S5_S5_
    .private_segment_fixed_size: 0
    .sgpr_count:     48
    .sgpr_spill_count: 0
    .symbol:         _ZL33flash_attn_stream_k_fixup_generalILi128ELi4ELi2EEvPfPK15HIP_vector_typeIfLj2EEiiiiS1_IjLj3EES5_S5_S5_.kd
    .uniform_work_group_size: 1
    .uses_dynamic_stack: false
    .vgpr_count:     12
    .vgpr_spill_count: 0
    .wavefront_size: 32
  - .args:
      - .address_space:  global
        .offset:         0
        .size:           8
        .value_kind:     global_buffer
      - .address_space:  global
        .offset:         8
        .size:           8
        .value_kind:     global_buffer
      - .address_space:  global
        .offset:         16
        .size:           8
        .value_kind:     global_buffer
      - .address_space:  global
        .offset:         24
        .size:           8
        .value_kind:     global_buffer
      - .address_space:  global
        .offset:         32
        .size:           8
        .value_kind:     global_buffer
      - .address_space:  global
        .offset:         40
        .size:           8
        .value_kind:     global_buffer
      - .address_space:  global
        .offset:         48
        .size:           8
        .value_kind:     global_buffer
      - .address_space:  global
        .offset:         56
        .size:           8
        .value_kind:     global_buffer
      - .offset:         64
        .size:           4
        .value_kind:     by_value
      - .offset:         68
        .size:           4
        .value_kind:     by_value
      - .offset:         72
        .size:           4
        .value_kind:     by_value
      - .offset:         76
        .size:           4
        .value_kind:     by_value
      - .offset:         80
        .size:           4
        .value_kind:     by_value
      - .offset:         84
        .size:           4
        .value_kind:     by_value
      - .offset:         88
        .size:           4
        .value_kind:     by_value
      - .offset:         92
        .size:           12
        .value_kind:     by_value
      - .offset:         104
        .size:           4
        .value_kind:     by_value
      - .offset:         108
        .size:           4
        .value_kind:     by_value
      - .offset:         112
        .size:           4
        .value_kind:     by_value
      - .offset:         116
        .size:           4
        .value_kind:     by_value
      - .offset:         120
        .size:           4
        .value_kind:     by_value
      - .offset:         124
        .size:           4
        .value_kind:     by_value
      - .offset:         128
        .size:           4
        .value_kind:     by_value
      - .offset:         132
        .size:           4
        .value_kind:     by_value
      - .offset:         136
        .size:           4
        .value_kind:     by_value
      - .offset:         140
        .size:           4
        .value_kind:     by_value
      - .offset:         144
        .size:           4
        .value_kind:     by_value
      - .offset:         152
        .size:           8
        .value_kind:     by_value
      - .offset:         160
        .size:           4
        .value_kind:     by_value
      - .offset:         164
        .size:           4
        .value_kind:     by_value
      - .offset:         168
        .size:           8
        .value_kind:     by_value
      - .offset:         176
        .size:           4
        .value_kind:     by_value
      - .offset:         180
        .size:           4
        .value_kind:     by_value
      - .offset:         184
        .size:           4
        .value_kind:     by_value
      - .offset:         188
        .size:           4
        .value_kind:     by_value
      - .offset:         192
        .size:           4
        .value_kind:     by_value
      - .offset:         200
        .size:           8
        .value_kind:     by_value
      - .offset:         208
        .size:           4
        .value_kind:     hidden_block_count_x
      - .offset:         212
        .size:           4
        .value_kind:     hidden_block_count_y
      - .offset:         216
        .size:           4
        .value_kind:     hidden_block_count_z
      - .offset:         220
        .size:           2
        .value_kind:     hidden_group_size_x
      - .offset:         222
        .size:           2
        .value_kind:     hidden_group_size_y
      - .offset:         224
        .size:           2
        .value_kind:     hidden_group_size_z
      - .offset:         226
        .size:           2
        .value_kind:     hidden_remainder_x
      - .offset:         228
        .size:           2
        .value_kind:     hidden_remainder_y
      - .offset:         230
        .size:           2
        .value_kind:     hidden_remainder_z
      - .offset:         248
        .size:           8
        .value_kind:     hidden_global_offset_x
      - .offset:         256
        .size:           8
        .value_kind:     hidden_global_offset_y
      - .offset:         264
        .size:           8
        .value_kind:     hidden_global_offset_z
      - .offset:         272
        .size:           2
        .value_kind:     hidden_grid_dims
    .group_segment_fixed_size: 10752
    .kernarg_segment_align: 8
    .kernarg_segment_size: 464
    .language:       OpenCL C
    .language_version:
      - 2
      - 0
    .max_flat_workgroup_size: 128
    .name:           _ZL15flash_attn_tileILi128ELi128ELi2ELi2ELb0EEvPKcS1_S1_S1_S1_PKiPfP15HIP_vector_typeIfLj2EEffffjfiS5_IjLj3EEiiiiiiiiiiiliiliiiiil
    .private_segment_fixed_size: 0
    .sgpr_count:     45
    .sgpr_spill_count: 0
    .symbol:         _ZL15flash_attn_tileILi128ELi128ELi2ELi2ELb0EEvPKcS1_S1_S1_S1_PKiPfP15HIP_vector_typeIfLj2EEffffjfiS5_IjLj3EEiiiiiiiiiiiliiliiiiil.kd
    .uniform_work_group_size: 1
    .uses_dynamic_stack: false
    .vgpr_count:     88
    .vgpr_spill_count: 0
    .wavefront_size: 32
  - .args:
      - .address_space:  global
        .offset:         0
        .size:           8
        .value_kind:     global_buffer
      - .address_space:  global
        .offset:         8
        .size:           8
        .value_kind:     global_buffer
      - .offset:         16
        .size:           4
        .value_kind:     by_value
      - .offset:         20
        .size:           4
        .value_kind:     by_value
      - .offset:         24
        .size:           4
        .value_kind:     by_value
      - .offset:         28
        .size:           4
        .value_kind:     by_value
      - .offset:         32
        .size:           4
        .value_kind:     by_value
      - .offset:         36
        .size:           4
        .value_kind:     by_value
      - .offset:         40
        .size:           12
        .value_kind:     by_value
      - .offset:         52
        .size:           12
        .value_kind:     by_value
      - .offset:         64
        .size:           12
        .value_kind:     by_value
    .group_segment_fixed_size: 0
    .kernarg_segment_align: 8
    .kernarg_segment_size: 76
    .language:       OpenCL C
    .language_version:
      - 2
      - 0
    .max_flat_workgroup_size: 128
    .name:           _ZL33flash_attn_stream_k_fixup_uniformILi128ELi2ELi2EEvPfPK15HIP_vector_typeIfLj2EEiiiiiiS1_IjLj3EES5_S5_
    .private_segment_fixed_size: 0
    .sgpr_count:     23
    .sgpr_spill_count: 0
    .symbol:         _ZL33flash_attn_stream_k_fixup_uniformILi128ELi2ELi2EEvPfPK15HIP_vector_typeIfLj2EEiiiiiiS1_IjLj3EES5_S5_.kd
    .uniform_work_group_size: 1
    .uses_dynamic_stack: false
    .vgpr_count:     12
    .vgpr_spill_count: 0
    .wavefront_size: 32
  - .args:
      - .address_space:  global
        .offset:         0
        .size:           8
        .value_kind:     global_buffer
      - .address_space:  global
        .offset:         8
        .size:           8
        .value_kind:     global_buffer
      - .offset:         16
        .size:           4
        .value_kind:     by_value
      - .offset:         20
        .size:           4
        .value_kind:     by_value
      - .offset:         24
        .size:           4
        .value_kind:     by_value
      - .offset:         28
        .size:           4
        .value_kind:     by_value
      - .offset:         32
        .size:           12
        .value_kind:     by_value
      - .offset:         44
        .size:           12
        .value_kind:     by_value
      - .offset:         56
        .size:           12
        .value_kind:     by_value
      - .offset:         68
        .size:           12
        .value_kind:     by_value
      - .offset:         80
        .size:           4
        .value_kind:     hidden_block_count_x
      - .offset:         84
        .size:           4
        .value_kind:     hidden_block_count_y
      - .offset:         88
        .size:           4
        .value_kind:     hidden_block_count_z
      - .offset:         92
        .size:           2
        .value_kind:     hidden_group_size_x
      - .offset:         94
        .size:           2
        .value_kind:     hidden_group_size_y
      - .offset:         96
        .size:           2
        .value_kind:     hidden_group_size_z
      - .offset:         98
        .size:           2
        .value_kind:     hidden_remainder_x
      - .offset:         100
        .size:           2
        .value_kind:     hidden_remainder_y
      - .offset:         102
        .size:           2
        .value_kind:     hidden_remainder_z
      - .offset:         120
        .size:           8
        .value_kind:     hidden_global_offset_x
      - .offset:         128
        .size:           8
        .value_kind:     hidden_global_offset_y
      - .offset:         136
        .size:           8
        .value_kind:     hidden_global_offset_z
      - .offset:         144
        .size:           2
        .value_kind:     hidden_grid_dims
    .group_segment_fixed_size: 0
    .kernarg_segment_align: 8
    .kernarg_segment_size: 336
    .language:       OpenCL C
    .language_version:
      - 2
      - 0
    .max_flat_workgroup_size: 128
    .name:           _ZL33flash_attn_stream_k_fixup_generalILi128ELi2ELi2EEvPfPK15HIP_vector_typeIfLj2EEiiiiS1_IjLj3EES5_S5_S5_
    .private_segment_fixed_size: 0
    .sgpr_count:     48
    .sgpr_spill_count: 0
    .symbol:         _ZL33flash_attn_stream_k_fixup_generalILi128ELi2ELi2EEvPfPK15HIP_vector_typeIfLj2EEiiiiS1_IjLj3EES5_S5_S5_.kd
    .uniform_work_group_size: 1
    .uses_dynamic_stack: false
    .vgpr_count:     12
    .vgpr_spill_count: 0
    .wavefront_size: 32
  - .args:
      - .address_space:  global
        .offset:         0
        .size:           8
        .value_kind:     global_buffer
      - .address_space:  global
        .offset:         8
        .size:           8
        .value_kind:     global_buffer
      - .address_space:  global
        .offset:         16
        .size:           8
        .value_kind:     global_buffer
      - .address_space:  global
        .offset:         24
        .size:           8
        .value_kind:     global_buffer
      - .address_space:  global
        .offset:         32
        .size:           8
        .value_kind:     global_buffer
      - .address_space:  global
        .offset:         40
        .size:           8
        .value_kind:     global_buffer
      - .address_space:  global
        .offset:         48
        .size:           8
        .value_kind:     global_buffer
      - .address_space:  global
        .offset:         56
        .size:           8
        .value_kind:     global_buffer
      - .offset:         64
        .size:           4
        .value_kind:     by_value
      - .offset:         68
        .size:           4
        .value_kind:     by_value
      - .offset:         72
        .size:           4
        .value_kind:     by_value
      - .offset:         76
        .size:           4
        .value_kind:     by_value
      - .offset:         80
        .size:           4
        .value_kind:     by_value
      - .offset:         84
        .size:           4
        .value_kind:     by_value
      - .offset:         88
        .size:           4
        .value_kind:     by_value
      - .offset:         92
        .size:           12
        .value_kind:     by_value
      - .offset:         104
        .size:           4
        .value_kind:     by_value
      - .offset:         108
        .size:           4
        .value_kind:     by_value
      - .offset:         112
        .size:           4
        .value_kind:     by_value
      - .offset:         116
        .size:           4
        .value_kind:     by_value
      - .offset:         120
        .size:           4
        .value_kind:     by_value
      - .offset:         124
        .size:           4
        .value_kind:     by_value
      - .offset:         128
        .size:           4
        .value_kind:     by_value
      - .offset:         132
        .size:           4
        .value_kind:     by_value
      - .offset:         136
        .size:           4
        .value_kind:     by_value
      - .offset:         140
        .size:           4
        .value_kind:     by_value
      - .offset:         144
        .size:           4
        .value_kind:     by_value
      - .offset:         152
        .size:           8
        .value_kind:     by_value
      - .offset:         160
        .size:           4
        .value_kind:     by_value
      - .offset:         164
        .size:           4
        .value_kind:     by_value
      - .offset:         168
        .size:           8
        .value_kind:     by_value
      - .offset:         176
        .size:           4
        .value_kind:     by_value
      - .offset:         180
        .size:           4
        .value_kind:     by_value
      - .offset:         184
        .size:           4
        .value_kind:     by_value
      - .offset:         188
        .size:           4
        .value_kind:     by_value
      - .offset:         192
        .size:           4
        .value_kind:     by_value
      - .offset:         200
        .size:           8
        .value_kind:     by_value
      - .offset:         208
        .size:           4
        .value_kind:     hidden_block_count_x
      - .offset:         212
        .size:           4
        .value_kind:     hidden_block_count_y
      - .offset:         216
        .size:           4
        .value_kind:     hidden_block_count_z
      - .offset:         220
        .size:           2
        .value_kind:     hidden_group_size_x
      - .offset:         222
        .size:           2
        .value_kind:     hidden_group_size_y
      - .offset:         224
        .size:           2
        .value_kind:     hidden_group_size_z
      - .offset:         226
        .size:           2
        .value_kind:     hidden_remainder_x
      - .offset:         228
        .size:           2
        .value_kind:     hidden_remainder_y
      - .offset:         230
        .size:           2
        .value_kind:     hidden_remainder_z
      - .offset:         248
        .size:           8
        .value_kind:     hidden_global_offset_x
      - .offset:         256
        .size:           8
        .value_kind:     hidden_global_offset_y
      - .offset:         264
        .size:           8
        .value_kind:     hidden_global_offset_z
      - .offset:         272
        .size:           2
        .value_kind:     hidden_grid_dims
    .group_segment_fixed_size: 5248
    .kernarg_segment_align: 8
    .kernarg_segment_size: 464
    .language:       OpenCL C
    .language_version:
      - 2
      - 0
    .max_flat_workgroup_size: 64
    .name:           _ZL15flash_attn_tileILi128ELi128ELi1ELi2ELb0EEvPKcS1_S1_S1_S1_PKiPfP15HIP_vector_typeIfLj2EEffffjfiS5_IjLj3EEiiiiiiiiiiiliiliiiiil
    .private_segment_fixed_size: 0
    .sgpr_count:     45
    .sgpr_spill_count: 0
    .symbol:         _ZL15flash_attn_tileILi128ELi128ELi1ELi2ELb0EEvPKcS1_S1_S1_S1_PKiPfP15HIP_vector_typeIfLj2EEffffjfiS5_IjLj3EEiiiiiiiiiiiliiliiiiil.kd
    .uniform_work_group_size: 1
    .uses_dynamic_stack: false
    .vgpr_count:     86
    .vgpr_spill_count: 0
    .wavefront_size: 32
  - .args:
      - .address_space:  global
        .offset:         0
        .size:           8
        .value_kind:     global_buffer
      - .address_space:  global
        .offset:         8
        .size:           8
        .value_kind:     global_buffer
      - .offset:         16
        .size:           4
        .value_kind:     by_value
      - .offset:         20
        .size:           4
        .value_kind:     by_value
      - .offset:         24
        .size:           4
        .value_kind:     by_value
      - .offset:         28
        .size:           4
        .value_kind:     by_value
      - .offset:         32
        .size:           4
        .value_kind:     by_value
      - .offset:         36
        .size:           4
        .value_kind:     by_value
      - .offset:         40
        .size:           12
        .value_kind:     by_value
      - .offset:         52
        .size:           12
        .value_kind:     by_value
      - .offset:         64
        .size:           12
        .value_kind:     by_value
    .group_segment_fixed_size: 0
    .kernarg_segment_align: 8
    .kernarg_segment_size: 76
    .language:       OpenCL C
    .language_version:
      - 2
      - 0
    .max_flat_workgroup_size: 128
    .name:           _ZL33flash_attn_stream_k_fixup_uniformILi128ELi1ELi2EEvPfPK15HIP_vector_typeIfLj2EEiiiiiiS1_IjLj3EES5_S5_
    .private_segment_fixed_size: 0
    .sgpr_count:     23
    .sgpr_spill_count: 0
    .symbol:         _ZL33flash_attn_stream_k_fixup_uniformILi128ELi1ELi2EEvPfPK15HIP_vector_typeIfLj2EEiiiiiiS1_IjLj3EES5_S5_.kd
    .uniform_work_group_size: 1
    .uses_dynamic_stack: false
    .vgpr_count:     12
    .vgpr_spill_count: 0
    .wavefront_size: 32
  - .args:
      - .address_space:  global
        .offset:         0
        .size:           8
        .value_kind:     global_buffer
      - .address_space:  global
        .offset:         8
        .size:           8
        .value_kind:     global_buffer
      - .offset:         16
        .size:           4
        .value_kind:     by_value
      - .offset:         20
        .size:           4
        .value_kind:     by_value
      - .offset:         24
        .size:           4
        .value_kind:     by_value
      - .offset:         28
        .size:           4
        .value_kind:     by_value
      - .offset:         32
        .size:           12
        .value_kind:     by_value
      - .offset:         44
        .size:           12
        .value_kind:     by_value
      - .offset:         56
        .size:           12
        .value_kind:     by_value
      - .offset:         68
        .size:           12
        .value_kind:     by_value
      - .offset:         80
        .size:           4
        .value_kind:     hidden_block_count_x
      - .offset:         84
        .size:           4
        .value_kind:     hidden_block_count_y
      - .offset:         88
        .size:           4
        .value_kind:     hidden_block_count_z
      - .offset:         92
        .size:           2
        .value_kind:     hidden_group_size_x
      - .offset:         94
        .size:           2
        .value_kind:     hidden_group_size_y
      - .offset:         96
        .size:           2
        .value_kind:     hidden_group_size_z
      - .offset:         98
        .size:           2
        .value_kind:     hidden_remainder_x
      - .offset:         100
        .size:           2
        .value_kind:     hidden_remainder_y
      - .offset:         102
        .size:           2
        .value_kind:     hidden_remainder_z
      - .offset:         120
        .size:           8
        .value_kind:     hidden_global_offset_x
      - .offset:         128
        .size:           8
        .value_kind:     hidden_global_offset_y
      - .offset:         136
        .size:           8
        .value_kind:     hidden_global_offset_z
      - .offset:         144
        .size:           2
        .value_kind:     hidden_grid_dims
    .group_segment_fixed_size: 0
    .kernarg_segment_align: 8
    .kernarg_segment_size: 336
    .language:       OpenCL C
    .language_version:
      - 2
      - 0
    .max_flat_workgroup_size: 128
    .name:           _ZL33flash_attn_stream_k_fixup_generalILi128ELi1ELi2EEvPfPK15HIP_vector_typeIfLj2EEiiiiS1_IjLj3EES5_S5_S5_
    .private_segment_fixed_size: 0
    .sgpr_count:     48
    .sgpr_spill_count: 0
    .symbol:         _ZL33flash_attn_stream_k_fixup_generalILi128ELi1ELi2EEvPfPK15HIP_vector_typeIfLj2EEiiiiS1_IjLj3EES5_S5_S5_.kd
    .uniform_work_group_size: 1
    .uses_dynamic_stack: false
    .vgpr_count:     12
    .vgpr_spill_count: 0
    .wavefront_size: 32
  - .args:
      - .address_space:  global
        .offset:         0
        .size:           8
        .value_kind:     global_buffer
      - .address_space:  global
        .offset:         8
        .size:           8
        .value_kind:     global_buffer
      - .address_space:  global
        .offset:         16
        .size:           8
        .value_kind:     global_buffer
      - .address_space:  global
        .offset:         24
        .size:           8
        .value_kind:     global_buffer
      - .address_space:  global
        .offset:         32
        .size:           8
        .value_kind:     global_buffer
      - .address_space:  global
        .offset:         40
        .size:           8
        .value_kind:     global_buffer
      - .address_space:  global
        .offset:         48
        .size:           8
        .value_kind:     global_buffer
      - .address_space:  global
        .offset:         56
        .size:           8
        .value_kind:     global_buffer
      - .offset:         64
        .size:           4
        .value_kind:     by_value
      - .offset:         68
        .size:           4
        .value_kind:     by_value
      - .offset:         72
        .size:           4
        .value_kind:     by_value
      - .offset:         76
        .size:           4
        .value_kind:     by_value
      - .offset:         80
        .size:           4
        .value_kind:     by_value
      - .offset:         84
        .size:           4
        .value_kind:     by_value
      - .offset:         88
        .size:           4
        .value_kind:     by_value
      - .offset:         92
        .size:           12
        .value_kind:     by_value
      - .offset:         104
        .size:           4
        .value_kind:     by_value
      - .offset:         108
        .size:           4
        .value_kind:     by_value
      - .offset:         112
        .size:           4
        .value_kind:     by_value
      - .offset:         116
        .size:           4
        .value_kind:     by_value
      - .offset:         120
        .size:           4
        .value_kind:     by_value
      - .offset:         124
        .size:           4
        .value_kind:     by_value
      - .offset:         128
        .size:           4
        .value_kind:     by_value
      - .offset:         132
        .size:           4
        .value_kind:     by_value
      - .offset:         136
        .size:           4
        .value_kind:     by_value
      - .offset:         140
        .size:           4
        .value_kind:     by_value
      - .offset:         144
        .size:           4
        .value_kind:     by_value
      - .offset:         152
        .size:           8
        .value_kind:     by_value
      - .offset:         160
        .size:           4
        .value_kind:     by_value
      - .offset:         164
        .size:           4
        .value_kind:     by_value
      - .offset:         168
        .size:           8
        .value_kind:     by_value
      - .offset:         176
        .size:           4
        .value_kind:     by_value
      - .offset:         180
        .size:           4
        .value_kind:     by_value
      - .offset:         184
        .size:           4
        .value_kind:     by_value
      - .offset:         188
        .size:           4
        .value_kind:     by_value
      - .offset:         192
        .size:           4
        .value_kind:     by_value
      - .offset:         200
        .size:           8
        .value_kind:     by_value
      - .offset:         208
        .size:           4
        .value_kind:     hidden_block_count_x
      - .offset:         212
        .size:           4
        .value_kind:     hidden_block_count_y
      - .offset:         216
        .size:           4
        .value_kind:     hidden_block_count_z
      - .offset:         220
        .size:           2
        .value_kind:     hidden_group_size_x
      - .offset:         222
        .size:           2
        .value_kind:     hidden_group_size_y
      - .offset:         224
        .size:           2
        .value_kind:     hidden_group_size_z
      - .offset:         226
        .size:           2
        .value_kind:     hidden_remainder_x
      - .offset:         228
        .size:           2
        .value_kind:     hidden_remainder_y
      - .offset:         230
        .size:           2
        .value_kind:     hidden_remainder_z
      - .offset:         248
        .size:           8
        .value_kind:     hidden_global_offset_x
      - .offset:         256
        .size:           8
        .value_kind:     hidden_global_offset_y
      - .offset:         264
        .size:           8
        .value_kind:     hidden_global_offset_z
      - .offset:         272
        .size:           2
        .value_kind:     hidden_grid_dims
    .group_segment_fixed_size: 33792
    .kernarg_segment_align: 8
    .kernarg_segment_size: 464
    .language:       OpenCL C
    .language_version:
      - 2
      - 0
    .max_flat_workgroup_size: 256
    .name:           _ZL15flash_attn_tileILi128ELi128ELi64ELi1ELb0EEvPKcS1_S1_S1_S1_PKiPfP15HIP_vector_typeIfLj2EEffffjfiS5_IjLj3EEiiiiiiiiiiiliiliiiiil
    .private_segment_fixed_size: 32
    .sgpr_count:     48
    .sgpr_spill_count: 0
    .symbol:         _ZL15flash_attn_tileILi128ELi128ELi64ELi1ELb0EEvPKcS1_S1_S1_S1_PKiPfP15HIP_vector_typeIfLj2EEffffjfiS5_IjLj3EEiiiiiiiiiiiliiliiiiil.kd
    .uniform_work_group_size: 1
    .uses_dynamic_stack: false
    .vgpr_count:     162
    .vgpr_spill_count: 0
    .wavefront_size: 32
  - .args:
      - .actual_access:  read_only
        .address_space:  global
        .offset:         0
        .size:           8
        .value_kind:     global_buffer
      - .actual_access:  write_only
        .address_space:  global
        .offset:         8
        .size:           8
        .value_kind:     global_buffer
      - .offset:         16
        .size:           4
        .value_kind:     by_value
      - .offset:         20
        .size:           4
        .value_kind:     by_value
      - .offset:         24
        .size:           4
        .value_kind:     by_value
      - .offset:         32
        .size:           4
        .value_kind:     hidden_block_count_x
      - .offset:         36
        .size:           4
        .value_kind:     hidden_block_count_y
      - .offset:         40
        .size:           4
        .value_kind:     hidden_block_count_z
      - .offset:         44
        .size:           2
        .value_kind:     hidden_group_size_x
      - .offset:         46
        .size:           2
        .value_kind:     hidden_group_size_y
      - .offset:         48
        .size:           2
        .value_kind:     hidden_group_size_z
      - .offset:         50
        .size:           2
        .value_kind:     hidden_remainder_x
      - .offset:         52
        .size:           2
        .value_kind:     hidden_remainder_y
      - .offset:         54
        .size:           2
        .value_kind:     hidden_remainder_z
      - .offset:         72
        .size:           8
        .value_kind:     hidden_global_offset_x
      - .offset:         80
        .size:           8
        .value_kind:     hidden_global_offset_y
      - .offset:         88
        .size:           8
        .value_kind:     hidden_global_offset_z
      - .offset:         96
        .size:           2
        .value_kind:     hidden_grid_dims
    .group_segment_fixed_size: 128
    .kernarg_segment_align: 8
    .kernarg_segment_size: 288
    .language:       OpenCL C
    .language_version:
      - 2
      - 0
    .max_flat_workgroup_size: 128
    .name:           _ZL25flash_attn_mask_to_KV_maxILi64EEvPK7__half2Piiii
    .private_segment_fixed_size: 0
    .sgpr_count:     107
    .sgpr_spill_count: 33
    .symbol:         _ZL25flash_attn_mask_to_KV_maxILi64EEvPK7__half2Piiii.kd
    .uniform_work_group_size: 1
    .uses_dynamic_stack: false
    .vgpr_count:     8
    .vgpr_spill_count: 0
    .wavefront_size: 32
  - .args:
      - .address_space:  global
        .offset:         0
        .size:           8
        .value_kind:     global_buffer
      - .address_space:  global
        .offset:         8
        .size:           8
        .value_kind:     global_buffer
      - .offset:         16
        .size:           4
        .value_kind:     by_value
      - .offset:         20
        .size:           4
        .value_kind:     by_value
      - .offset:         24
        .size:           4
        .value_kind:     by_value
      - .offset:         28
        .size:           4
        .value_kind:     by_value
      - .offset:         32
        .size:           4
        .value_kind:     by_value
      - .offset:         36
        .size:           4
        .value_kind:     by_value
      - .offset:         40
        .size:           12
        .value_kind:     by_value
      - .offset:         52
        .size:           12
        .value_kind:     by_value
      - .offset:         64
        .size:           12
        .value_kind:     by_value
    .group_segment_fixed_size: 0
    .kernarg_segment_align: 8
    .kernarg_segment_size: 76
    .language:       OpenCL C
    .language_version:
      - 2
      - 0
    .max_flat_workgroup_size: 128
    .name:           _ZL33flash_attn_stream_k_fixup_uniformILi128ELi64ELi1EEvPfPK15HIP_vector_typeIfLj2EEiiiiiiS1_IjLj3EES5_S5_
    .private_segment_fixed_size: 0
    .sgpr_count:     23
    .sgpr_spill_count: 0
    .symbol:         _ZL33flash_attn_stream_k_fixup_uniformILi128ELi64ELi1EEvPfPK15HIP_vector_typeIfLj2EEiiiiiiS1_IjLj3EES5_S5_.kd
    .uniform_work_group_size: 1
    .uses_dynamic_stack: false
    .vgpr_count:     12
    .vgpr_spill_count: 0
    .wavefront_size: 32
  - .args:
      - .address_space:  global
        .offset:         0
        .size:           8
        .value_kind:     global_buffer
      - .address_space:  global
        .offset:         8
        .size:           8
        .value_kind:     global_buffer
      - .offset:         16
        .size:           4
        .value_kind:     by_value
      - .offset:         20
        .size:           4
        .value_kind:     by_value
      - .offset:         24
        .size:           4
        .value_kind:     by_value
      - .offset:         28
        .size:           4
        .value_kind:     by_value
      - .offset:         32
        .size:           12
        .value_kind:     by_value
      - .offset:         44
        .size:           12
        .value_kind:     by_value
      - .offset:         56
        .size:           12
        .value_kind:     by_value
      - .offset:         68
        .size:           12
        .value_kind:     by_value
      - .offset:         80
        .size:           4
        .value_kind:     hidden_block_count_x
      - .offset:         84
        .size:           4
        .value_kind:     hidden_block_count_y
      - .offset:         88
        .size:           4
        .value_kind:     hidden_block_count_z
      - .offset:         92
        .size:           2
        .value_kind:     hidden_group_size_x
      - .offset:         94
        .size:           2
        .value_kind:     hidden_group_size_y
      - .offset:         96
        .size:           2
        .value_kind:     hidden_group_size_z
      - .offset:         98
        .size:           2
        .value_kind:     hidden_remainder_x
      - .offset:         100
        .size:           2
        .value_kind:     hidden_remainder_y
      - .offset:         102
        .size:           2
        .value_kind:     hidden_remainder_z
      - .offset:         120
        .size:           8
        .value_kind:     hidden_global_offset_x
      - .offset:         128
        .size:           8
        .value_kind:     hidden_global_offset_y
      - .offset:         136
        .size:           8
        .value_kind:     hidden_global_offset_z
      - .offset:         144
        .size:           2
        .value_kind:     hidden_grid_dims
    .group_segment_fixed_size: 0
    .kernarg_segment_align: 8
    .kernarg_segment_size: 336
    .language:       OpenCL C
    .language_version:
      - 2
      - 0
    .max_flat_workgroup_size: 128
    .name:           _ZL33flash_attn_stream_k_fixup_generalILi128ELi64ELi1EEvPfPK15HIP_vector_typeIfLj2EEiiiiS1_IjLj3EES5_S5_S5_
    .private_segment_fixed_size: 0
    .sgpr_count:     48
    .sgpr_spill_count: 0
    .symbol:         _ZL33flash_attn_stream_k_fixup_generalILi128ELi64ELi1EEvPfPK15HIP_vector_typeIfLj2EEiiiiS1_IjLj3EES5_S5_S5_.kd
    .uniform_work_group_size: 1
    .uses_dynamic_stack: false
    .vgpr_count:     12
    .vgpr_spill_count: 0
    .wavefront_size: 32
  - .args:
      - .address_space:  global
        .offset:         0
        .size:           8
        .value_kind:     global_buffer
      - .address_space:  global
        .offset:         8
        .size:           8
        .value_kind:     global_buffer
      - .address_space:  global
        .offset:         16
        .size:           8
        .value_kind:     global_buffer
      - .address_space:  global
        .offset:         24
        .size:           8
        .value_kind:     global_buffer
      - .address_space:  global
        .offset:         32
        .size:           8
        .value_kind:     global_buffer
      - .address_space:  global
        .offset:         40
        .size:           8
        .value_kind:     global_buffer
      - .address_space:  global
        .offset:         48
        .size:           8
        .value_kind:     global_buffer
      - .address_space:  global
        .offset:         56
        .size:           8
        .value_kind:     global_buffer
      - .offset:         64
        .size:           4
        .value_kind:     by_value
      - .offset:         68
        .size:           4
        .value_kind:     by_value
      - .offset:         72
        .size:           4
        .value_kind:     by_value
      - .offset:         76
        .size:           4
        .value_kind:     by_value
      - .offset:         80
        .size:           4
        .value_kind:     by_value
      - .offset:         84
        .size:           4
        .value_kind:     by_value
      - .offset:         88
        .size:           4
        .value_kind:     by_value
      - .offset:         92
        .size:           12
        .value_kind:     by_value
      - .offset:         104
        .size:           4
        .value_kind:     by_value
      - .offset:         108
        .size:           4
        .value_kind:     by_value
      - .offset:         112
        .size:           4
        .value_kind:     by_value
      - .offset:         116
        .size:           4
        .value_kind:     by_value
      - .offset:         120
        .size:           4
        .value_kind:     by_value
      - .offset:         124
        .size:           4
        .value_kind:     by_value
      - .offset:         128
        .size:           4
        .value_kind:     by_value
      - .offset:         132
        .size:           4
        .value_kind:     by_value
      - .offset:         136
        .size:           4
        .value_kind:     by_value
      - .offset:         140
        .size:           4
        .value_kind:     by_value
      - .offset:         144
        .size:           4
        .value_kind:     by_value
      - .offset:         152
        .size:           8
        .value_kind:     by_value
      - .offset:         160
        .size:           4
        .value_kind:     by_value
      - .offset:         164
        .size:           4
        .value_kind:     by_value
      - .offset:         168
        .size:           8
        .value_kind:     by_value
      - .offset:         176
        .size:           4
        .value_kind:     by_value
      - .offset:         180
        .size:           4
        .value_kind:     by_value
      - .offset:         184
        .size:           4
        .value_kind:     by_value
      - .offset:         188
        .size:           4
        .value_kind:     by_value
      - .offset:         192
        .size:           4
        .value_kind:     by_value
      - .offset:         200
        .size:           8
        .value_kind:     by_value
      - .offset:         208
        .size:           4
        .value_kind:     hidden_block_count_x
      - .offset:         212
        .size:           4
        .value_kind:     hidden_block_count_y
      - .offset:         216
        .size:           4
        .value_kind:     hidden_block_count_z
      - .offset:         220
        .size:           2
        .value_kind:     hidden_group_size_x
      - .offset:         222
        .size:           2
        .value_kind:     hidden_group_size_y
      - .offset:         224
        .size:           2
        .value_kind:     hidden_group_size_z
      - .offset:         226
        .size:           2
        .value_kind:     hidden_remainder_x
      - .offset:         228
        .size:           2
        .value_kind:     hidden_remainder_y
      - .offset:         230
        .size:           2
        .value_kind:     hidden_remainder_z
      - .offset:         248
        .size:           8
        .value_kind:     hidden_global_offset_x
      - .offset:         256
        .size:           8
        .value_kind:     hidden_global_offset_y
      - .offset:         264
        .size:           8
        .value_kind:     hidden_global_offset_z
      - .offset:         272
        .size:           2
        .value_kind:     hidden_grid_dims
    .group_segment_fixed_size: 34816
    .kernarg_segment_align: 8
    .kernarg_segment_size: 464
    .language:       OpenCL C
    .language_version:
      - 2
      - 0
    .max_flat_workgroup_size: 256
    .name:           _ZL15flash_attn_tileILi128ELi128ELi32ELi1ELb0EEvPKcS1_S1_S1_S1_PKiPfP15HIP_vector_typeIfLj2EEffffjfiS5_IjLj3EEiiiiiiiiiiiliiliiiiil
    .private_segment_fixed_size: 32
    .sgpr_count:     50
    .sgpr_spill_count: 0
    .symbol:         _ZL15flash_attn_tileILi128ELi128ELi32ELi1ELb0EEvPKcS1_S1_S1_S1_PKiPfP15HIP_vector_typeIfLj2EEffffjfiS5_IjLj3EEiiiiiiiiiiiliiliiiiil.kd
    .uniform_work_group_size: 1
    .uses_dynamic_stack: false
    .vgpr_count:     134
    .vgpr_spill_count: 0
    .wavefront_size: 32
  - .args:
      - .address_space:  global
        .offset:         0
        .size:           8
        .value_kind:     global_buffer
      - .address_space:  global
        .offset:         8
        .size:           8
        .value_kind:     global_buffer
      - .offset:         16
        .size:           4
        .value_kind:     by_value
      - .offset:         20
        .size:           4
        .value_kind:     by_value
      - .offset:         24
        .size:           4
        .value_kind:     by_value
      - .offset:         28
        .size:           4
        .value_kind:     by_value
      - .offset:         32
        .size:           4
        .value_kind:     by_value
      - .offset:         36
        .size:           4
        .value_kind:     by_value
      - .offset:         40
        .size:           12
        .value_kind:     by_value
      - .offset:         52
        .size:           12
        .value_kind:     by_value
      - .offset:         64
        .size:           12
        .value_kind:     by_value
    .group_segment_fixed_size: 0
    .kernarg_segment_align: 8
    .kernarg_segment_size: 76
    .language:       OpenCL C
    .language_version:
      - 2
      - 0
    .max_flat_workgroup_size: 128
    .name:           _ZL33flash_attn_stream_k_fixup_uniformILi128ELi32ELi1EEvPfPK15HIP_vector_typeIfLj2EEiiiiiiS1_IjLj3EES5_S5_
    .private_segment_fixed_size: 0
    .sgpr_count:     23
    .sgpr_spill_count: 0
    .symbol:         _ZL33flash_attn_stream_k_fixup_uniformILi128ELi32ELi1EEvPfPK15HIP_vector_typeIfLj2EEiiiiiiS1_IjLj3EES5_S5_.kd
    .uniform_work_group_size: 1
    .uses_dynamic_stack: false
    .vgpr_count:     12
    .vgpr_spill_count: 0
    .wavefront_size: 32
  - .args:
      - .address_space:  global
        .offset:         0
        .size:           8
        .value_kind:     global_buffer
      - .address_space:  global
        .offset:         8
        .size:           8
        .value_kind:     global_buffer
      - .offset:         16
        .size:           4
        .value_kind:     by_value
      - .offset:         20
        .size:           4
        .value_kind:     by_value
      - .offset:         24
        .size:           4
        .value_kind:     by_value
      - .offset:         28
        .size:           4
        .value_kind:     by_value
      - .offset:         32
        .size:           12
        .value_kind:     by_value
      - .offset:         44
        .size:           12
        .value_kind:     by_value
      - .offset:         56
        .size:           12
        .value_kind:     by_value
      - .offset:         68
        .size:           12
        .value_kind:     by_value
      - .offset:         80
        .size:           4
        .value_kind:     hidden_block_count_x
      - .offset:         84
        .size:           4
        .value_kind:     hidden_block_count_y
      - .offset:         88
        .size:           4
        .value_kind:     hidden_block_count_z
      - .offset:         92
        .size:           2
        .value_kind:     hidden_group_size_x
      - .offset:         94
        .size:           2
        .value_kind:     hidden_group_size_y
      - .offset:         96
        .size:           2
        .value_kind:     hidden_group_size_z
      - .offset:         98
        .size:           2
        .value_kind:     hidden_remainder_x
      - .offset:         100
        .size:           2
        .value_kind:     hidden_remainder_y
      - .offset:         102
        .size:           2
        .value_kind:     hidden_remainder_z
      - .offset:         120
        .size:           8
        .value_kind:     hidden_global_offset_x
      - .offset:         128
        .size:           8
        .value_kind:     hidden_global_offset_y
      - .offset:         136
        .size:           8
        .value_kind:     hidden_global_offset_z
      - .offset:         144
        .size:           2
        .value_kind:     hidden_grid_dims
    .group_segment_fixed_size: 0
    .kernarg_segment_align: 8
    .kernarg_segment_size: 336
    .language:       OpenCL C
    .language_version:
      - 2
      - 0
    .max_flat_workgroup_size: 128
    .name:           _ZL33flash_attn_stream_k_fixup_generalILi128ELi32ELi1EEvPfPK15HIP_vector_typeIfLj2EEiiiiS1_IjLj3EES5_S5_S5_
    .private_segment_fixed_size: 0
    .sgpr_count:     48
    .sgpr_spill_count: 0
    .symbol:         _ZL33flash_attn_stream_k_fixup_generalILi128ELi32ELi1EEvPfPK15HIP_vector_typeIfLj2EEiiiiS1_IjLj3EES5_S5_S5_.kd
    .uniform_work_group_size: 1
    .uses_dynamic_stack: false
    .vgpr_count:     12
    .vgpr_spill_count: 0
    .wavefront_size: 32
  - .args:
      - .address_space:  global
        .offset:         0
        .size:           8
        .value_kind:     global_buffer
      - .address_space:  global
        .offset:         8
        .size:           8
        .value_kind:     global_buffer
      - .address_space:  global
        .offset:         16
        .size:           8
        .value_kind:     global_buffer
      - .address_space:  global
        .offset:         24
        .size:           8
        .value_kind:     global_buffer
      - .address_space:  global
        .offset:         32
        .size:           8
        .value_kind:     global_buffer
      - .address_space:  global
        .offset:         40
        .size:           8
        .value_kind:     global_buffer
      - .address_space:  global
        .offset:         48
        .size:           8
        .value_kind:     global_buffer
      - .address_space:  global
        .offset:         56
        .size:           8
        .value_kind:     global_buffer
      - .offset:         64
        .size:           4
        .value_kind:     by_value
      - .offset:         68
        .size:           4
        .value_kind:     by_value
      - .offset:         72
        .size:           4
        .value_kind:     by_value
      - .offset:         76
        .size:           4
        .value_kind:     by_value
      - .offset:         80
        .size:           4
        .value_kind:     by_value
      - .offset:         84
        .size:           4
        .value_kind:     by_value
      - .offset:         88
        .size:           4
        .value_kind:     by_value
      - .offset:         92
        .size:           12
        .value_kind:     by_value
      - .offset:         104
        .size:           4
        .value_kind:     by_value
      - .offset:         108
        .size:           4
        .value_kind:     by_value
      - .offset:         112
        .size:           4
        .value_kind:     by_value
      - .offset:         116
        .size:           4
        .value_kind:     by_value
      - .offset:         120
        .size:           4
        .value_kind:     by_value
      - .offset:         124
        .size:           4
        .value_kind:     by_value
      - .offset:         128
        .size:           4
        .value_kind:     by_value
      - .offset:         132
        .size:           4
        .value_kind:     by_value
      - .offset:         136
        .size:           4
        .value_kind:     by_value
      - .offset:         140
        .size:           4
        .value_kind:     by_value
      - .offset:         144
        .size:           4
        .value_kind:     by_value
      - .offset:         152
        .size:           8
        .value_kind:     by_value
      - .offset:         160
        .size:           4
        .value_kind:     by_value
      - .offset:         164
        .size:           4
        .value_kind:     by_value
      - .offset:         168
        .size:           8
        .value_kind:     by_value
      - .offset:         176
        .size:           4
        .value_kind:     by_value
      - .offset:         180
        .size:           4
        .value_kind:     by_value
      - .offset:         184
        .size:           4
        .value_kind:     by_value
      - .offset:         188
        .size:           4
        .value_kind:     by_value
      - .offset:         192
        .size:           4
        .value_kind:     by_value
      - .offset:         200
        .size:           8
        .value_kind:     by_value
      - .offset:         208
        .size:           4
        .value_kind:     hidden_block_count_x
      - .offset:         212
        .size:           4
        .value_kind:     hidden_block_count_y
      - .offset:         216
        .size:           4
        .value_kind:     hidden_block_count_z
      - .offset:         220
        .size:           2
        .value_kind:     hidden_group_size_x
      - .offset:         222
        .size:           2
        .value_kind:     hidden_group_size_y
      - .offset:         224
        .size:           2
        .value_kind:     hidden_group_size_z
      - .offset:         226
        .size:           2
        .value_kind:     hidden_remainder_x
      - .offset:         228
        .size:           2
        .value_kind:     hidden_remainder_y
      - .offset:         230
        .size:           2
        .value_kind:     hidden_remainder_z
      - .offset:         248
        .size:           8
        .value_kind:     hidden_global_offset_x
      - .offset:         256
        .size:           8
        .value_kind:     hidden_global_offset_y
      - .offset:         264
        .size:           8
        .value_kind:     hidden_global_offset_z
      - .offset:         272
        .size:           2
        .value_kind:     hidden_grid_dims
    .group_segment_fixed_size: 43008
    .kernarg_segment_align: 8
    .kernarg_segment_size: 464
    .language:       OpenCL C
    .language_version:
      - 2
      - 0
    .max_flat_workgroup_size: 256
    .name:           _ZL15flash_attn_tileILi128ELi128ELi16ELi1ELb0EEvPKcS1_S1_S1_S1_PKiPfP15HIP_vector_typeIfLj2EEffffjfiS5_IjLj3EEiiiiiiiiiiiliiliiiiil
    .private_segment_fixed_size: 32
    .sgpr_count:     49
    .sgpr_spill_count: 0
    .symbol:         _ZL15flash_attn_tileILi128ELi128ELi16ELi1ELb0EEvPKcS1_S1_S1_S1_PKiPfP15HIP_vector_typeIfLj2EEffffjfiS5_IjLj3EEiiiiiiiiiiiliiliiiiil.kd
    .uniform_work_group_size: 1
    .uses_dynamic_stack: false
    .vgpr_count:     231
    .vgpr_spill_count: 0
    .wavefront_size: 32
  - .args:
      - .address_space:  global
        .offset:         0
        .size:           8
        .value_kind:     global_buffer
      - .address_space:  global
        .offset:         8
        .size:           8
        .value_kind:     global_buffer
      - .offset:         16
        .size:           4
        .value_kind:     by_value
      - .offset:         20
        .size:           4
        .value_kind:     by_value
      - .offset:         24
        .size:           4
        .value_kind:     by_value
      - .offset:         28
        .size:           4
        .value_kind:     by_value
      - .offset:         32
        .size:           4
        .value_kind:     by_value
      - .offset:         36
        .size:           4
        .value_kind:     by_value
      - .offset:         40
        .size:           12
        .value_kind:     by_value
      - .offset:         52
        .size:           12
        .value_kind:     by_value
      - .offset:         64
        .size:           12
        .value_kind:     by_value
    .group_segment_fixed_size: 0
    .kernarg_segment_align: 8
    .kernarg_segment_size: 76
    .language:       OpenCL C
    .language_version:
      - 2
      - 0
    .max_flat_workgroup_size: 128
    .name:           _ZL33flash_attn_stream_k_fixup_uniformILi128ELi16ELi1EEvPfPK15HIP_vector_typeIfLj2EEiiiiiiS1_IjLj3EES5_S5_
    .private_segment_fixed_size: 0
    .sgpr_count:     23
    .sgpr_spill_count: 0
    .symbol:         _ZL33flash_attn_stream_k_fixup_uniformILi128ELi16ELi1EEvPfPK15HIP_vector_typeIfLj2EEiiiiiiS1_IjLj3EES5_S5_.kd
    .uniform_work_group_size: 1
    .uses_dynamic_stack: false
    .vgpr_count:     12
    .vgpr_spill_count: 0
    .wavefront_size: 32
  - .args:
      - .address_space:  global
        .offset:         0
        .size:           8
        .value_kind:     global_buffer
      - .address_space:  global
        .offset:         8
        .size:           8
        .value_kind:     global_buffer
      - .offset:         16
        .size:           4
        .value_kind:     by_value
      - .offset:         20
        .size:           4
        .value_kind:     by_value
      - .offset:         24
        .size:           4
        .value_kind:     by_value
      - .offset:         28
        .size:           4
        .value_kind:     by_value
      - .offset:         32
        .size:           12
        .value_kind:     by_value
      - .offset:         44
        .size:           12
        .value_kind:     by_value
      - .offset:         56
        .size:           12
        .value_kind:     by_value
      - .offset:         68
        .size:           12
        .value_kind:     by_value
      - .offset:         80
        .size:           4
        .value_kind:     hidden_block_count_x
      - .offset:         84
        .size:           4
        .value_kind:     hidden_block_count_y
      - .offset:         88
        .size:           4
        .value_kind:     hidden_block_count_z
      - .offset:         92
        .size:           2
        .value_kind:     hidden_group_size_x
      - .offset:         94
        .size:           2
        .value_kind:     hidden_group_size_y
      - .offset:         96
        .size:           2
        .value_kind:     hidden_group_size_z
      - .offset:         98
        .size:           2
        .value_kind:     hidden_remainder_x
      - .offset:         100
        .size:           2
        .value_kind:     hidden_remainder_y
      - .offset:         102
        .size:           2
        .value_kind:     hidden_remainder_z
      - .offset:         120
        .size:           8
        .value_kind:     hidden_global_offset_x
      - .offset:         128
        .size:           8
        .value_kind:     hidden_global_offset_y
      - .offset:         136
        .size:           8
        .value_kind:     hidden_global_offset_z
      - .offset:         144
        .size:           2
        .value_kind:     hidden_grid_dims
    .group_segment_fixed_size: 0
    .kernarg_segment_align: 8
    .kernarg_segment_size: 336
    .language:       OpenCL C
    .language_version:
      - 2
      - 0
    .max_flat_workgroup_size: 128
    .name:           _ZL33flash_attn_stream_k_fixup_generalILi128ELi16ELi1EEvPfPK15HIP_vector_typeIfLj2EEiiiiS1_IjLj3EES5_S5_S5_
    .private_segment_fixed_size: 0
    .sgpr_count:     48
    .sgpr_spill_count: 0
    .symbol:         _ZL33flash_attn_stream_k_fixup_generalILi128ELi16ELi1EEvPfPK15HIP_vector_typeIfLj2EEiiiiS1_IjLj3EES5_S5_S5_.kd
    .uniform_work_group_size: 1
    .uses_dynamic_stack: false
    .vgpr_count:     12
    .vgpr_spill_count: 0
    .wavefront_size: 32
  - .args:
      - .address_space:  global
        .offset:         0
        .size:           8
        .value_kind:     global_buffer
      - .address_space:  global
        .offset:         8
        .size:           8
        .value_kind:     global_buffer
      - .address_space:  global
        .offset:         16
        .size:           8
        .value_kind:     global_buffer
      - .address_space:  global
        .offset:         24
        .size:           8
        .value_kind:     global_buffer
      - .address_space:  global
        .offset:         32
        .size:           8
        .value_kind:     global_buffer
      - .address_space:  global
        .offset:         40
        .size:           8
        .value_kind:     global_buffer
      - .address_space:  global
        .offset:         48
        .size:           8
        .value_kind:     global_buffer
      - .address_space:  global
        .offset:         56
        .size:           8
        .value_kind:     global_buffer
      - .offset:         64
        .size:           4
        .value_kind:     by_value
      - .offset:         68
        .size:           4
        .value_kind:     by_value
      - .offset:         72
        .size:           4
        .value_kind:     by_value
      - .offset:         76
        .size:           4
        .value_kind:     by_value
      - .offset:         80
        .size:           4
        .value_kind:     by_value
      - .offset:         84
        .size:           4
        .value_kind:     by_value
      - .offset:         88
        .size:           4
        .value_kind:     by_value
      - .offset:         92
        .size:           12
        .value_kind:     by_value
      - .offset:         104
        .size:           4
        .value_kind:     by_value
      - .offset:         108
        .size:           4
        .value_kind:     by_value
      - .offset:         112
        .size:           4
        .value_kind:     by_value
      - .offset:         116
        .size:           4
        .value_kind:     by_value
      - .offset:         120
        .size:           4
        .value_kind:     by_value
      - .offset:         124
        .size:           4
        .value_kind:     by_value
      - .offset:         128
        .size:           4
        .value_kind:     by_value
      - .offset:         132
        .size:           4
        .value_kind:     by_value
      - .offset:         136
        .size:           4
        .value_kind:     by_value
      - .offset:         140
        .size:           4
        .value_kind:     by_value
      - .offset:         144
        .size:           4
        .value_kind:     by_value
      - .offset:         152
        .size:           8
        .value_kind:     by_value
      - .offset:         160
        .size:           4
        .value_kind:     by_value
      - .offset:         164
        .size:           4
        .value_kind:     by_value
      - .offset:         168
        .size:           8
        .value_kind:     by_value
      - .offset:         176
        .size:           4
        .value_kind:     by_value
      - .offset:         180
        .size:           4
        .value_kind:     by_value
      - .offset:         184
        .size:           4
        .value_kind:     by_value
      - .offset:         188
        .size:           4
        .value_kind:     by_value
      - .offset:         192
        .size:           4
        .value_kind:     by_value
      - .offset:         200
        .size:           8
        .value_kind:     by_value
      - .offset:         208
        .size:           4
        .value_kind:     hidden_block_count_x
      - .offset:         212
        .size:           4
        .value_kind:     hidden_block_count_y
      - .offset:         216
        .size:           4
        .value_kind:     hidden_block_count_z
      - .offset:         220
        .size:           2
        .value_kind:     hidden_group_size_x
      - .offset:         222
        .size:           2
        .value_kind:     hidden_group_size_y
      - .offset:         224
        .size:           2
        .value_kind:     hidden_group_size_z
      - .offset:         226
        .size:           2
        .value_kind:     hidden_remainder_x
      - .offset:         228
        .size:           2
        .value_kind:     hidden_remainder_y
      - .offset:         230
        .size:           2
        .value_kind:     hidden_remainder_z
      - .offset:         248
        .size:           8
        .value_kind:     hidden_global_offset_x
      - .offset:         256
        .size:           8
        .value_kind:     hidden_global_offset_y
      - .offset:         264
        .size:           8
        .value_kind:     hidden_global_offset_z
      - .offset:         272
        .size:           2
        .value_kind:     hidden_grid_dims
    .group_segment_fixed_size: 12288
    .kernarg_segment_align: 8
    .kernarg_segment_size: 464
    .language:       OpenCL C
    .language_version:
      - 2
      - 0
    .max_flat_workgroup_size: 128
    .name:           _ZL15flash_attn_tileILi128ELi128ELi8ELi1ELb0EEvPKcS1_S1_S1_S1_PKiPfP15HIP_vector_typeIfLj2EEffffjfiS5_IjLj3EEiiiiiiiiiiiliiliiiiil
    .private_segment_fixed_size: 32
    .sgpr_count:     49
    .sgpr_spill_count: 0
    .symbol:         _ZL15flash_attn_tileILi128ELi128ELi8ELi1ELb0EEvPKcS1_S1_S1_S1_PKiPfP15HIP_vector_typeIfLj2EEffffjfiS5_IjLj3EEiiiiiiiiiiiliiliiiiil.kd
    .uniform_work_group_size: 1
    .uses_dynamic_stack: false
    .vgpr_count:     88
    .vgpr_spill_count: 0
    .wavefront_size: 32
  - .args:
      - .address_space:  global
        .offset:         0
        .size:           8
        .value_kind:     global_buffer
      - .address_space:  global
        .offset:         8
        .size:           8
        .value_kind:     global_buffer
      - .offset:         16
        .size:           4
        .value_kind:     by_value
      - .offset:         20
        .size:           4
        .value_kind:     by_value
      - .offset:         24
        .size:           4
        .value_kind:     by_value
      - .offset:         28
        .size:           4
        .value_kind:     by_value
      - .offset:         32
        .size:           4
        .value_kind:     by_value
      - .offset:         36
        .size:           4
        .value_kind:     by_value
      - .offset:         40
        .size:           12
        .value_kind:     by_value
      - .offset:         52
        .size:           12
        .value_kind:     by_value
      - .offset:         64
        .size:           12
        .value_kind:     by_value
    .group_segment_fixed_size: 0
    .kernarg_segment_align: 8
    .kernarg_segment_size: 76
    .language:       OpenCL C
    .language_version:
      - 2
      - 0
    .max_flat_workgroup_size: 128
    .name:           _ZL33flash_attn_stream_k_fixup_uniformILi128ELi8ELi1EEvPfPK15HIP_vector_typeIfLj2EEiiiiiiS1_IjLj3EES5_S5_
    .private_segment_fixed_size: 0
    .sgpr_count:     23
    .sgpr_spill_count: 0
    .symbol:         _ZL33flash_attn_stream_k_fixup_uniformILi128ELi8ELi1EEvPfPK15HIP_vector_typeIfLj2EEiiiiiiS1_IjLj3EES5_S5_.kd
    .uniform_work_group_size: 1
    .uses_dynamic_stack: false
    .vgpr_count:     12
    .vgpr_spill_count: 0
    .wavefront_size: 32
  - .args:
      - .address_space:  global
        .offset:         0
        .size:           8
        .value_kind:     global_buffer
      - .address_space:  global
        .offset:         8
        .size:           8
        .value_kind:     global_buffer
      - .offset:         16
        .size:           4
        .value_kind:     by_value
      - .offset:         20
        .size:           4
        .value_kind:     by_value
      - .offset:         24
        .size:           4
        .value_kind:     by_value
      - .offset:         28
        .size:           4
        .value_kind:     by_value
      - .offset:         32
        .size:           12
        .value_kind:     by_value
      - .offset:         44
        .size:           12
        .value_kind:     by_value
      - .offset:         56
        .size:           12
        .value_kind:     by_value
      - .offset:         68
        .size:           12
        .value_kind:     by_value
      - .offset:         80
        .size:           4
        .value_kind:     hidden_block_count_x
      - .offset:         84
        .size:           4
        .value_kind:     hidden_block_count_y
      - .offset:         88
        .size:           4
        .value_kind:     hidden_block_count_z
      - .offset:         92
        .size:           2
        .value_kind:     hidden_group_size_x
      - .offset:         94
        .size:           2
        .value_kind:     hidden_group_size_y
      - .offset:         96
        .size:           2
        .value_kind:     hidden_group_size_z
      - .offset:         98
        .size:           2
        .value_kind:     hidden_remainder_x
      - .offset:         100
        .size:           2
        .value_kind:     hidden_remainder_y
      - .offset:         102
        .size:           2
        .value_kind:     hidden_remainder_z
      - .offset:         120
        .size:           8
        .value_kind:     hidden_global_offset_x
      - .offset:         128
        .size:           8
        .value_kind:     hidden_global_offset_y
      - .offset:         136
        .size:           8
        .value_kind:     hidden_global_offset_z
      - .offset:         144
        .size:           2
        .value_kind:     hidden_grid_dims
    .group_segment_fixed_size: 0
    .kernarg_segment_align: 8
    .kernarg_segment_size: 336
    .language:       OpenCL C
    .language_version:
      - 2
      - 0
    .max_flat_workgroup_size: 128
    .name:           _ZL33flash_attn_stream_k_fixup_generalILi128ELi8ELi1EEvPfPK15HIP_vector_typeIfLj2EEiiiiS1_IjLj3EES5_S5_S5_
    .private_segment_fixed_size: 0
    .sgpr_count:     48
    .sgpr_spill_count: 0
    .symbol:         _ZL33flash_attn_stream_k_fixup_generalILi128ELi8ELi1EEvPfPK15HIP_vector_typeIfLj2EEiiiiS1_IjLj3EES5_S5_S5_.kd
    .uniform_work_group_size: 1
    .uses_dynamic_stack: false
    .vgpr_count:     12
    .vgpr_spill_count: 0
    .wavefront_size: 32
  - .args:
      - .address_space:  global
        .offset:         0
        .size:           8
        .value_kind:     global_buffer
      - .address_space:  global
        .offset:         8
        .size:           8
        .value_kind:     global_buffer
      - .address_space:  global
        .offset:         16
        .size:           8
        .value_kind:     global_buffer
      - .address_space:  global
        .offset:         24
        .size:           8
        .value_kind:     global_buffer
      - .address_space:  global
        .offset:         32
        .size:           8
        .value_kind:     global_buffer
      - .address_space:  global
        .offset:         40
        .size:           8
        .value_kind:     global_buffer
      - .address_space:  global
        .offset:         48
        .size:           8
        .value_kind:     global_buffer
      - .address_space:  global
        .offset:         56
        .size:           8
        .value_kind:     global_buffer
      - .offset:         64
        .size:           4
        .value_kind:     by_value
      - .offset:         68
        .size:           4
        .value_kind:     by_value
      - .offset:         72
        .size:           4
        .value_kind:     by_value
      - .offset:         76
        .size:           4
        .value_kind:     by_value
      - .offset:         80
        .size:           4
        .value_kind:     by_value
      - .offset:         84
        .size:           4
        .value_kind:     by_value
      - .offset:         88
        .size:           4
        .value_kind:     by_value
      - .offset:         92
        .size:           12
        .value_kind:     by_value
      - .offset:         104
        .size:           4
        .value_kind:     by_value
      - .offset:         108
        .size:           4
        .value_kind:     by_value
      - .offset:         112
        .size:           4
        .value_kind:     by_value
      - .offset:         116
        .size:           4
        .value_kind:     by_value
      - .offset:         120
        .size:           4
        .value_kind:     by_value
      - .offset:         124
        .size:           4
        .value_kind:     by_value
      - .offset:         128
        .size:           4
        .value_kind:     by_value
      - .offset:         132
        .size:           4
        .value_kind:     by_value
      - .offset:         136
        .size:           4
        .value_kind:     by_value
      - .offset:         140
        .size:           4
        .value_kind:     by_value
      - .offset:         144
        .size:           4
        .value_kind:     by_value
      - .offset:         152
        .size:           8
        .value_kind:     by_value
      - .offset:         160
        .size:           4
        .value_kind:     by_value
      - .offset:         164
        .size:           4
        .value_kind:     by_value
      - .offset:         168
        .size:           8
        .value_kind:     by_value
      - .offset:         176
        .size:           4
        .value_kind:     by_value
      - .offset:         180
        .size:           4
        .value_kind:     by_value
      - .offset:         184
        .size:           4
        .value_kind:     by_value
      - .offset:         188
        .size:           4
        .value_kind:     by_value
      - .offset:         192
        .size:           4
        .value_kind:     by_value
      - .offset:         200
        .size:           8
        .value_kind:     by_value
      - .offset:         208
        .size:           4
        .value_kind:     hidden_block_count_x
      - .offset:         212
        .size:           4
        .value_kind:     hidden_block_count_y
      - .offset:         216
        .size:           4
        .value_kind:     hidden_block_count_z
      - .offset:         220
        .size:           2
        .value_kind:     hidden_group_size_x
      - .offset:         222
        .size:           2
        .value_kind:     hidden_group_size_y
      - .offset:         224
        .size:           2
        .value_kind:     hidden_group_size_z
      - .offset:         226
        .size:           2
        .value_kind:     hidden_remainder_x
      - .offset:         228
        .size:           2
        .value_kind:     hidden_remainder_y
      - .offset:         230
        .size:           2
        .value_kind:     hidden_remainder_z
      - .offset:         248
        .size:           8
        .value_kind:     hidden_global_offset_x
      - .offset:         256
        .size:           8
        .value_kind:     hidden_global_offset_y
      - .offset:         264
        .size:           8
        .value_kind:     hidden_global_offset_z
      - .offset:         272
        .size:           2
        .value_kind:     hidden_grid_dims
    .group_segment_fixed_size: 10752
    .kernarg_segment_align: 8
    .kernarg_segment_size: 464
    .language:       OpenCL C
    .language_version:
      - 2
      - 0
    .max_flat_workgroup_size: 128
    .name:           _ZL15flash_attn_tileILi128ELi128ELi4ELi1ELb0EEvPKcS1_S1_S1_S1_PKiPfP15HIP_vector_typeIfLj2EEffffjfiS5_IjLj3EEiiiiiiiiiiiliiliiiiil
    .private_segment_fixed_size: 32
    .sgpr_count:     49
    .sgpr_spill_count: 0
    .symbol:         _ZL15flash_attn_tileILi128ELi128ELi4ELi1ELb0EEvPKcS1_S1_S1_S1_PKiPfP15HIP_vector_typeIfLj2EEffffjfiS5_IjLj3EEiiiiiiiiiiiliiliiiiil.kd
    .uniform_work_group_size: 1
    .uses_dynamic_stack: false
    .vgpr_count:     126
    .vgpr_spill_count: 0
    .wavefront_size: 32
  - .args:
      - .address_space:  global
        .offset:         0
        .size:           8
        .value_kind:     global_buffer
      - .address_space:  global
        .offset:         8
        .size:           8
        .value_kind:     global_buffer
      - .offset:         16
        .size:           4
        .value_kind:     by_value
      - .offset:         20
        .size:           4
        .value_kind:     by_value
      - .offset:         24
        .size:           4
        .value_kind:     by_value
      - .offset:         28
        .size:           4
        .value_kind:     by_value
      - .offset:         32
        .size:           4
        .value_kind:     by_value
      - .offset:         36
        .size:           4
        .value_kind:     by_value
      - .offset:         40
        .size:           12
        .value_kind:     by_value
      - .offset:         52
        .size:           12
        .value_kind:     by_value
      - .offset:         64
        .size:           12
        .value_kind:     by_value
    .group_segment_fixed_size: 0
    .kernarg_segment_align: 8
    .kernarg_segment_size: 76
    .language:       OpenCL C
    .language_version:
      - 2
      - 0
    .max_flat_workgroup_size: 128
    .name:           _ZL33flash_attn_stream_k_fixup_uniformILi128ELi4ELi1EEvPfPK15HIP_vector_typeIfLj2EEiiiiiiS1_IjLj3EES5_S5_
    .private_segment_fixed_size: 0
    .sgpr_count:     23
    .sgpr_spill_count: 0
    .symbol:         _ZL33flash_attn_stream_k_fixup_uniformILi128ELi4ELi1EEvPfPK15HIP_vector_typeIfLj2EEiiiiiiS1_IjLj3EES5_S5_.kd
    .uniform_work_group_size: 1
    .uses_dynamic_stack: false
    .vgpr_count:     12
    .vgpr_spill_count: 0
    .wavefront_size: 32
  - .args:
      - .address_space:  global
        .offset:         0
        .size:           8
        .value_kind:     global_buffer
      - .address_space:  global
        .offset:         8
        .size:           8
        .value_kind:     global_buffer
      - .offset:         16
        .size:           4
        .value_kind:     by_value
      - .offset:         20
        .size:           4
        .value_kind:     by_value
      - .offset:         24
        .size:           4
        .value_kind:     by_value
      - .offset:         28
        .size:           4
        .value_kind:     by_value
      - .offset:         32
        .size:           12
        .value_kind:     by_value
      - .offset:         44
        .size:           12
        .value_kind:     by_value
      - .offset:         56
        .size:           12
        .value_kind:     by_value
      - .offset:         68
        .size:           12
        .value_kind:     by_value
      - .offset:         80
        .size:           4
        .value_kind:     hidden_block_count_x
      - .offset:         84
        .size:           4
        .value_kind:     hidden_block_count_y
      - .offset:         88
        .size:           4
        .value_kind:     hidden_block_count_z
      - .offset:         92
        .size:           2
        .value_kind:     hidden_group_size_x
      - .offset:         94
        .size:           2
        .value_kind:     hidden_group_size_y
      - .offset:         96
        .size:           2
        .value_kind:     hidden_group_size_z
      - .offset:         98
        .size:           2
        .value_kind:     hidden_remainder_x
      - .offset:         100
        .size:           2
        .value_kind:     hidden_remainder_y
      - .offset:         102
        .size:           2
        .value_kind:     hidden_remainder_z
      - .offset:         120
        .size:           8
        .value_kind:     hidden_global_offset_x
      - .offset:         128
        .size:           8
        .value_kind:     hidden_global_offset_y
      - .offset:         136
        .size:           8
        .value_kind:     hidden_global_offset_z
      - .offset:         144
        .size:           2
        .value_kind:     hidden_grid_dims
    .group_segment_fixed_size: 0
    .kernarg_segment_align: 8
    .kernarg_segment_size: 336
    .language:       OpenCL C
    .language_version:
      - 2
      - 0
    .max_flat_workgroup_size: 128
    .name:           _ZL33flash_attn_stream_k_fixup_generalILi128ELi4ELi1EEvPfPK15HIP_vector_typeIfLj2EEiiiiS1_IjLj3EES5_S5_S5_
    .private_segment_fixed_size: 0
    .sgpr_count:     48
    .sgpr_spill_count: 0
    .symbol:         _ZL33flash_attn_stream_k_fixup_generalILi128ELi4ELi1EEvPfPK15HIP_vector_typeIfLj2EEiiiiS1_IjLj3EES5_S5_S5_.kd
    .uniform_work_group_size: 1
    .uses_dynamic_stack: false
    .vgpr_count:     12
    .vgpr_spill_count: 0
    .wavefront_size: 32
  - .args:
      - .address_space:  global
        .offset:         0
        .size:           8
        .value_kind:     global_buffer
      - .address_space:  global
        .offset:         8
        .size:           8
        .value_kind:     global_buffer
      - .address_space:  global
        .offset:         16
        .size:           8
        .value_kind:     global_buffer
      - .address_space:  global
        .offset:         24
        .size:           8
        .value_kind:     global_buffer
      - .address_space:  global
        .offset:         32
        .size:           8
        .value_kind:     global_buffer
      - .address_space:  global
        .offset:         40
        .size:           8
        .value_kind:     global_buffer
      - .address_space:  global
        .offset:         48
        .size:           8
        .value_kind:     global_buffer
      - .address_space:  global
        .offset:         56
        .size:           8
        .value_kind:     global_buffer
      - .offset:         64
        .size:           4
        .value_kind:     by_value
      - .offset:         68
        .size:           4
        .value_kind:     by_value
      - .offset:         72
        .size:           4
        .value_kind:     by_value
      - .offset:         76
        .size:           4
        .value_kind:     by_value
      - .offset:         80
        .size:           4
        .value_kind:     by_value
      - .offset:         84
        .size:           4
        .value_kind:     by_value
      - .offset:         88
        .size:           4
        .value_kind:     by_value
      - .offset:         92
        .size:           12
        .value_kind:     by_value
      - .offset:         104
        .size:           4
        .value_kind:     by_value
      - .offset:         108
        .size:           4
        .value_kind:     by_value
      - .offset:         112
        .size:           4
        .value_kind:     by_value
      - .offset:         116
        .size:           4
        .value_kind:     by_value
      - .offset:         120
        .size:           4
        .value_kind:     by_value
      - .offset:         124
        .size:           4
        .value_kind:     by_value
      - .offset:         128
        .size:           4
        .value_kind:     by_value
      - .offset:         132
        .size:           4
        .value_kind:     by_value
      - .offset:         136
        .size:           4
        .value_kind:     by_value
      - .offset:         140
        .size:           4
        .value_kind:     by_value
      - .offset:         144
        .size:           4
        .value_kind:     by_value
      - .offset:         152
        .size:           8
        .value_kind:     by_value
      - .offset:         160
        .size:           4
        .value_kind:     by_value
      - .offset:         164
        .size:           4
        .value_kind:     by_value
      - .offset:         168
        .size:           8
        .value_kind:     by_value
      - .offset:         176
        .size:           4
        .value_kind:     by_value
      - .offset:         180
        .size:           4
        .value_kind:     by_value
      - .offset:         184
        .size:           4
        .value_kind:     by_value
      - .offset:         188
        .size:           4
        .value_kind:     by_value
      - .offset:         192
        .size:           4
        .value_kind:     by_value
      - .offset:         200
        .size:           8
        .value_kind:     by_value
      - .offset:         208
        .size:           4
        .value_kind:     hidden_block_count_x
      - .offset:         212
        .size:           4
        .value_kind:     hidden_block_count_y
      - .offset:         216
        .size:           4
        .value_kind:     hidden_block_count_z
      - .offset:         220
        .size:           2
        .value_kind:     hidden_group_size_x
      - .offset:         222
        .size:           2
        .value_kind:     hidden_group_size_y
      - .offset:         224
        .size:           2
        .value_kind:     hidden_group_size_z
      - .offset:         226
        .size:           2
        .value_kind:     hidden_remainder_x
      - .offset:         228
        .size:           2
        .value_kind:     hidden_remainder_y
      - .offset:         230
        .size:           2
        .value_kind:     hidden_remainder_z
      - .offset:         248
        .size:           8
        .value_kind:     hidden_global_offset_x
      - .offset:         256
        .size:           8
        .value_kind:     hidden_global_offset_y
      - .offset:         264
        .size:           8
        .value_kind:     hidden_global_offset_z
      - .offset:         272
        .size:           2
        .value_kind:     hidden_grid_dims
    .group_segment_fixed_size: 5248
    .kernarg_segment_align: 8
    .kernarg_segment_size: 464
    .language:       OpenCL C
    .language_version:
      - 2
      - 0
    .max_flat_workgroup_size: 64
    .name:           _ZL15flash_attn_tileILi128ELi128ELi2ELi1ELb0EEvPKcS1_S1_S1_S1_PKiPfP15HIP_vector_typeIfLj2EEffffjfiS5_IjLj3EEiiiiiiiiiiiliiliiiiil
    .private_segment_fixed_size: 32
    .sgpr_count:     49
    .sgpr_spill_count: 0
    .symbol:         _ZL15flash_attn_tileILi128ELi128ELi2ELi1ELb0EEvPKcS1_S1_S1_S1_PKiPfP15HIP_vector_typeIfLj2EEffffjfiS5_IjLj3EEiiiiiiiiiiiliiliiiiil.kd
    .uniform_work_group_size: 1
    .uses_dynamic_stack: false
    .vgpr_count:     112
    .vgpr_spill_count: 0
    .wavefront_size: 32
  - .args:
      - .address_space:  global
        .offset:         0
        .size:           8
        .value_kind:     global_buffer
      - .address_space:  global
        .offset:         8
        .size:           8
        .value_kind:     global_buffer
      - .offset:         16
        .size:           4
        .value_kind:     by_value
      - .offset:         20
        .size:           4
        .value_kind:     by_value
      - .offset:         24
        .size:           4
        .value_kind:     by_value
      - .offset:         28
        .size:           4
        .value_kind:     by_value
      - .offset:         32
        .size:           4
        .value_kind:     by_value
      - .offset:         36
        .size:           4
        .value_kind:     by_value
      - .offset:         40
        .size:           12
        .value_kind:     by_value
      - .offset:         52
        .size:           12
        .value_kind:     by_value
      - .offset:         64
        .size:           12
        .value_kind:     by_value
    .group_segment_fixed_size: 0
    .kernarg_segment_align: 8
    .kernarg_segment_size: 76
    .language:       OpenCL C
    .language_version:
      - 2
      - 0
    .max_flat_workgroup_size: 128
    .name:           _ZL33flash_attn_stream_k_fixup_uniformILi128ELi2ELi1EEvPfPK15HIP_vector_typeIfLj2EEiiiiiiS1_IjLj3EES5_S5_
    .private_segment_fixed_size: 0
    .sgpr_count:     23
    .sgpr_spill_count: 0
    .symbol:         _ZL33flash_attn_stream_k_fixup_uniformILi128ELi2ELi1EEvPfPK15HIP_vector_typeIfLj2EEiiiiiiS1_IjLj3EES5_S5_.kd
    .uniform_work_group_size: 1
    .uses_dynamic_stack: false
    .vgpr_count:     12
    .vgpr_spill_count: 0
    .wavefront_size: 32
  - .args:
      - .address_space:  global
        .offset:         0
        .size:           8
        .value_kind:     global_buffer
      - .address_space:  global
        .offset:         8
        .size:           8
        .value_kind:     global_buffer
      - .offset:         16
        .size:           4
        .value_kind:     by_value
      - .offset:         20
        .size:           4
        .value_kind:     by_value
      - .offset:         24
        .size:           4
        .value_kind:     by_value
      - .offset:         28
        .size:           4
        .value_kind:     by_value
      - .offset:         32
        .size:           12
        .value_kind:     by_value
      - .offset:         44
        .size:           12
        .value_kind:     by_value
      - .offset:         56
        .size:           12
        .value_kind:     by_value
      - .offset:         68
        .size:           12
        .value_kind:     by_value
      - .offset:         80
        .size:           4
        .value_kind:     hidden_block_count_x
      - .offset:         84
        .size:           4
        .value_kind:     hidden_block_count_y
      - .offset:         88
        .size:           4
        .value_kind:     hidden_block_count_z
      - .offset:         92
        .size:           2
        .value_kind:     hidden_group_size_x
      - .offset:         94
        .size:           2
        .value_kind:     hidden_group_size_y
      - .offset:         96
        .size:           2
        .value_kind:     hidden_group_size_z
      - .offset:         98
        .size:           2
        .value_kind:     hidden_remainder_x
      - .offset:         100
        .size:           2
        .value_kind:     hidden_remainder_y
      - .offset:         102
        .size:           2
        .value_kind:     hidden_remainder_z
      - .offset:         120
        .size:           8
        .value_kind:     hidden_global_offset_x
      - .offset:         128
        .size:           8
        .value_kind:     hidden_global_offset_y
      - .offset:         136
        .size:           8
        .value_kind:     hidden_global_offset_z
      - .offset:         144
        .size:           2
        .value_kind:     hidden_grid_dims
    .group_segment_fixed_size: 0
    .kernarg_segment_align: 8
    .kernarg_segment_size: 336
    .language:       OpenCL C
    .language_version:
      - 2
      - 0
    .max_flat_workgroup_size: 128
    .name:           _ZL33flash_attn_stream_k_fixup_generalILi128ELi2ELi1EEvPfPK15HIP_vector_typeIfLj2EEiiiiS1_IjLj3EES5_S5_S5_
    .private_segment_fixed_size: 0
    .sgpr_count:     48
    .sgpr_spill_count: 0
    .symbol:         _ZL33flash_attn_stream_k_fixup_generalILi128ELi2ELi1EEvPfPK15HIP_vector_typeIfLj2EEiiiiS1_IjLj3EES5_S5_S5_.kd
    .uniform_work_group_size: 1
    .uses_dynamic_stack: false
    .vgpr_count:     12
    .vgpr_spill_count: 0
    .wavefront_size: 32
  - .args:
      - .address_space:  global
        .offset:         0
        .size:           8
        .value_kind:     global_buffer
      - .address_space:  global
        .offset:         8
        .size:           8
        .value_kind:     global_buffer
      - .address_space:  global
        .offset:         16
        .size:           8
        .value_kind:     global_buffer
      - .address_space:  global
        .offset:         24
        .size:           8
        .value_kind:     global_buffer
      - .address_space:  global
        .offset:         32
        .size:           8
        .value_kind:     global_buffer
      - .address_space:  global
        .offset:         40
        .size:           8
        .value_kind:     global_buffer
      - .address_space:  global
        .offset:         48
        .size:           8
        .value_kind:     global_buffer
      - .address_space:  global
        .offset:         56
        .size:           8
        .value_kind:     global_buffer
      - .offset:         64
        .size:           4
        .value_kind:     by_value
      - .offset:         68
        .size:           4
        .value_kind:     by_value
      - .offset:         72
        .size:           4
        .value_kind:     by_value
      - .offset:         76
        .size:           4
        .value_kind:     by_value
      - .offset:         80
        .size:           4
        .value_kind:     by_value
      - .offset:         84
        .size:           4
        .value_kind:     by_value
      - .offset:         88
        .size:           4
        .value_kind:     by_value
      - .offset:         92
        .size:           12
        .value_kind:     by_value
      - .offset:         104
        .size:           4
        .value_kind:     by_value
      - .offset:         108
        .size:           4
        .value_kind:     by_value
      - .offset:         112
        .size:           4
        .value_kind:     by_value
      - .offset:         116
        .size:           4
        .value_kind:     by_value
      - .offset:         120
        .size:           4
        .value_kind:     by_value
      - .offset:         124
        .size:           4
        .value_kind:     by_value
      - .offset:         128
        .size:           4
        .value_kind:     by_value
      - .offset:         132
        .size:           4
        .value_kind:     by_value
      - .offset:         136
        .size:           4
        .value_kind:     by_value
      - .offset:         140
        .size:           4
        .value_kind:     by_value
      - .offset:         144
        .size:           4
        .value_kind:     by_value
      - .offset:         152
        .size:           8
        .value_kind:     by_value
      - .offset:         160
        .size:           4
        .value_kind:     by_value
      - .offset:         164
        .size:           4
        .value_kind:     by_value
      - .offset:         168
        .size:           8
        .value_kind:     by_value
      - .offset:         176
        .size:           4
        .value_kind:     by_value
      - .offset:         180
        .size:           4
        .value_kind:     by_value
      - .offset:         184
        .size:           4
        .value_kind:     by_value
      - .offset:         188
        .size:           4
        .value_kind:     by_value
      - .offset:         192
        .size:           4
        .value_kind:     by_value
      - .offset:         200
        .size:           8
        .value_kind:     by_value
      - .offset:         208
        .size:           4
        .value_kind:     hidden_block_count_x
      - .offset:         212
        .size:           4
        .value_kind:     hidden_block_count_y
      - .offset:         216
        .size:           4
        .value_kind:     hidden_block_count_z
      - .offset:         220
        .size:           2
        .value_kind:     hidden_group_size_x
      - .offset:         222
        .size:           2
        .value_kind:     hidden_group_size_y
      - .offset:         224
        .size:           2
        .value_kind:     hidden_group_size_z
      - .offset:         226
        .size:           2
        .value_kind:     hidden_remainder_x
      - .offset:         228
        .size:           2
        .value_kind:     hidden_remainder_y
      - .offset:         230
        .size:           2
        .value_kind:     hidden_remainder_z
      - .offset:         248
        .size:           8
        .value_kind:     hidden_global_offset_x
      - .offset:         256
        .size:           8
        .value_kind:     hidden_global_offset_y
      - .offset:         264
        .size:           8
        .value_kind:     hidden_global_offset_z
      - .offset:         272
        .size:           2
        .value_kind:     hidden_grid_dims
    .group_segment_fixed_size: 33792
    .kernarg_segment_align: 8
    .kernarg_segment_size: 464
    .language:       OpenCL C
    .language_version:
      - 2
      - 0
    .max_flat_workgroup_size: 256
    .name:           _ZL15flash_attn_tileILi128ELi128ELi8ELi8ELb1EEvPKcS1_S1_S1_S1_PKiPfP15HIP_vector_typeIfLj2EEffffjfiS5_IjLj3EEiiiiiiiiiiiliiliiiiil
    .private_segment_fixed_size: 0
    .sgpr_count:     45
    .sgpr_spill_count: 0
    .symbol:         _ZL15flash_attn_tileILi128ELi128ELi8ELi8ELb1EEvPKcS1_S1_S1_S1_PKiPfP15HIP_vector_typeIfLj2EEffffjfiS5_IjLj3EEiiiiiiiiiiiliiliiiiil.kd
    .uniform_work_group_size: 1
    .uses_dynamic_stack: false
    .vgpr_count:     147
    .vgpr_spill_count: 0
    .wavefront_size: 32
  - .args:
      - .address_space:  global
        .offset:         0
        .size:           8
        .value_kind:     global_buffer
      - .address_space:  global
        .offset:         8
        .size:           8
        .value_kind:     global_buffer
      - .address_space:  global
        .offset:         16
        .size:           8
        .value_kind:     global_buffer
      - .address_space:  global
        .offset:         24
        .size:           8
        .value_kind:     global_buffer
      - .address_space:  global
        .offset:         32
        .size:           8
        .value_kind:     global_buffer
      - .address_space:  global
        .offset:         40
        .size:           8
        .value_kind:     global_buffer
      - .address_space:  global
        .offset:         48
        .size:           8
        .value_kind:     global_buffer
      - .address_space:  global
        .offset:         56
        .size:           8
        .value_kind:     global_buffer
      - .offset:         64
        .size:           4
        .value_kind:     by_value
      - .offset:         68
        .size:           4
        .value_kind:     by_value
      - .offset:         72
        .size:           4
        .value_kind:     by_value
      - .offset:         76
        .size:           4
        .value_kind:     by_value
      - .offset:         80
        .size:           4
        .value_kind:     by_value
      - .offset:         84
        .size:           4
        .value_kind:     by_value
      - .offset:         88
        .size:           4
        .value_kind:     by_value
      - .offset:         92
        .size:           12
        .value_kind:     by_value
      - .offset:         104
        .size:           4
        .value_kind:     by_value
      - .offset:         108
        .size:           4
        .value_kind:     by_value
      - .offset:         112
        .size:           4
        .value_kind:     by_value
      - .offset:         116
        .size:           4
        .value_kind:     by_value
      - .offset:         120
        .size:           4
        .value_kind:     by_value
      - .offset:         124
        .size:           4
        .value_kind:     by_value
      - .offset:         128
        .size:           4
        .value_kind:     by_value
      - .offset:         132
        .size:           4
        .value_kind:     by_value
      - .offset:         136
        .size:           4
        .value_kind:     by_value
      - .offset:         140
        .size:           4
        .value_kind:     by_value
      - .offset:         144
        .size:           4
        .value_kind:     by_value
      - .offset:         152
        .size:           8
        .value_kind:     by_value
      - .offset:         160
        .size:           4
        .value_kind:     by_value
      - .offset:         164
        .size:           4
        .value_kind:     by_value
      - .offset:         168
        .size:           8
        .value_kind:     by_value
      - .offset:         176
        .size:           4
        .value_kind:     by_value
      - .offset:         180
        .size:           4
        .value_kind:     by_value
      - .offset:         184
        .size:           4
        .value_kind:     by_value
      - .offset:         188
        .size:           4
        .value_kind:     by_value
      - .offset:         192
        .size:           4
        .value_kind:     by_value
      - .offset:         200
        .size:           8
        .value_kind:     by_value
      - .offset:         208
        .size:           4
        .value_kind:     hidden_block_count_x
      - .offset:         212
        .size:           4
        .value_kind:     hidden_block_count_y
      - .offset:         216
        .size:           4
        .value_kind:     hidden_block_count_z
      - .offset:         220
        .size:           2
        .value_kind:     hidden_group_size_x
      - .offset:         222
        .size:           2
        .value_kind:     hidden_group_size_y
      - .offset:         224
        .size:           2
        .value_kind:     hidden_group_size_z
      - .offset:         226
        .size:           2
        .value_kind:     hidden_remainder_x
      - .offset:         228
        .size:           2
        .value_kind:     hidden_remainder_y
      - .offset:         230
        .size:           2
        .value_kind:     hidden_remainder_z
      - .offset:         248
        .size:           8
        .value_kind:     hidden_global_offset_x
      - .offset:         256
        .size:           8
        .value_kind:     hidden_global_offset_y
      - .offset:         264
        .size:           8
        .value_kind:     hidden_global_offset_z
      - .offset:         272
        .size:           2
        .value_kind:     hidden_grid_dims
    .group_segment_fixed_size: 34816
    .kernarg_segment_align: 8
    .kernarg_segment_size: 464
    .language:       OpenCL C
    .language_version:
      - 2
      - 0
    .max_flat_workgroup_size: 256
    .name:           _ZL15flash_attn_tileILi128ELi128ELi4ELi8ELb1EEvPKcS1_S1_S1_S1_PKiPfP15HIP_vector_typeIfLj2EEffffjfiS5_IjLj3EEiiiiiiiiiiiliiliiiiil
    .private_segment_fixed_size: 0
    .sgpr_count:     42
    .sgpr_spill_count: 0
    .symbol:         _ZL15flash_attn_tileILi128ELi128ELi4ELi8ELb1EEvPKcS1_S1_S1_S1_PKiPfP15HIP_vector_typeIfLj2EEffffjfiS5_IjLj3EEiiiiiiiiiiiliiliiiiil.kd
    .uniform_work_group_size: 1
    .uses_dynamic_stack: false
    .vgpr_count:     172
    .vgpr_spill_count: 0
    .wavefront_size: 32
  - .args:
      - .address_space:  global
        .offset:         0
        .size:           8
        .value_kind:     global_buffer
      - .address_space:  global
        .offset:         8
        .size:           8
        .value_kind:     global_buffer
      - .address_space:  global
        .offset:         16
        .size:           8
        .value_kind:     global_buffer
      - .address_space:  global
        .offset:         24
        .size:           8
        .value_kind:     global_buffer
      - .address_space:  global
        .offset:         32
        .size:           8
        .value_kind:     global_buffer
      - .address_space:  global
        .offset:         40
        .size:           8
        .value_kind:     global_buffer
      - .address_space:  global
        .offset:         48
        .size:           8
        .value_kind:     global_buffer
      - .address_space:  global
        .offset:         56
        .size:           8
        .value_kind:     global_buffer
      - .offset:         64
        .size:           4
        .value_kind:     by_value
      - .offset:         68
        .size:           4
        .value_kind:     by_value
      - .offset:         72
        .size:           4
        .value_kind:     by_value
      - .offset:         76
        .size:           4
        .value_kind:     by_value
      - .offset:         80
        .size:           4
        .value_kind:     by_value
      - .offset:         84
        .size:           4
        .value_kind:     by_value
      - .offset:         88
        .size:           4
        .value_kind:     by_value
      - .offset:         92
        .size:           12
        .value_kind:     by_value
      - .offset:         104
        .size:           4
        .value_kind:     by_value
      - .offset:         108
        .size:           4
        .value_kind:     by_value
      - .offset:         112
        .size:           4
        .value_kind:     by_value
      - .offset:         116
        .size:           4
        .value_kind:     by_value
      - .offset:         120
        .size:           4
        .value_kind:     by_value
      - .offset:         124
        .size:           4
        .value_kind:     by_value
      - .offset:         128
        .size:           4
        .value_kind:     by_value
      - .offset:         132
        .size:           4
        .value_kind:     by_value
      - .offset:         136
        .size:           4
        .value_kind:     by_value
      - .offset:         140
        .size:           4
        .value_kind:     by_value
      - .offset:         144
        .size:           4
        .value_kind:     by_value
      - .offset:         152
        .size:           8
        .value_kind:     by_value
      - .offset:         160
        .size:           4
        .value_kind:     by_value
      - .offset:         164
        .size:           4
        .value_kind:     by_value
      - .offset:         168
        .size:           8
        .value_kind:     by_value
      - .offset:         176
        .size:           4
        .value_kind:     by_value
      - .offset:         180
        .size:           4
        .value_kind:     by_value
      - .offset:         184
        .size:           4
        .value_kind:     by_value
      - .offset:         188
        .size:           4
        .value_kind:     by_value
      - .offset:         192
        .size:           4
        .value_kind:     by_value
      - .offset:         200
        .size:           8
        .value_kind:     by_value
      - .offset:         208
        .size:           4
        .value_kind:     hidden_block_count_x
      - .offset:         212
        .size:           4
        .value_kind:     hidden_block_count_y
      - .offset:         216
        .size:           4
        .value_kind:     hidden_block_count_z
      - .offset:         220
        .size:           2
        .value_kind:     hidden_group_size_x
      - .offset:         222
        .size:           2
        .value_kind:     hidden_group_size_y
      - .offset:         224
        .size:           2
        .value_kind:     hidden_group_size_z
      - .offset:         226
        .size:           2
        .value_kind:     hidden_remainder_x
      - .offset:         228
        .size:           2
        .value_kind:     hidden_remainder_y
      - .offset:         230
        .size:           2
        .value_kind:     hidden_remainder_z
      - .offset:         248
        .size:           8
        .value_kind:     hidden_global_offset_x
      - .offset:         256
        .size:           8
        .value_kind:     hidden_global_offset_y
      - .offset:         264
        .size:           8
        .value_kind:     hidden_global_offset_z
      - .offset:         272
        .size:           2
        .value_kind:     hidden_grid_dims
    .group_segment_fixed_size: 43008
    .kernarg_segment_align: 8
    .kernarg_segment_size: 464
    .language:       OpenCL C
    .language_version:
      - 2
      - 0
    .max_flat_workgroup_size: 256
    .name:           _ZL15flash_attn_tileILi128ELi128ELi2ELi8ELb1EEvPKcS1_S1_S1_S1_PKiPfP15HIP_vector_typeIfLj2EEffffjfiS5_IjLj3EEiiiiiiiiiiiliiliiiiil
    .private_segment_fixed_size: 0
    .sgpr_count:     44
    .sgpr_spill_count: 0
    .symbol:         _ZL15flash_attn_tileILi128ELi128ELi2ELi8ELb1EEvPKcS1_S1_S1_S1_PKiPfP15HIP_vector_typeIfLj2EEffffjfiS5_IjLj3EEiiiiiiiiiiiliiliiiiil.kd
    .uniform_work_group_size: 1
    .uses_dynamic_stack: false
    .vgpr_count:     227
    .vgpr_spill_count: 0
    .wavefront_size: 32
  - .args:
      - .address_space:  global
        .offset:         0
        .size:           8
        .value_kind:     global_buffer
      - .address_space:  global
        .offset:         8
        .size:           8
        .value_kind:     global_buffer
      - .address_space:  global
        .offset:         16
        .size:           8
        .value_kind:     global_buffer
      - .address_space:  global
        .offset:         24
        .size:           8
        .value_kind:     global_buffer
      - .address_space:  global
        .offset:         32
        .size:           8
        .value_kind:     global_buffer
      - .address_space:  global
        .offset:         40
        .size:           8
        .value_kind:     global_buffer
      - .address_space:  global
        .offset:         48
        .size:           8
        .value_kind:     global_buffer
      - .address_space:  global
        .offset:         56
        .size:           8
        .value_kind:     global_buffer
      - .offset:         64
        .size:           4
        .value_kind:     by_value
      - .offset:         68
        .size:           4
        .value_kind:     by_value
      - .offset:         72
        .size:           4
        .value_kind:     by_value
      - .offset:         76
        .size:           4
        .value_kind:     by_value
      - .offset:         80
        .size:           4
        .value_kind:     by_value
      - .offset:         84
        .size:           4
        .value_kind:     by_value
      - .offset:         88
        .size:           4
        .value_kind:     by_value
      - .offset:         92
        .size:           12
        .value_kind:     by_value
      - .offset:         104
        .size:           4
        .value_kind:     by_value
      - .offset:         108
        .size:           4
        .value_kind:     by_value
      - .offset:         112
        .size:           4
        .value_kind:     by_value
      - .offset:         116
        .size:           4
        .value_kind:     by_value
      - .offset:         120
        .size:           4
        .value_kind:     by_value
      - .offset:         124
        .size:           4
        .value_kind:     by_value
      - .offset:         128
        .size:           4
        .value_kind:     by_value
      - .offset:         132
        .size:           4
        .value_kind:     by_value
      - .offset:         136
        .size:           4
        .value_kind:     by_value
      - .offset:         140
        .size:           4
        .value_kind:     by_value
      - .offset:         144
        .size:           4
        .value_kind:     by_value
      - .offset:         152
        .size:           8
        .value_kind:     by_value
      - .offset:         160
        .size:           4
        .value_kind:     by_value
      - .offset:         164
        .size:           4
        .value_kind:     by_value
      - .offset:         168
        .size:           8
        .value_kind:     by_value
      - .offset:         176
        .size:           4
        .value_kind:     by_value
      - .offset:         180
        .size:           4
        .value_kind:     by_value
      - .offset:         184
        .size:           4
        .value_kind:     by_value
      - .offset:         188
        .size:           4
        .value_kind:     by_value
      - .offset:         192
        .size:           4
        .value_kind:     by_value
      - .offset:         200
        .size:           8
        .value_kind:     by_value
      - .offset:         208
        .size:           4
        .value_kind:     hidden_block_count_x
      - .offset:         212
        .size:           4
        .value_kind:     hidden_block_count_y
      - .offset:         216
        .size:           4
        .value_kind:     hidden_block_count_z
      - .offset:         220
        .size:           2
        .value_kind:     hidden_group_size_x
      - .offset:         222
        .size:           2
        .value_kind:     hidden_group_size_y
      - .offset:         224
        .size:           2
        .value_kind:     hidden_group_size_z
      - .offset:         226
        .size:           2
        .value_kind:     hidden_remainder_x
      - .offset:         228
        .size:           2
        .value_kind:     hidden_remainder_y
      - .offset:         230
        .size:           2
        .value_kind:     hidden_remainder_z
      - .offset:         248
        .size:           8
        .value_kind:     hidden_global_offset_x
      - .offset:         256
        .size:           8
        .value_kind:     hidden_global_offset_y
      - .offset:         264
        .size:           8
        .value_kind:     hidden_global_offset_z
      - .offset:         272
        .size:           2
        .value_kind:     hidden_grid_dims
    .group_segment_fixed_size: 12288
    .kernarg_segment_align: 8
    .kernarg_segment_size: 464
    .language:       OpenCL C
    .language_version:
      - 2
      - 0
    .max_flat_workgroup_size: 128
    .name:           _ZL15flash_attn_tileILi128ELi128ELi1ELi8ELb1EEvPKcS1_S1_S1_S1_PKiPfP15HIP_vector_typeIfLj2EEffffjfiS5_IjLj3EEiiiiiiiiiiiliiliiiiil
    .private_segment_fixed_size: 0
    .sgpr_count:     44
    .sgpr_spill_count: 0
    .symbol:         _ZL15flash_attn_tileILi128ELi128ELi1ELi8ELb1EEvPKcS1_S1_S1_S1_PKiPfP15HIP_vector_typeIfLj2EEffffjfiS5_IjLj3EEiiiiiiiiiiiliiliiiiil.kd
    .uniform_work_group_size: 1
    .uses_dynamic_stack: false
    .vgpr_count:     118
    .vgpr_spill_count: 0
    .wavefront_size: 32
  - .args:
      - .address_space:  global
        .offset:         0
        .size:           8
        .value_kind:     global_buffer
      - .address_space:  global
        .offset:         8
        .size:           8
        .value_kind:     global_buffer
      - .address_space:  global
        .offset:         16
        .size:           8
        .value_kind:     global_buffer
      - .address_space:  global
        .offset:         24
        .size:           8
        .value_kind:     global_buffer
      - .address_space:  global
        .offset:         32
        .size:           8
        .value_kind:     global_buffer
      - .address_space:  global
        .offset:         40
        .size:           8
        .value_kind:     global_buffer
      - .address_space:  global
        .offset:         48
        .size:           8
        .value_kind:     global_buffer
      - .address_space:  global
        .offset:         56
        .size:           8
        .value_kind:     global_buffer
      - .offset:         64
        .size:           4
        .value_kind:     by_value
      - .offset:         68
        .size:           4
        .value_kind:     by_value
      - .offset:         72
        .size:           4
        .value_kind:     by_value
      - .offset:         76
        .size:           4
        .value_kind:     by_value
      - .offset:         80
        .size:           4
        .value_kind:     by_value
      - .offset:         84
        .size:           4
        .value_kind:     by_value
      - .offset:         88
        .size:           4
        .value_kind:     by_value
      - .offset:         92
        .size:           12
        .value_kind:     by_value
      - .offset:         104
        .size:           4
        .value_kind:     by_value
      - .offset:         108
        .size:           4
        .value_kind:     by_value
      - .offset:         112
        .size:           4
        .value_kind:     by_value
      - .offset:         116
        .size:           4
        .value_kind:     by_value
      - .offset:         120
        .size:           4
        .value_kind:     by_value
      - .offset:         124
        .size:           4
        .value_kind:     by_value
      - .offset:         128
        .size:           4
        .value_kind:     by_value
      - .offset:         132
        .size:           4
        .value_kind:     by_value
      - .offset:         136
        .size:           4
        .value_kind:     by_value
      - .offset:         140
        .size:           4
        .value_kind:     by_value
      - .offset:         144
        .size:           4
        .value_kind:     by_value
      - .offset:         152
        .size:           8
        .value_kind:     by_value
      - .offset:         160
        .size:           4
        .value_kind:     by_value
      - .offset:         164
        .size:           4
        .value_kind:     by_value
      - .offset:         168
        .size:           8
        .value_kind:     by_value
      - .offset:         176
        .size:           4
        .value_kind:     by_value
      - .offset:         180
        .size:           4
        .value_kind:     by_value
      - .offset:         184
        .size:           4
        .value_kind:     by_value
      - .offset:         188
        .size:           4
        .value_kind:     by_value
      - .offset:         192
        .size:           4
        .value_kind:     by_value
      - .offset:         200
        .size:           8
        .value_kind:     by_value
      - .offset:         208
        .size:           4
        .value_kind:     hidden_block_count_x
      - .offset:         212
        .size:           4
        .value_kind:     hidden_block_count_y
      - .offset:         216
        .size:           4
        .value_kind:     hidden_block_count_z
      - .offset:         220
        .size:           2
        .value_kind:     hidden_group_size_x
      - .offset:         222
        .size:           2
        .value_kind:     hidden_group_size_y
      - .offset:         224
        .size:           2
        .value_kind:     hidden_group_size_z
      - .offset:         226
        .size:           2
        .value_kind:     hidden_remainder_x
      - .offset:         228
        .size:           2
        .value_kind:     hidden_remainder_y
      - .offset:         230
        .size:           2
        .value_kind:     hidden_remainder_z
      - .offset:         248
        .size:           8
        .value_kind:     hidden_global_offset_x
      - .offset:         256
        .size:           8
        .value_kind:     hidden_global_offset_y
      - .offset:         264
        .size:           8
        .value_kind:     hidden_global_offset_z
      - .offset:         272
        .size:           2
        .value_kind:     hidden_grid_dims
    .group_segment_fixed_size: 33792
    .kernarg_segment_align: 8
    .kernarg_segment_size: 464
    .language:       OpenCL C
    .language_version:
      - 2
      - 0
    .max_flat_workgroup_size: 256
    .name:           _ZL15flash_attn_tileILi128ELi128ELi16ELi4ELb1EEvPKcS1_S1_S1_S1_PKiPfP15HIP_vector_typeIfLj2EEffffjfiS5_IjLj3EEiiiiiiiiiiiliiliiiiil
    .private_segment_fixed_size: 0
    .sgpr_count:     48
    .sgpr_spill_count: 0
    .symbol:         _ZL15flash_attn_tileILi128ELi128ELi16ELi4ELb1EEvPKcS1_S1_S1_S1_PKiPfP15HIP_vector_typeIfLj2EEffffjfiS5_IjLj3EEiiiiiiiiiiiliiliiiiil.kd
    .uniform_work_group_size: 1
    .uses_dynamic_stack: false
    .vgpr_count:     159
    .vgpr_spill_count: 0
    .wavefront_size: 32
  - .args:
      - .address_space:  global
        .offset:         0
        .size:           8
        .value_kind:     global_buffer
      - .address_space:  global
        .offset:         8
        .size:           8
        .value_kind:     global_buffer
      - .address_space:  global
        .offset:         16
        .size:           8
        .value_kind:     global_buffer
      - .address_space:  global
        .offset:         24
        .size:           8
        .value_kind:     global_buffer
      - .address_space:  global
        .offset:         32
        .size:           8
        .value_kind:     global_buffer
      - .address_space:  global
        .offset:         40
        .size:           8
        .value_kind:     global_buffer
      - .address_space:  global
        .offset:         48
        .size:           8
        .value_kind:     global_buffer
      - .address_space:  global
        .offset:         56
        .size:           8
        .value_kind:     global_buffer
      - .offset:         64
        .size:           4
        .value_kind:     by_value
      - .offset:         68
        .size:           4
        .value_kind:     by_value
      - .offset:         72
        .size:           4
        .value_kind:     by_value
      - .offset:         76
        .size:           4
        .value_kind:     by_value
      - .offset:         80
        .size:           4
        .value_kind:     by_value
      - .offset:         84
        .size:           4
        .value_kind:     by_value
      - .offset:         88
        .size:           4
        .value_kind:     by_value
      - .offset:         92
        .size:           12
        .value_kind:     by_value
      - .offset:         104
        .size:           4
        .value_kind:     by_value
      - .offset:         108
        .size:           4
        .value_kind:     by_value
      - .offset:         112
        .size:           4
        .value_kind:     by_value
      - .offset:         116
        .size:           4
        .value_kind:     by_value
      - .offset:         120
        .size:           4
        .value_kind:     by_value
      - .offset:         124
        .size:           4
        .value_kind:     by_value
      - .offset:         128
        .size:           4
        .value_kind:     by_value
      - .offset:         132
        .size:           4
        .value_kind:     by_value
      - .offset:         136
        .size:           4
        .value_kind:     by_value
      - .offset:         140
        .size:           4
        .value_kind:     by_value
      - .offset:         144
        .size:           4
        .value_kind:     by_value
      - .offset:         152
        .size:           8
        .value_kind:     by_value
      - .offset:         160
        .size:           4
        .value_kind:     by_value
      - .offset:         164
        .size:           4
        .value_kind:     by_value
      - .offset:         168
        .size:           8
        .value_kind:     by_value
      - .offset:         176
        .size:           4
        .value_kind:     by_value
      - .offset:         180
        .size:           4
        .value_kind:     by_value
      - .offset:         184
        .size:           4
        .value_kind:     by_value
      - .offset:         188
        .size:           4
        .value_kind:     by_value
      - .offset:         192
        .size:           4
        .value_kind:     by_value
      - .offset:         200
        .size:           8
        .value_kind:     by_value
      - .offset:         208
        .size:           4
        .value_kind:     hidden_block_count_x
      - .offset:         212
        .size:           4
        .value_kind:     hidden_block_count_y
      - .offset:         216
        .size:           4
        .value_kind:     hidden_block_count_z
      - .offset:         220
        .size:           2
        .value_kind:     hidden_group_size_x
      - .offset:         222
        .size:           2
        .value_kind:     hidden_group_size_y
      - .offset:         224
        .size:           2
        .value_kind:     hidden_group_size_z
      - .offset:         226
        .size:           2
        .value_kind:     hidden_remainder_x
      - .offset:         228
        .size:           2
        .value_kind:     hidden_remainder_y
      - .offset:         230
        .size:           2
        .value_kind:     hidden_remainder_z
      - .offset:         248
        .size:           8
        .value_kind:     hidden_global_offset_x
      - .offset:         256
        .size:           8
        .value_kind:     hidden_global_offset_y
      - .offset:         264
        .size:           8
        .value_kind:     hidden_global_offset_z
      - .offset:         272
        .size:           2
        .value_kind:     hidden_grid_dims
    .group_segment_fixed_size: 34816
    .kernarg_segment_align: 8
    .kernarg_segment_size: 464
    .language:       OpenCL C
    .language_version:
      - 2
      - 0
    .max_flat_workgroup_size: 256
    .name:           _ZL15flash_attn_tileILi128ELi128ELi8ELi4ELb1EEvPKcS1_S1_S1_S1_PKiPfP15HIP_vector_typeIfLj2EEffffjfiS5_IjLj3EEiiiiiiiiiiiliiliiiiil
    .private_segment_fixed_size: 0
    .sgpr_count:     45
    .sgpr_spill_count: 0
    .symbol:         _ZL15flash_attn_tileILi128ELi128ELi8ELi4ELb1EEvPKcS1_S1_S1_S1_PKiPfP15HIP_vector_typeIfLj2EEffffjfiS5_IjLj3EEiiiiiiiiiiiliiliiiiil.kd
    .uniform_work_group_size: 1
    .uses_dynamic_stack: false
    .vgpr_count:     165
    .vgpr_spill_count: 0
    .wavefront_size: 32
  - .args:
      - .address_space:  global
        .offset:         0
        .size:           8
        .value_kind:     global_buffer
      - .address_space:  global
        .offset:         8
        .size:           8
        .value_kind:     global_buffer
      - .address_space:  global
        .offset:         16
        .size:           8
        .value_kind:     global_buffer
      - .address_space:  global
        .offset:         24
        .size:           8
        .value_kind:     global_buffer
      - .address_space:  global
        .offset:         32
        .size:           8
        .value_kind:     global_buffer
      - .address_space:  global
        .offset:         40
        .size:           8
        .value_kind:     global_buffer
      - .address_space:  global
        .offset:         48
        .size:           8
        .value_kind:     global_buffer
      - .address_space:  global
        .offset:         56
        .size:           8
        .value_kind:     global_buffer
      - .offset:         64
        .size:           4
        .value_kind:     by_value
      - .offset:         68
        .size:           4
        .value_kind:     by_value
      - .offset:         72
        .size:           4
        .value_kind:     by_value
      - .offset:         76
        .size:           4
        .value_kind:     by_value
      - .offset:         80
        .size:           4
        .value_kind:     by_value
      - .offset:         84
        .size:           4
        .value_kind:     by_value
      - .offset:         88
        .size:           4
        .value_kind:     by_value
      - .offset:         92
        .size:           12
        .value_kind:     by_value
      - .offset:         104
        .size:           4
        .value_kind:     by_value
      - .offset:         108
        .size:           4
        .value_kind:     by_value
      - .offset:         112
        .size:           4
        .value_kind:     by_value
      - .offset:         116
        .size:           4
        .value_kind:     by_value
      - .offset:         120
        .size:           4
        .value_kind:     by_value
      - .offset:         124
        .size:           4
        .value_kind:     by_value
      - .offset:         128
        .size:           4
        .value_kind:     by_value
      - .offset:         132
        .size:           4
        .value_kind:     by_value
      - .offset:         136
        .size:           4
        .value_kind:     by_value
      - .offset:         140
        .size:           4
        .value_kind:     by_value
      - .offset:         144
        .size:           4
        .value_kind:     by_value
      - .offset:         152
        .size:           8
        .value_kind:     by_value
      - .offset:         160
        .size:           4
        .value_kind:     by_value
      - .offset:         164
        .size:           4
        .value_kind:     by_value
      - .offset:         168
        .size:           8
        .value_kind:     by_value
      - .offset:         176
        .size:           4
        .value_kind:     by_value
      - .offset:         180
        .size:           4
        .value_kind:     by_value
      - .offset:         184
        .size:           4
        .value_kind:     by_value
      - .offset:         188
        .size:           4
        .value_kind:     by_value
      - .offset:         192
        .size:           4
        .value_kind:     by_value
      - .offset:         200
        .size:           8
        .value_kind:     by_value
      - .offset:         208
        .size:           4
        .value_kind:     hidden_block_count_x
      - .offset:         212
        .size:           4
        .value_kind:     hidden_block_count_y
      - .offset:         216
        .size:           4
        .value_kind:     hidden_block_count_z
      - .offset:         220
        .size:           2
        .value_kind:     hidden_group_size_x
      - .offset:         222
        .size:           2
        .value_kind:     hidden_group_size_y
      - .offset:         224
        .size:           2
        .value_kind:     hidden_group_size_z
      - .offset:         226
        .size:           2
        .value_kind:     hidden_remainder_x
      - .offset:         228
        .size:           2
        .value_kind:     hidden_remainder_y
      - .offset:         230
        .size:           2
        .value_kind:     hidden_remainder_z
      - .offset:         248
        .size:           8
        .value_kind:     hidden_global_offset_x
      - .offset:         256
        .size:           8
        .value_kind:     hidden_global_offset_y
      - .offset:         264
        .size:           8
        .value_kind:     hidden_global_offset_z
      - .offset:         272
        .size:           2
        .value_kind:     hidden_grid_dims
    .group_segment_fixed_size: 43008
    .kernarg_segment_align: 8
    .kernarg_segment_size: 464
    .language:       OpenCL C
    .language_version:
      - 2
      - 0
    .max_flat_workgroup_size: 256
    .name:           _ZL15flash_attn_tileILi128ELi128ELi4ELi4ELb1EEvPKcS1_S1_S1_S1_PKiPfP15HIP_vector_typeIfLj2EEffffjfiS5_IjLj3EEiiiiiiiiiiiliiliiiiil
    .private_segment_fixed_size: 0
    .sgpr_count:     44
    .sgpr_spill_count: 0
    .symbol:         _ZL15flash_attn_tileILi128ELi128ELi4ELi4ELb1EEvPKcS1_S1_S1_S1_PKiPfP15HIP_vector_typeIfLj2EEffffjfiS5_IjLj3EEiiiiiiiiiiiliiliiiiil.kd
    .uniform_work_group_size: 1
    .uses_dynamic_stack: false
    .vgpr_count:     227
    .vgpr_spill_count: 0
    .wavefront_size: 32
  - .args:
      - .address_space:  global
        .offset:         0
        .size:           8
        .value_kind:     global_buffer
      - .address_space:  global
        .offset:         8
        .size:           8
        .value_kind:     global_buffer
      - .address_space:  global
        .offset:         16
        .size:           8
        .value_kind:     global_buffer
      - .address_space:  global
        .offset:         24
        .size:           8
        .value_kind:     global_buffer
      - .address_space:  global
        .offset:         32
        .size:           8
        .value_kind:     global_buffer
      - .address_space:  global
        .offset:         40
        .size:           8
        .value_kind:     global_buffer
      - .address_space:  global
        .offset:         48
        .size:           8
        .value_kind:     global_buffer
      - .address_space:  global
        .offset:         56
        .size:           8
        .value_kind:     global_buffer
      - .offset:         64
        .size:           4
        .value_kind:     by_value
      - .offset:         68
        .size:           4
        .value_kind:     by_value
      - .offset:         72
        .size:           4
        .value_kind:     by_value
      - .offset:         76
        .size:           4
        .value_kind:     by_value
      - .offset:         80
        .size:           4
        .value_kind:     by_value
      - .offset:         84
        .size:           4
        .value_kind:     by_value
      - .offset:         88
        .size:           4
        .value_kind:     by_value
      - .offset:         92
        .size:           12
        .value_kind:     by_value
      - .offset:         104
        .size:           4
        .value_kind:     by_value
      - .offset:         108
        .size:           4
        .value_kind:     by_value
      - .offset:         112
        .size:           4
        .value_kind:     by_value
      - .offset:         116
        .size:           4
        .value_kind:     by_value
      - .offset:         120
        .size:           4
        .value_kind:     by_value
      - .offset:         124
        .size:           4
        .value_kind:     by_value
      - .offset:         128
        .size:           4
        .value_kind:     by_value
      - .offset:         132
        .size:           4
        .value_kind:     by_value
      - .offset:         136
        .size:           4
        .value_kind:     by_value
      - .offset:         140
        .size:           4
        .value_kind:     by_value
      - .offset:         144
        .size:           4
        .value_kind:     by_value
      - .offset:         152
        .size:           8
        .value_kind:     by_value
      - .offset:         160
        .size:           4
        .value_kind:     by_value
      - .offset:         164
        .size:           4
        .value_kind:     by_value
      - .offset:         168
        .size:           8
        .value_kind:     by_value
      - .offset:         176
        .size:           4
        .value_kind:     by_value
      - .offset:         180
        .size:           4
        .value_kind:     by_value
      - .offset:         184
        .size:           4
        .value_kind:     by_value
      - .offset:         188
        .size:           4
        .value_kind:     by_value
      - .offset:         192
        .size:           4
        .value_kind:     by_value
      - .offset:         200
        .size:           8
        .value_kind:     by_value
      - .offset:         208
        .size:           4
        .value_kind:     hidden_block_count_x
      - .offset:         212
        .size:           4
        .value_kind:     hidden_block_count_y
      - .offset:         216
        .size:           4
        .value_kind:     hidden_block_count_z
      - .offset:         220
        .size:           2
        .value_kind:     hidden_group_size_x
      - .offset:         222
        .size:           2
        .value_kind:     hidden_group_size_y
      - .offset:         224
        .size:           2
        .value_kind:     hidden_group_size_z
      - .offset:         226
        .size:           2
        .value_kind:     hidden_remainder_x
      - .offset:         228
        .size:           2
        .value_kind:     hidden_remainder_y
      - .offset:         230
        .size:           2
        .value_kind:     hidden_remainder_z
      - .offset:         248
        .size:           8
        .value_kind:     hidden_global_offset_x
      - .offset:         256
        .size:           8
        .value_kind:     hidden_global_offset_y
      - .offset:         264
        .size:           8
        .value_kind:     hidden_global_offset_z
      - .offset:         272
        .size:           2
        .value_kind:     hidden_grid_dims
    .group_segment_fixed_size: 12288
    .kernarg_segment_align: 8
    .kernarg_segment_size: 464
    .language:       OpenCL C
    .language_version:
      - 2
      - 0
    .max_flat_workgroup_size: 128
    .name:           _ZL15flash_attn_tileILi128ELi128ELi2ELi4ELb1EEvPKcS1_S1_S1_S1_PKiPfP15HIP_vector_typeIfLj2EEffffjfiS5_IjLj3EEiiiiiiiiiiiliiliiiiil
    .private_segment_fixed_size: 0
    .sgpr_count:     44
    .sgpr_spill_count: 0
    .symbol:         _ZL15flash_attn_tileILi128ELi128ELi2ELi4ELb1EEvPKcS1_S1_S1_S1_PKiPfP15HIP_vector_typeIfLj2EEffffjfiS5_IjLj3EEiiiiiiiiiiiliiliiiiil.kd
    .uniform_work_group_size: 1
    .uses_dynamic_stack: false
    .vgpr_count:     118
    .vgpr_spill_count: 0
    .wavefront_size: 32
  - .args:
      - .address_space:  global
        .offset:         0
        .size:           8
        .value_kind:     global_buffer
      - .address_space:  global
        .offset:         8
        .size:           8
        .value_kind:     global_buffer
      - .address_space:  global
        .offset:         16
        .size:           8
        .value_kind:     global_buffer
      - .address_space:  global
        .offset:         24
        .size:           8
        .value_kind:     global_buffer
      - .address_space:  global
        .offset:         32
        .size:           8
        .value_kind:     global_buffer
      - .address_space:  global
        .offset:         40
        .size:           8
        .value_kind:     global_buffer
      - .address_space:  global
        .offset:         48
        .size:           8
        .value_kind:     global_buffer
      - .address_space:  global
        .offset:         56
        .size:           8
        .value_kind:     global_buffer
      - .offset:         64
        .size:           4
        .value_kind:     by_value
      - .offset:         68
        .size:           4
        .value_kind:     by_value
      - .offset:         72
        .size:           4
        .value_kind:     by_value
      - .offset:         76
        .size:           4
        .value_kind:     by_value
      - .offset:         80
        .size:           4
        .value_kind:     by_value
      - .offset:         84
        .size:           4
        .value_kind:     by_value
      - .offset:         88
        .size:           4
        .value_kind:     by_value
      - .offset:         92
        .size:           12
        .value_kind:     by_value
      - .offset:         104
        .size:           4
        .value_kind:     by_value
      - .offset:         108
        .size:           4
        .value_kind:     by_value
      - .offset:         112
        .size:           4
        .value_kind:     by_value
      - .offset:         116
        .size:           4
        .value_kind:     by_value
      - .offset:         120
        .size:           4
        .value_kind:     by_value
      - .offset:         124
        .size:           4
        .value_kind:     by_value
      - .offset:         128
        .size:           4
        .value_kind:     by_value
      - .offset:         132
        .size:           4
        .value_kind:     by_value
      - .offset:         136
        .size:           4
        .value_kind:     by_value
      - .offset:         140
        .size:           4
        .value_kind:     by_value
      - .offset:         144
        .size:           4
        .value_kind:     by_value
      - .offset:         152
        .size:           8
        .value_kind:     by_value
      - .offset:         160
        .size:           4
        .value_kind:     by_value
      - .offset:         164
        .size:           4
        .value_kind:     by_value
      - .offset:         168
        .size:           8
        .value_kind:     by_value
      - .offset:         176
        .size:           4
        .value_kind:     by_value
      - .offset:         180
        .size:           4
        .value_kind:     by_value
      - .offset:         184
        .size:           4
        .value_kind:     by_value
      - .offset:         188
        .size:           4
        .value_kind:     by_value
      - .offset:         192
        .size:           4
        .value_kind:     by_value
      - .offset:         200
        .size:           8
        .value_kind:     by_value
      - .offset:         208
        .size:           4
        .value_kind:     hidden_block_count_x
      - .offset:         212
        .size:           4
        .value_kind:     hidden_block_count_y
      - .offset:         216
        .size:           4
        .value_kind:     hidden_block_count_z
      - .offset:         220
        .size:           2
        .value_kind:     hidden_group_size_x
      - .offset:         222
        .size:           2
        .value_kind:     hidden_group_size_y
      - .offset:         224
        .size:           2
        .value_kind:     hidden_group_size_z
      - .offset:         226
        .size:           2
        .value_kind:     hidden_remainder_x
      - .offset:         228
        .size:           2
        .value_kind:     hidden_remainder_y
      - .offset:         230
        .size:           2
        .value_kind:     hidden_remainder_z
      - .offset:         248
        .size:           8
        .value_kind:     hidden_global_offset_x
      - .offset:         256
        .size:           8
        .value_kind:     hidden_global_offset_y
      - .offset:         264
        .size:           8
        .value_kind:     hidden_global_offset_z
      - .offset:         272
        .size:           2
        .value_kind:     hidden_grid_dims
    .group_segment_fixed_size: 10752
    .kernarg_segment_align: 8
    .kernarg_segment_size: 464
    .language:       OpenCL C
    .language_version:
      - 2
      - 0
    .max_flat_workgroup_size: 128
    .name:           _ZL15flash_attn_tileILi128ELi128ELi1ELi4ELb1EEvPKcS1_S1_S1_S1_PKiPfP15HIP_vector_typeIfLj2EEffffjfiS5_IjLj3EEiiiiiiiiiiiliiliiiiil
    .private_segment_fixed_size: 0
    .sgpr_count:     45
    .sgpr_spill_count: 0
    .symbol:         _ZL15flash_attn_tileILi128ELi128ELi1ELi4ELb1EEvPKcS1_S1_S1_S1_PKiPfP15HIP_vector_typeIfLj2EEffffjfiS5_IjLj3EEiiiiiiiiiiiliiliiiiil.kd
    .uniform_work_group_size: 1
    .uses_dynamic_stack: false
    .vgpr_count:     128
    .vgpr_spill_count: 0
    .wavefront_size: 32
  - .args:
      - .address_space:  global
        .offset:         0
        .size:           8
        .value_kind:     global_buffer
      - .address_space:  global
        .offset:         8
        .size:           8
        .value_kind:     global_buffer
      - .address_space:  global
        .offset:         16
        .size:           8
        .value_kind:     global_buffer
      - .address_space:  global
        .offset:         24
        .size:           8
        .value_kind:     global_buffer
      - .address_space:  global
        .offset:         32
        .size:           8
        .value_kind:     global_buffer
      - .address_space:  global
        .offset:         40
        .size:           8
        .value_kind:     global_buffer
      - .address_space:  global
        .offset:         48
        .size:           8
        .value_kind:     global_buffer
      - .address_space:  global
        .offset:         56
        .size:           8
        .value_kind:     global_buffer
      - .offset:         64
        .size:           4
        .value_kind:     by_value
      - .offset:         68
        .size:           4
        .value_kind:     by_value
      - .offset:         72
        .size:           4
        .value_kind:     by_value
      - .offset:         76
        .size:           4
        .value_kind:     by_value
      - .offset:         80
        .size:           4
        .value_kind:     by_value
      - .offset:         84
        .size:           4
        .value_kind:     by_value
      - .offset:         88
        .size:           4
        .value_kind:     by_value
      - .offset:         92
        .size:           12
        .value_kind:     by_value
      - .offset:         104
        .size:           4
        .value_kind:     by_value
      - .offset:         108
        .size:           4
        .value_kind:     by_value
      - .offset:         112
        .size:           4
        .value_kind:     by_value
      - .offset:         116
        .size:           4
        .value_kind:     by_value
      - .offset:         120
        .size:           4
        .value_kind:     by_value
      - .offset:         124
        .size:           4
        .value_kind:     by_value
      - .offset:         128
        .size:           4
        .value_kind:     by_value
      - .offset:         132
        .size:           4
        .value_kind:     by_value
      - .offset:         136
        .size:           4
        .value_kind:     by_value
      - .offset:         140
        .size:           4
        .value_kind:     by_value
      - .offset:         144
        .size:           4
        .value_kind:     by_value
      - .offset:         152
        .size:           8
        .value_kind:     by_value
      - .offset:         160
        .size:           4
        .value_kind:     by_value
      - .offset:         164
        .size:           4
        .value_kind:     by_value
      - .offset:         168
        .size:           8
        .value_kind:     by_value
      - .offset:         176
        .size:           4
        .value_kind:     by_value
      - .offset:         180
        .size:           4
        .value_kind:     by_value
      - .offset:         184
        .size:           4
        .value_kind:     by_value
      - .offset:         188
        .size:           4
        .value_kind:     by_value
      - .offset:         192
        .size:           4
        .value_kind:     by_value
      - .offset:         200
        .size:           8
        .value_kind:     by_value
      - .offset:         208
        .size:           4
        .value_kind:     hidden_block_count_x
      - .offset:         212
        .size:           4
        .value_kind:     hidden_block_count_y
      - .offset:         216
        .size:           4
        .value_kind:     hidden_block_count_z
      - .offset:         220
        .size:           2
        .value_kind:     hidden_group_size_x
      - .offset:         222
        .size:           2
        .value_kind:     hidden_group_size_y
      - .offset:         224
        .size:           2
        .value_kind:     hidden_group_size_z
      - .offset:         226
        .size:           2
        .value_kind:     hidden_remainder_x
      - .offset:         228
        .size:           2
        .value_kind:     hidden_remainder_y
      - .offset:         230
        .size:           2
        .value_kind:     hidden_remainder_z
      - .offset:         248
        .size:           8
        .value_kind:     hidden_global_offset_x
      - .offset:         256
        .size:           8
        .value_kind:     hidden_global_offset_y
      - .offset:         264
        .size:           8
        .value_kind:     hidden_global_offset_z
      - .offset:         272
        .size:           2
        .value_kind:     hidden_grid_dims
    .group_segment_fixed_size: 33792
    .kernarg_segment_align: 8
    .kernarg_segment_size: 464
    .language:       OpenCL C
    .language_version:
      - 2
      - 0
    .max_flat_workgroup_size: 256
    .name:           _ZL15flash_attn_tileILi128ELi128ELi32ELi2ELb1EEvPKcS1_S1_S1_S1_PKiPfP15HIP_vector_typeIfLj2EEffffjfiS5_IjLj3EEiiiiiiiiiiiliiliiiiil
    .private_segment_fixed_size: 0
    .sgpr_count:     51
    .sgpr_spill_count: 0
    .symbol:         _ZL15flash_attn_tileILi128ELi128ELi32ELi2ELb1EEvPKcS1_S1_S1_S1_PKiPfP15HIP_vector_typeIfLj2EEffffjfiS5_IjLj3EEiiiiiiiiiiiliiliiiiil.kd
    .uniform_work_group_size: 1
    .uses_dynamic_stack: false
    .vgpr_count:     165
    .vgpr_spill_count: 0
    .wavefront_size: 32
  - .args:
      - .address_space:  global
        .offset:         0
        .size:           8
        .value_kind:     global_buffer
      - .address_space:  global
        .offset:         8
        .size:           8
        .value_kind:     global_buffer
      - .address_space:  global
        .offset:         16
        .size:           8
        .value_kind:     global_buffer
      - .address_space:  global
        .offset:         24
        .size:           8
        .value_kind:     global_buffer
      - .address_space:  global
        .offset:         32
        .size:           8
        .value_kind:     global_buffer
      - .address_space:  global
        .offset:         40
        .size:           8
        .value_kind:     global_buffer
      - .address_space:  global
        .offset:         48
        .size:           8
        .value_kind:     global_buffer
      - .address_space:  global
        .offset:         56
        .size:           8
        .value_kind:     global_buffer
      - .offset:         64
        .size:           4
        .value_kind:     by_value
      - .offset:         68
        .size:           4
        .value_kind:     by_value
      - .offset:         72
        .size:           4
        .value_kind:     by_value
      - .offset:         76
        .size:           4
        .value_kind:     by_value
      - .offset:         80
        .size:           4
        .value_kind:     by_value
      - .offset:         84
        .size:           4
        .value_kind:     by_value
      - .offset:         88
        .size:           4
        .value_kind:     by_value
      - .offset:         92
        .size:           12
        .value_kind:     by_value
      - .offset:         104
        .size:           4
        .value_kind:     by_value
      - .offset:         108
        .size:           4
        .value_kind:     by_value
      - .offset:         112
        .size:           4
        .value_kind:     by_value
      - .offset:         116
        .size:           4
        .value_kind:     by_value
      - .offset:         120
        .size:           4
        .value_kind:     by_value
      - .offset:         124
        .size:           4
        .value_kind:     by_value
      - .offset:         128
        .size:           4
        .value_kind:     by_value
      - .offset:         132
        .size:           4
        .value_kind:     by_value
      - .offset:         136
        .size:           4
        .value_kind:     by_value
      - .offset:         140
        .size:           4
        .value_kind:     by_value
      - .offset:         144
        .size:           4
        .value_kind:     by_value
      - .offset:         152
        .size:           8
        .value_kind:     by_value
      - .offset:         160
        .size:           4
        .value_kind:     by_value
      - .offset:         164
        .size:           4
        .value_kind:     by_value
      - .offset:         168
        .size:           8
        .value_kind:     by_value
      - .offset:         176
        .size:           4
        .value_kind:     by_value
      - .offset:         180
        .size:           4
        .value_kind:     by_value
      - .offset:         184
        .size:           4
        .value_kind:     by_value
      - .offset:         188
        .size:           4
        .value_kind:     by_value
      - .offset:         192
        .size:           4
        .value_kind:     by_value
      - .offset:         200
        .size:           8
        .value_kind:     by_value
      - .offset:         208
        .size:           4
        .value_kind:     hidden_block_count_x
      - .offset:         212
        .size:           4
        .value_kind:     hidden_block_count_y
      - .offset:         216
        .size:           4
        .value_kind:     hidden_block_count_z
      - .offset:         220
        .size:           2
        .value_kind:     hidden_group_size_x
      - .offset:         222
        .size:           2
        .value_kind:     hidden_group_size_y
      - .offset:         224
        .size:           2
        .value_kind:     hidden_group_size_z
      - .offset:         226
        .size:           2
        .value_kind:     hidden_remainder_x
      - .offset:         228
        .size:           2
        .value_kind:     hidden_remainder_y
      - .offset:         230
        .size:           2
        .value_kind:     hidden_remainder_z
      - .offset:         248
        .size:           8
        .value_kind:     hidden_global_offset_x
      - .offset:         256
        .size:           8
        .value_kind:     hidden_global_offset_y
      - .offset:         264
        .size:           8
        .value_kind:     hidden_global_offset_z
      - .offset:         272
        .size:           2
        .value_kind:     hidden_grid_dims
    .group_segment_fixed_size: 34816
    .kernarg_segment_align: 8
    .kernarg_segment_size: 464
    .language:       OpenCL C
    .language_version:
      - 2
      - 0
    .max_flat_workgroup_size: 256
    .name:           _ZL15flash_attn_tileILi128ELi128ELi16ELi2ELb1EEvPKcS1_S1_S1_S1_PKiPfP15HIP_vector_typeIfLj2EEffffjfiS5_IjLj3EEiiiiiiiiiiiliiliiiiil
    .private_segment_fixed_size: 0
    .sgpr_count:     48
    .sgpr_spill_count: 0
    .symbol:         _ZL15flash_attn_tileILi128ELi128ELi16ELi2ELb1EEvPKcS1_S1_S1_S1_PKiPfP15HIP_vector_typeIfLj2EEffffjfiS5_IjLj3EEiiiiiiiiiiiliiliiiiil.kd
    .uniform_work_group_size: 1
    .uses_dynamic_stack: false
    .vgpr_count:     177
    .vgpr_spill_count: 0
    .wavefront_size: 32
  - .args:
      - .address_space:  global
        .offset:         0
        .size:           8
        .value_kind:     global_buffer
      - .address_space:  global
        .offset:         8
        .size:           8
        .value_kind:     global_buffer
      - .address_space:  global
        .offset:         16
        .size:           8
        .value_kind:     global_buffer
      - .address_space:  global
        .offset:         24
        .size:           8
        .value_kind:     global_buffer
      - .address_space:  global
        .offset:         32
        .size:           8
        .value_kind:     global_buffer
      - .address_space:  global
        .offset:         40
        .size:           8
        .value_kind:     global_buffer
      - .address_space:  global
        .offset:         48
        .size:           8
        .value_kind:     global_buffer
      - .address_space:  global
        .offset:         56
        .size:           8
        .value_kind:     global_buffer
      - .offset:         64
        .size:           4
        .value_kind:     by_value
      - .offset:         68
        .size:           4
        .value_kind:     by_value
      - .offset:         72
        .size:           4
        .value_kind:     by_value
      - .offset:         76
        .size:           4
        .value_kind:     by_value
      - .offset:         80
        .size:           4
        .value_kind:     by_value
      - .offset:         84
        .size:           4
        .value_kind:     by_value
      - .offset:         88
        .size:           4
        .value_kind:     by_value
      - .offset:         92
        .size:           12
        .value_kind:     by_value
      - .offset:         104
        .size:           4
        .value_kind:     by_value
      - .offset:         108
        .size:           4
        .value_kind:     by_value
      - .offset:         112
        .size:           4
        .value_kind:     by_value
      - .offset:         116
        .size:           4
        .value_kind:     by_value
      - .offset:         120
        .size:           4
        .value_kind:     by_value
      - .offset:         124
        .size:           4
        .value_kind:     by_value
      - .offset:         128
        .size:           4
        .value_kind:     by_value
      - .offset:         132
        .size:           4
        .value_kind:     by_value
      - .offset:         136
        .size:           4
        .value_kind:     by_value
      - .offset:         140
        .size:           4
        .value_kind:     by_value
      - .offset:         144
        .size:           4
        .value_kind:     by_value
      - .offset:         152
        .size:           8
        .value_kind:     by_value
      - .offset:         160
        .size:           4
        .value_kind:     by_value
      - .offset:         164
        .size:           4
        .value_kind:     by_value
      - .offset:         168
        .size:           8
        .value_kind:     by_value
      - .offset:         176
        .size:           4
        .value_kind:     by_value
      - .offset:         180
        .size:           4
        .value_kind:     by_value
      - .offset:         184
        .size:           4
        .value_kind:     by_value
      - .offset:         188
        .size:           4
        .value_kind:     by_value
      - .offset:         192
        .size:           4
        .value_kind:     by_value
      - .offset:         200
        .size:           8
        .value_kind:     by_value
      - .offset:         208
        .size:           4
        .value_kind:     hidden_block_count_x
      - .offset:         212
        .size:           4
        .value_kind:     hidden_block_count_y
      - .offset:         216
        .size:           4
        .value_kind:     hidden_block_count_z
      - .offset:         220
        .size:           2
        .value_kind:     hidden_group_size_x
      - .offset:         222
        .size:           2
        .value_kind:     hidden_group_size_y
      - .offset:         224
        .size:           2
        .value_kind:     hidden_group_size_z
      - .offset:         226
        .size:           2
        .value_kind:     hidden_remainder_x
      - .offset:         228
        .size:           2
        .value_kind:     hidden_remainder_y
      - .offset:         230
        .size:           2
        .value_kind:     hidden_remainder_z
      - .offset:         248
        .size:           8
        .value_kind:     hidden_global_offset_x
      - .offset:         256
        .size:           8
        .value_kind:     hidden_global_offset_y
      - .offset:         264
        .size:           8
        .value_kind:     hidden_global_offset_z
      - .offset:         272
        .size:           2
        .value_kind:     hidden_grid_dims
    .group_segment_fixed_size: 43008
    .kernarg_segment_align: 8
    .kernarg_segment_size: 464
    .language:       OpenCL C
    .language_version:
      - 2
      - 0
    .max_flat_workgroup_size: 256
    .name:           _ZL15flash_attn_tileILi128ELi128ELi8ELi2ELb1EEvPKcS1_S1_S1_S1_PKiPfP15HIP_vector_typeIfLj2EEffffjfiS5_IjLj3EEiiiiiiiiiiiliiliiiiil
    .private_segment_fixed_size: 0
    .sgpr_count:     45
    .sgpr_spill_count: 0
    .symbol:         _ZL15flash_attn_tileILi128ELi128ELi8ELi2ELb1EEvPKcS1_S1_S1_S1_PKiPfP15HIP_vector_typeIfLj2EEffffjfiS5_IjLj3EEiiiiiiiiiiiliiliiiiil.kd
    .uniform_work_group_size: 1
    .uses_dynamic_stack: false
    .vgpr_count:     226
    .vgpr_spill_count: 0
    .wavefront_size: 32
  - .args:
      - .address_space:  global
        .offset:         0
        .size:           8
        .value_kind:     global_buffer
      - .address_space:  global
        .offset:         8
        .size:           8
        .value_kind:     global_buffer
      - .address_space:  global
        .offset:         16
        .size:           8
        .value_kind:     global_buffer
      - .address_space:  global
        .offset:         24
        .size:           8
        .value_kind:     global_buffer
      - .address_space:  global
        .offset:         32
        .size:           8
        .value_kind:     global_buffer
      - .address_space:  global
        .offset:         40
        .size:           8
        .value_kind:     global_buffer
      - .address_space:  global
        .offset:         48
        .size:           8
        .value_kind:     global_buffer
      - .address_space:  global
        .offset:         56
        .size:           8
        .value_kind:     global_buffer
      - .offset:         64
        .size:           4
        .value_kind:     by_value
      - .offset:         68
        .size:           4
        .value_kind:     by_value
      - .offset:         72
        .size:           4
        .value_kind:     by_value
      - .offset:         76
        .size:           4
        .value_kind:     by_value
      - .offset:         80
        .size:           4
        .value_kind:     by_value
      - .offset:         84
        .size:           4
        .value_kind:     by_value
      - .offset:         88
        .size:           4
        .value_kind:     by_value
      - .offset:         92
        .size:           12
        .value_kind:     by_value
      - .offset:         104
        .size:           4
        .value_kind:     by_value
      - .offset:         108
        .size:           4
        .value_kind:     by_value
      - .offset:         112
        .size:           4
        .value_kind:     by_value
      - .offset:         116
        .size:           4
        .value_kind:     by_value
      - .offset:         120
        .size:           4
        .value_kind:     by_value
      - .offset:         124
        .size:           4
        .value_kind:     by_value
      - .offset:         128
        .size:           4
        .value_kind:     by_value
      - .offset:         132
        .size:           4
        .value_kind:     by_value
      - .offset:         136
        .size:           4
        .value_kind:     by_value
      - .offset:         140
        .size:           4
        .value_kind:     by_value
      - .offset:         144
        .size:           4
        .value_kind:     by_value
      - .offset:         152
        .size:           8
        .value_kind:     by_value
      - .offset:         160
        .size:           4
        .value_kind:     by_value
      - .offset:         164
        .size:           4
        .value_kind:     by_value
      - .offset:         168
        .size:           8
        .value_kind:     by_value
      - .offset:         176
        .size:           4
        .value_kind:     by_value
      - .offset:         180
        .size:           4
        .value_kind:     by_value
      - .offset:         184
        .size:           4
        .value_kind:     by_value
      - .offset:         188
        .size:           4
        .value_kind:     by_value
      - .offset:         192
        .size:           4
        .value_kind:     by_value
      - .offset:         200
        .size:           8
        .value_kind:     by_value
      - .offset:         208
        .size:           4
        .value_kind:     hidden_block_count_x
      - .offset:         212
        .size:           4
        .value_kind:     hidden_block_count_y
      - .offset:         216
        .size:           4
        .value_kind:     hidden_block_count_z
      - .offset:         220
        .size:           2
        .value_kind:     hidden_group_size_x
      - .offset:         222
        .size:           2
        .value_kind:     hidden_group_size_y
      - .offset:         224
        .size:           2
        .value_kind:     hidden_group_size_z
      - .offset:         226
        .size:           2
        .value_kind:     hidden_remainder_x
      - .offset:         228
        .size:           2
        .value_kind:     hidden_remainder_y
      - .offset:         230
        .size:           2
        .value_kind:     hidden_remainder_z
      - .offset:         248
        .size:           8
        .value_kind:     hidden_global_offset_x
      - .offset:         256
        .size:           8
        .value_kind:     hidden_global_offset_y
      - .offset:         264
        .size:           8
        .value_kind:     hidden_global_offset_z
      - .offset:         272
        .size:           2
        .value_kind:     hidden_grid_dims
    .group_segment_fixed_size: 12288
    .kernarg_segment_align: 8
    .kernarg_segment_size: 464
    .language:       OpenCL C
    .language_version:
      - 2
      - 0
    .max_flat_workgroup_size: 128
    .name:           _ZL15flash_attn_tileILi128ELi128ELi4ELi2ELb1EEvPKcS1_S1_S1_S1_PKiPfP15HIP_vector_typeIfLj2EEffffjfiS5_IjLj3EEiiiiiiiiiiiliiliiiiil
    .private_segment_fixed_size: 0
    .sgpr_count:     45
    .sgpr_spill_count: 0
    .symbol:         _ZL15flash_attn_tileILi128ELi128ELi4ELi2ELb1EEvPKcS1_S1_S1_S1_PKiPfP15HIP_vector_typeIfLj2EEffffjfiS5_IjLj3EEiiiiiiiiiiiliiliiiiil.kd
    .uniform_work_group_size: 1
    .uses_dynamic_stack: false
    .vgpr_count:     117
    .vgpr_spill_count: 0
    .wavefront_size: 32
  - .args:
      - .address_space:  global
        .offset:         0
        .size:           8
        .value_kind:     global_buffer
      - .address_space:  global
        .offset:         8
        .size:           8
        .value_kind:     global_buffer
      - .address_space:  global
        .offset:         16
        .size:           8
        .value_kind:     global_buffer
      - .address_space:  global
        .offset:         24
        .size:           8
        .value_kind:     global_buffer
      - .address_space:  global
        .offset:         32
        .size:           8
        .value_kind:     global_buffer
      - .address_space:  global
        .offset:         40
        .size:           8
        .value_kind:     global_buffer
      - .address_space:  global
        .offset:         48
        .size:           8
        .value_kind:     global_buffer
      - .address_space:  global
        .offset:         56
        .size:           8
        .value_kind:     global_buffer
      - .offset:         64
        .size:           4
        .value_kind:     by_value
      - .offset:         68
        .size:           4
        .value_kind:     by_value
      - .offset:         72
        .size:           4
        .value_kind:     by_value
      - .offset:         76
        .size:           4
        .value_kind:     by_value
      - .offset:         80
        .size:           4
        .value_kind:     by_value
      - .offset:         84
        .size:           4
        .value_kind:     by_value
      - .offset:         88
        .size:           4
        .value_kind:     by_value
      - .offset:         92
        .size:           12
        .value_kind:     by_value
      - .offset:         104
        .size:           4
        .value_kind:     by_value
      - .offset:         108
        .size:           4
        .value_kind:     by_value
      - .offset:         112
        .size:           4
        .value_kind:     by_value
      - .offset:         116
        .size:           4
        .value_kind:     by_value
      - .offset:         120
        .size:           4
        .value_kind:     by_value
      - .offset:         124
        .size:           4
        .value_kind:     by_value
      - .offset:         128
        .size:           4
        .value_kind:     by_value
      - .offset:         132
        .size:           4
        .value_kind:     by_value
      - .offset:         136
        .size:           4
        .value_kind:     by_value
      - .offset:         140
        .size:           4
        .value_kind:     by_value
      - .offset:         144
        .size:           4
        .value_kind:     by_value
      - .offset:         152
        .size:           8
        .value_kind:     by_value
      - .offset:         160
        .size:           4
        .value_kind:     by_value
      - .offset:         164
        .size:           4
        .value_kind:     by_value
      - .offset:         168
        .size:           8
        .value_kind:     by_value
      - .offset:         176
        .size:           4
        .value_kind:     by_value
      - .offset:         180
        .size:           4
        .value_kind:     by_value
      - .offset:         184
        .size:           4
        .value_kind:     by_value
      - .offset:         188
        .size:           4
        .value_kind:     by_value
      - .offset:         192
        .size:           4
        .value_kind:     by_value
      - .offset:         200
        .size:           8
        .value_kind:     by_value
      - .offset:         208
        .size:           4
        .value_kind:     hidden_block_count_x
      - .offset:         212
        .size:           4
        .value_kind:     hidden_block_count_y
      - .offset:         216
        .size:           4
        .value_kind:     hidden_block_count_z
      - .offset:         220
        .size:           2
        .value_kind:     hidden_group_size_x
      - .offset:         222
        .size:           2
        .value_kind:     hidden_group_size_y
      - .offset:         224
        .size:           2
        .value_kind:     hidden_group_size_z
      - .offset:         226
        .size:           2
        .value_kind:     hidden_remainder_x
      - .offset:         228
        .size:           2
        .value_kind:     hidden_remainder_y
      - .offset:         230
        .size:           2
        .value_kind:     hidden_remainder_z
      - .offset:         248
        .size:           8
        .value_kind:     hidden_global_offset_x
      - .offset:         256
        .size:           8
        .value_kind:     hidden_global_offset_y
      - .offset:         264
        .size:           8
        .value_kind:     hidden_global_offset_z
      - .offset:         272
        .size:           2
        .value_kind:     hidden_grid_dims
    .group_segment_fixed_size: 10752
    .kernarg_segment_align: 8
    .kernarg_segment_size: 464
    .language:       OpenCL C
    .language_version:
      - 2
      - 0
    .max_flat_workgroup_size: 128
    .name:           _ZL15flash_attn_tileILi128ELi128ELi2ELi2ELb1EEvPKcS1_S1_S1_S1_PKiPfP15HIP_vector_typeIfLj2EEffffjfiS5_IjLj3EEiiiiiiiiiiiliiliiiiil
    .private_segment_fixed_size: 0
    .sgpr_count:     45
    .sgpr_spill_count: 0
    .symbol:         _ZL15flash_attn_tileILi128ELi128ELi2ELi2ELb1EEvPKcS1_S1_S1_S1_PKiPfP15HIP_vector_typeIfLj2EEffffjfiS5_IjLj3EEiiiiiiiiiiiliiliiiiil.kd
    .uniform_work_group_size: 1
    .uses_dynamic_stack: false
    .vgpr_count:     128
    .vgpr_spill_count: 0
    .wavefront_size: 32
  - .args:
      - .address_space:  global
        .offset:         0
        .size:           8
        .value_kind:     global_buffer
      - .address_space:  global
        .offset:         8
        .size:           8
        .value_kind:     global_buffer
      - .address_space:  global
        .offset:         16
        .size:           8
        .value_kind:     global_buffer
      - .address_space:  global
        .offset:         24
        .size:           8
        .value_kind:     global_buffer
      - .address_space:  global
        .offset:         32
        .size:           8
        .value_kind:     global_buffer
      - .address_space:  global
        .offset:         40
        .size:           8
        .value_kind:     global_buffer
      - .address_space:  global
        .offset:         48
        .size:           8
        .value_kind:     global_buffer
      - .address_space:  global
        .offset:         56
        .size:           8
        .value_kind:     global_buffer
      - .offset:         64
        .size:           4
        .value_kind:     by_value
      - .offset:         68
        .size:           4
        .value_kind:     by_value
      - .offset:         72
        .size:           4
        .value_kind:     by_value
      - .offset:         76
        .size:           4
        .value_kind:     by_value
      - .offset:         80
        .size:           4
        .value_kind:     by_value
      - .offset:         84
        .size:           4
        .value_kind:     by_value
      - .offset:         88
        .size:           4
        .value_kind:     by_value
      - .offset:         92
        .size:           12
        .value_kind:     by_value
      - .offset:         104
        .size:           4
        .value_kind:     by_value
      - .offset:         108
        .size:           4
        .value_kind:     by_value
      - .offset:         112
        .size:           4
        .value_kind:     by_value
      - .offset:         116
        .size:           4
        .value_kind:     by_value
      - .offset:         120
        .size:           4
        .value_kind:     by_value
      - .offset:         124
        .size:           4
        .value_kind:     by_value
      - .offset:         128
        .size:           4
        .value_kind:     by_value
      - .offset:         132
        .size:           4
        .value_kind:     by_value
      - .offset:         136
        .size:           4
        .value_kind:     by_value
      - .offset:         140
        .size:           4
        .value_kind:     by_value
      - .offset:         144
        .size:           4
        .value_kind:     by_value
      - .offset:         152
        .size:           8
        .value_kind:     by_value
      - .offset:         160
        .size:           4
        .value_kind:     by_value
      - .offset:         164
        .size:           4
        .value_kind:     by_value
      - .offset:         168
        .size:           8
        .value_kind:     by_value
      - .offset:         176
        .size:           4
        .value_kind:     by_value
      - .offset:         180
        .size:           4
        .value_kind:     by_value
      - .offset:         184
        .size:           4
        .value_kind:     by_value
      - .offset:         188
        .size:           4
        .value_kind:     by_value
      - .offset:         192
        .size:           4
        .value_kind:     by_value
      - .offset:         200
        .size:           8
        .value_kind:     by_value
      - .offset:         208
        .size:           4
        .value_kind:     hidden_block_count_x
      - .offset:         212
        .size:           4
        .value_kind:     hidden_block_count_y
      - .offset:         216
        .size:           4
        .value_kind:     hidden_block_count_z
      - .offset:         220
        .size:           2
        .value_kind:     hidden_group_size_x
      - .offset:         222
        .size:           2
        .value_kind:     hidden_group_size_y
      - .offset:         224
        .size:           2
        .value_kind:     hidden_group_size_z
      - .offset:         226
        .size:           2
        .value_kind:     hidden_remainder_x
      - .offset:         228
        .size:           2
        .value_kind:     hidden_remainder_y
      - .offset:         230
        .size:           2
        .value_kind:     hidden_remainder_z
      - .offset:         248
        .size:           8
        .value_kind:     hidden_global_offset_x
      - .offset:         256
        .size:           8
        .value_kind:     hidden_global_offset_y
      - .offset:         264
        .size:           8
        .value_kind:     hidden_global_offset_z
      - .offset:         272
        .size:           2
        .value_kind:     hidden_grid_dims
    .group_segment_fixed_size: 5248
    .kernarg_segment_align: 8
    .kernarg_segment_size: 464
    .language:       OpenCL C
    .language_version:
      - 2
      - 0
    .max_flat_workgroup_size: 64
    .name:           _ZL15flash_attn_tileILi128ELi128ELi1ELi2ELb1EEvPKcS1_S1_S1_S1_PKiPfP15HIP_vector_typeIfLj2EEffffjfiS5_IjLj3EEiiiiiiiiiiiliiliiiiil
    .private_segment_fixed_size: 0
    .sgpr_count:     45
    .sgpr_spill_count: 0
    .symbol:         _ZL15flash_attn_tileILi128ELi128ELi1ELi2ELb1EEvPKcS1_S1_S1_S1_PKiPfP15HIP_vector_typeIfLj2EEffffjfiS5_IjLj3EEiiiiiiiiiiiliiliiiiil.kd
    .uniform_work_group_size: 1
    .uses_dynamic_stack: false
    .vgpr_count:     111
    .vgpr_spill_count: 0
    .wavefront_size: 32
  - .args:
      - .address_space:  global
        .offset:         0
        .size:           8
        .value_kind:     global_buffer
      - .address_space:  global
        .offset:         8
        .size:           8
        .value_kind:     global_buffer
      - .address_space:  global
        .offset:         16
        .size:           8
        .value_kind:     global_buffer
      - .address_space:  global
        .offset:         24
        .size:           8
        .value_kind:     global_buffer
      - .address_space:  global
        .offset:         32
        .size:           8
        .value_kind:     global_buffer
      - .address_space:  global
        .offset:         40
        .size:           8
        .value_kind:     global_buffer
      - .address_space:  global
        .offset:         48
        .size:           8
        .value_kind:     global_buffer
      - .address_space:  global
        .offset:         56
        .size:           8
        .value_kind:     global_buffer
      - .offset:         64
        .size:           4
        .value_kind:     by_value
      - .offset:         68
        .size:           4
        .value_kind:     by_value
      - .offset:         72
        .size:           4
        .value_kind:     by_value
      - .offset:         76
        .size:           4
        .value_kind:     by_value
      - .offset:         80
        .size:           4
        .value_kind:     by_value
      - .offset:         84
        .size:           4
        .value_kind:     by_value
      - .offset:         88
        .size:           4
        .value_kind:     by_value
      - .offset:         92
        .size:           12
        .value_kind:     by_value
      - .offset:         104
        .size:           4
        .value_kind:     by_value
      - .offset:         108
        .size:           4
        .value_kind:     by_value
      - .offset:         112
        .size:           4
        .value_kind:     by_value
      - .offset:         116
        .size:           4
        .value_kind:     by_value
      - .offset:         120
        .size:           4
        .value_kind:     by_value
      - .offset:         124
        .size:           4
        .value_kind:     by_value
      - .offset:         128
        .size:           4
        .value_kind:     by_value
      - .offset:         132
        .size:           4
        .value_kind:     by_value
      - .offset:         136
        .size:           4
        .value_kind:     by_value
      - .offset:         140
        .size:           4
        .value_kind:     by_value
      - .offset:         144
        .size:           4
        .value_kind:     by_value
      - .offset:         152
        .size:           8
        .value_kind:     by_value
      - .offset:         160
        .size:           4
        .value_kind:     by_value
      - .offset:         164
        .size:           4
        .value_kind:     by_value
      - .offset:         168
        .size:           8
        .value_kind:     by_value
      - .offset:         176
        .size:           4
        .value_kind:     by_value
      - .offset:         180
        .size:           4
        .value_kind:     by_value
      - .offset:         184
        .size:           4
        .value_kind:     by_value
      - .offset:         188
        .size:           4
        .value_kind:     by_value
      - .offset:         192
        .size:           4
        .value_kind:     by_value
      - .offset:         200
        .size:           8
        .value_kind:     by_value
      - .offset:         208
        .size:           4
        .value_kind:     hidden_block_count_x
      - .offset:         212
        .size:           4
        .value_kind:     hidden_block_count_y
      - .offset:         216
        .size:           4
        .value_kind:     hidden_block_count_z
      - .offset:         220
        .size:           2
        .value_kind:     hidden_group_size_x
      - .offset:         222
        .size:           2
        .value_kind:     hidden_group_size_y
      - .offset:         224
        .size:           2
        .value_kind:     hidden_group_size_z
      - .offset:         226
        .size:           2
        .value_kind:     hidden_remainder_x
      - .offset:         228
        .size:           2
        .value_kind:     hidden_remainder_y
      - .offset:         230
        .size:           2
        .value_kind:     hidden_remainder_z
      - .offset:         248
        .size:           8
        .value_kind:     hidden_global_offset_x
      - .offset:         256
        .size:           8
        .value_kind:     hidden_global_offset_y
      - .offset:         264
        .size:           8
        .value_kind:     hidden_global_offset_z
      - .offset:         272
        .size:           2
        .value_kind:     hidden_grid_dims
    .group_segment_fixed_size: 33792
    .kernarg_segment_align: 8
    .kernarg_segment_size: 464
    .language:       OpenCL C
    .language_version:
      - 2
      - 0
    .max_flat_workgroup_size: 256
    .name:           _ZL15flash_attn_tileILi128ELi128ELi64ELi1ELb1EEvPKcS1_S1_S1_S1_PKiPfP15HIP_vector_typeIfLj2EEffffjfiS5_IjLj3EEiiiiiiiiiiiliiliiiiil
    .private_segment_fixed_size: 32
    .sgpr_count:     50
    .sgpr_spill_count: 0
    .symbol:         _ZL15flash_attn_tileILi128ELi128ELi64ELi1ELb1EEvPKcS1_S1_S1_S1_PKiPfP15HIP_vector_typeIfLj2EEffffjfiS5_IjLj3EEiiiiiiiiiiiliiliiiiil.kd
    .uniform_work_group_size: 1
    .uses_dynamic_stack: false
    .vgpr_count:     156
    .vgpr_spill_count: 0
    .wavefront_size: 32
  - .args:
      - .address_space:  global
        .offset:         0
        .size:           8
        .value_kind:     global_buffer
      - .address_space:  global
        .offset:         8
        .size:           8
        .value_kind:     global_buffer
      - .address_space:  global
        .offset:         16
        .size:           8
        .value_kind:     global_buffer
      - .address_space:  global
        .offset:         24
        .size:           8
        .value_kind:     global_buffer
      - .address_space:  global
        .offset:         32
        .size:           8
        .value_kind:     global_buffer
      - .address_space:  global
        .offset:         40
        .size:           8
        .value_kind:     global_buffer
      - .address_space:  global
        .offset:         48
        .size:           8
        .value_kind:     global_buffer
      - .address_space:  global
        .offset:         56
        .size:           8
        .value_kind:     global_buffer
      - .offset:         64
        .size:           4
        .value_kind:     by_value
      - .offset:         68
        .size:           4
        .value_kind:     by_value
      - .offset:         72
        .size:           4
        .value_kind:     by_value
      - .offset:         76
        .size:           4
        .value_kind:     by_value
      - .offset:         80
        .size:           4
        .value_kind:     by_value
      - .offset:         84
        .size:           4
        .value_kind:     by_value
      - .offset:         88
        .size:           4
        .value_kind:     by_value
      - .offset:         92
        .size:           12
        .value_kind:     by_value
      - .offset:         104
        .size:           4
        .value_kind:     by_value
      - .offset:         108
        .size:           4
        .value_kind:     by_value
      - .offset:         112
        .size:           4
        .value_kind:     by_value
      - .offset:         116
        .size:           4
        .value_kind:     by_value
      - .offset:         120
        .size:           4
        .value_kind:     by_value
      - .offset:         124
        .size:           4
        .value_kind:     by_value
      - .offset:         128
        .size:           4
        .value_kind:     by_value
      - .offset:         132
        .size:           4
        .value_kind:     by_value
      - .offset:         136
        .size:           4
        .value_kind:     by_value
      - .offset:         140
        .size:           4
        .value_kind:     by_value
      - .offset:         144
        .size:           4
        .value_kind:     by_value
      - .offset:         152
        .size:           8
        .value_kind:     by_value
      - .offset:         160
        .size:           4
        .value_kind:     by_value
      - .offset:         164
        .size:           4
        .value_kind:     by_value
      - .offset:         168
        .size:           8
        .value_kind:     by_value
      - .offset:         176
        .size:           4
        .value_kind:     by_value
      - .offset:         180
        .size:           4
        .value_kind:     by_value
      - .offset:         184
        .size:           4
        .value_kind:     by_value
      - .offset:         188
        .size:           4
        .value_kind:     by_value
      - .offset:         192
        .size:           4
        .value_kind:     by_value
      - .offset:         200
        .size:           8
        .value_kind:     by_value
      - .offset:         208
        .size:           4
        .value_kind:     hidden_block_count_x
      - .offset:         212
        .size:           4
        .value_kind:     hidden_block_count_y
      - .offset:         216
        .size:           4
        .value_kind:     hidden_block_count_z
      - .offset:         220
        .size:           2
        .value_kind:     hidden_group_size_x
      - .offset:         222
        .size:           2
        .value_kind:     hidden_group_size_y
      - .offset:         224
        .size:           2
        .value_kind:     hidden_group_size_z
      - .offset:         226
        .size:           2
        .value_kind:     hidden_remainder_x
      - .offset:         228
        .size:           2
        .value_kind:     hidden_remainder_y
      - .offset:         230
        .size:           2
        .value_kind:     hidden_remainder_z
      - .offset:         248
        .size:           8
        .value_kind:     hidden_global_offset_x
      - .offset:         256
        .size:           8
        .value_kind:     hidden_global_offset_y
      - .offset:         264
        .size:           8
        .value_kind:     hidden_global_offset_z
      - .offset:         272
        .size:           2
        .value_kind:     hidden_grid_dims
    .group_segment_fixed_size: 34816
    .kernarg_segment_align: 8
    .kernarg_segment_size: 464
    .language:       OpenCL C
    .language_version:
      - 2
      - 0
    .max_flat_workgroup_size: 256
    .name:           _ZL15flash_attn_tileILi128ELi128ELi32ELi1ELb1EEvPKcS1_S1_S1_S1_PKiPfP15HIP_vector_typeIfLj2EEffffjfiS5_IjLj3EEiiiiiiiiiiiliiliiiiil
    .private_segment_fixed_size: 32
    .sgpr_count:     50
    .sgpr_spill_count: 0
    .symbol:         _ZL15flash_attn_tileILi128ELi128ELi32ELi1ELb1EEvPKcS1_S1_S1_S1_PKiPfP15HIP_vector_typeIfLj2EEffffjfiS5_IjLj3EEiiiiiiiiiiiliiliiiiil.kd
    .uniform_work_group_size: 1
    .uses_dynamic_stack: false
    .vgpr_count:     132
    .vgpr_spill_count: 0
    .wavefront_size: 32
  - .args:
      - .address_space:  global
        .offset:         0
        .size:           8
        .value_kind:     global_buffer
      - .address_space:  global
        .offset:         8
        .size:           8
        .value_kind:     global_buffer
      - .address_space:  global
        .offset:         16
        .size:           8
        .value_kind:     global_buffer
      - .address_space:  global
        .offset:         24
        .size:           8
        .value_kind:     global_buffer
      - .address_space:  global
        .offset:         32
        .size:           8
        .value_kind:     global_buffer
      - .address_space:  global
        .offset:         40
        .size:           8
        .value_kind:     global_buffer
      - .address_space:  global
        .offset:         48
        .size:           8
        .value_kind:     global_buffer
      - .address_space:  global
        .offset:         56
        .size:           8
        .value_kind:     global_buffer
      - .offset:         64
        .size:           4
        .value_kind:     by_value
      - .offset:         68
        .size:           4
        .value_kind:     by_value
      - .offset:         72
        .size:           4
        .value_kind:     by_value
      - .offset:         76
        .size:           4
        .value_kind:     by_value
      - .offset:         80
        .size:           4
        .value_kind:     by_value
      - .offset:         84
        .size:           4
        .value_kind:     by_value
      - .offset:         88
        .size:           4
        .value_kind:     by_value
      - .offset:         92
        .size:           12
        .value_kind:     by_value
      - .offset:         104
        .size:           4
        .value_kind:     by_value
      - .offset:         108
        .size:           4
        .value_kind:     by_value
      - .offset:         112
        .size:           4
        .value_kind:     by_value
      - .offset:         116
        .size:           4
        .value_kind:     by_value
      - .offset:         120
        .size:           4
        .value_kind:     by_value
      - .offset:         124
        .size:           4
        .value_kind:     by_value
      - .offset:         128
        .size:           4
        .value_kind:     by_value
      - .offset:         132
        .size:           4
        .value_kind:     by_value
      - .offset:         136
        .size:           4
        .value_kind:     by_value
      - .offset:         140
        .size:           4
        .value_kind:     by_value
      - .offset:         144
        .size:           4
        .value_kind:     by_value
      - .offset:         152
        .size:           8
        .value_kind:     by_value
      - .offset:         160
        .size:           4
        .value_kind:     by_value
      - .offset:         164
        .size:           4
        .value_kind:     by_value
      - .offset:         168
        .size:           8
        .value_kind:     by_value
      - .offset:         176
        .size:           4
        .value_kind:     by_value
      - .offset:         180
        .size:           4
        .value_kind:     by_value
      - .offset:         184
        .size:           4
        .value_kind:     by_value
      - .offset:         188
        .size:           4
        .value_kind:     by_value
      - .offset:         192
        .size:           4
        .value_kind:     by_value
      - .offset:         200
        .size:           8
        .value_kind:     by_value
      - .offset:         208
        .size:           4
        .value_kind:     hidden_block_count_x
      - .offset:         212
        .size:           4
        .value_kind:     hidden_block_count_y
      - .offset:         216
        .size:           4
        .value_kind:     hidden_block_count_z
      - .offset:         220
        .size:           2
        .value_kind:     hidden_group_size_x
      - .offset:         222
        .size:           2
        .value_kind:     hidden_group_size_y
      - .offset:         224
        .size:           2
        .value_kind:     hidden_group_size_z
      - .offset:         226
        .size:           2
        .value_kind:     hidden_remainder_x
      - .offset:         228
        .size:           2
        .value_kind:     hidden_remainder_y
      - .offset:         230
        .size:           2
        .value_kind:     hidden_remainder_z
      - .offset:         248
        .size:           8
        .value_kind:     hidden_global_offset_x
      - .offset:         256
        .size:           8
        .value_kind:     hidden_global_offset_y
      - .offset:         264
        .size:           8
        .value_kind:     hidden_global_offset_z
      - .offset:         272
        .size:           2
        .value_kind:     hidden_grid_dims
    .group_segment_fixed_size: 43008
    .kernarg_segment_align: 8
    .kernarg_segment_size: 464
    .language:       OpenCL C
    .language_version:
      - 2
      - 0
    .max_flat_workgroup_size: 256
    .name:           _ZL15flash_attn_tileILi128ELi128ELi16ELi1ELb1EEvPKcS1_S1_S1_S1_PKiPfP15HIP_vector_typeIfLj2EEffffjfiS5_IjLj3EEiiiiiiiiiiiliiliiiiil
    .private_segment_fixed_size: 32
    .sgpr_count:     50
    .sgpr_spill_count: 0
    .symbol:         _ZL15flash_attn_tileILi128ELi128ELi16ELi1ELb1EEvPKcS1_S1_S1_S1_PKiPfP15HIP_vector_typeIfLj2EEffffjfiS5_IjLj3EEiiiiiiiiiiiliiliiiiil.kd
    .uniform_work_group_size: 1
    .uses_dynamic_stack: false
    .vgpr_count:     183
    .vgpr_spill_count: 0
    .wavefront_size: 32
  - .args:
      - .address_space:  global
        .offset:         0
        .size:           8
        .value_kind:     global_buffer
      - .address_space:  global
        .offset:         8
        .size:           8
        .value_kind:     global_buffer
      - .address_space:  global
        .offset:         16
        .size:           8
        .value_kind:     global_buffer
      - .address_space:  global
        .offset:         24
        .size:           8
        .value_kind:     global_buffer
      - .address_space:  global
        .offset:         32
        .size:           8
        .value_kind:     global_buffer
      - .address_space:  global
        .offset:         40
        .size:           8
        .value_kind:     global_buffer
      - .address_space:  global
        .offset:         48
        .size:           8
        .value_kind:     global_buffer
      - .address_space:  global
        .offset:         56
        .size:           8
        .value_kind:     global_buffer
      - .offset:         64
        .size:           4
        .value_kind:     by_value
      - .offset:         68
        .size:           4
        .value_kind:     by_value
      - .offset:         72
        .size:           4
        .value_kind:     by_value
      - .offset:         76
        .size:           4
        .value_kind:     by_value
      - .offset:         80
        .size:           4
        .value_kind:     by_value
      - .offset:         84
        .size:           4
        .value_kind:     by_value
      - .offset:         88
        .size:           4
        .value_kind:     by_value
      - .offset:         92
        .size:           12
        .value_kind:     by_value
      - .offset:         104
        .size:           4
        .value_kind:     by_value
      - .offset:         108
        .size:           4
        .value_kind:     by_value
      - .offset:         112
        .size:           4
        .value_kind:     by_value
      - .offset:         116
        .size:           4
        .value_kind:     by_value
      - .offset:         120
        .size:           4
        .value_kind:     by_value
      - .offset:         124
        .size:           4
        .value_kind:     by_value
      - .offset:         128
        .size:           4
        .value_kind:     by_value
      - .offset:         132
        .size:           4
        .value_kind:     by_value
      - .offset:         136
        .size:           4
        .value_kind:     by_value
      - .offset:         140
        .size:           4
        .value_kind:     by_value
      - .offset:         144
        .size:           4
        .value_kind:     by_value
      - .offset:         152
        .size:           8
        .value_kind:     by_value
      - .offset:         160
        .size:           4
        .value_kind:     by_value
      - .offset:         164
        .size:           4
        .value_kind:     by_value
      - .offset:         168
        .size:           8
        .value_kind:     by_value
      - .offset:         176
        .size:           4
        .value_kind:     by_value
      - .offset:         180
        .size:           4
        .value_kind:     by_value
      - .offset:         184
        .size:           4
        .value_kind:     by_value
      - .offset:         188
        .size:           4
        .value_kind:     by_value
      - .offset:         192
        .size:           4
        .value_kind:     by_value
      - .offset:         200
        .size:           8
        .value_kind:     by_value
      - .offset:         208
        .size:           4
        .value_kind:     hidden_block_count_x
      - .offset:         212
        .size:           4
        .value_kind:     hidden_block_count_y
      - .offset:         216
        .size:           4
        .value_kind:     hidden_block_count_z
      - .offset:         220
        .size:           2
        .value_kind:     hidden_group_size_x
      - .offset:         222
        .size:           2
        .value_kind:     hidden_group_size_y
      - .offset:         224
        .size:           2
        .value_kind:     hidden_group_size_z
      - .offset:         226
        .size:           2
        .value_kind:     hidden_remainder_x
      - .offset:         228
        .size:           2
        .value_kind:     hidden_remainder_y
      - .offset:         230
        .size:           2
        .value_kind:     hidden_remainder_z
      - .offset:         248
        .size:           8
        .value_kind:     hidden_global_offset_x
      - .offset:         256
        .size:           8
        .value_kind:     hidden_global_offset_y
      - .offset:         264
        .size:           8
        .value_kind:     hidden_global_offset_z
      - .offset:         272
        .size:           2
        .value_kind:     hidden_grid_dims
    .group_segment_fixed_size: 12288
    .kernarg_segment_align: 8
    .kernarg_segment_size: 464
    .language:       OpenCL C
    .language_version:
      - 2
      - 0
    .max_flat_workgroup_size: 128
    .name:           _ZL15flash_attn_tileILi128ELi128ELi8ELi1ELb1EEvPKcS1_S1_S1_S1_PKiPfP15HIP_vector_typeIfLj2EEffffjfiS5_IjLj3EEiiiiiiiiiiiliiliiiiil
    .private_segment_fixed_size: 32
    .sgpr_count:     50
    .sgpr_spill_count: 0
    .symbol:         _ZL15flash_attn_tileILi128ELi128ELi8ELi1ELb1EEvPKcS1_S1_S1_S1_PKiPfP15HIP_vector_typeIfLj2EEffffjfiS5_IjLj3EEiiiiiiiiiiiliiliiiiil.kd
    .uniform_work_group_size: 1
    .uses_dynamic_stack: false
    .vgpr_count:     128
    .vgpr_spill_count: 2
    .wavefront_size: 32
  - .args:
      - .address_space:  global
        .offset:         0
        .size:           8
        .value_kind:     global_buffer
      - .address_space:  global
        .offset:         8
        .size:           8
        .value_kind:     global_buffer
      - .address_space:  global
        .offset:         16
        .size:           8
        .value_kind:     global_buffer
      - .address_space:  global
        .offset:         24
        .size:           8
        .value_kind:     global_buffer
      - .address_space:  global
        .offset:         32
        .size:           8
        .value_kind:     global_buffer
      - .address_space:  global
        .offset:         40
        .size:           8
        .value_kind:     global_buffer
      - .address_space:  global
        .offset:         48
        .size:           8
        .value_kind:     global_buffer
      - .address_space:  global
        .offset:         56
        .size:           8
        .value_kind:     global_buffer
      - .offset:         64
        .size:           4
        .value_kind:     by_value
      - .offset:         68
        .size:           4
        .value_kind:     by_value
      - .offset:         72
        .size:           4
        .value_kind:     by_value
      - .offset:         76
        .size:           4
        .value_kind:     by_value
      - .offset:         80
        .size:           4
        .value_kind:     by_value
      - .offset:         84
        .size:           4
        .value_kind:     by_value
      - .offset:         88
        .size:           4
        .value_kind:     by_value
      - .offset:         92
        .size:           12
        .value_kind:     by_value
      - .offset:         104
        .size:           4
        .value_kind:     by_value
      - .offset:         108
        .size:           4
        .value_kind:     by_value
      - .offset:         112
        .size:           4
        .value_kind:     by_value
      - .offset:         116
        .size:           4
        .value_kind:     by_value
      - .offset:         120
        .size:           4
        .value_kind:     by_value
      - .offset:         124
        .size:           4
        .value_kind:     by_value
      - .offset:         128
        .size:           4
        .value_kind:     by_value
      - .offset:         132
        .size:           4
        .value_kind:     by_value
      - .offset:         136
        .size:           4
        .value_kind:     by_value
      - .offset:         140
        .size:           4
        .value_kind:     by_value
      - .offset:         144
        .size:           4
        .value_kind:     by_value
      - .offset:         152
        .size:           8
        .value_kind:     by_value
      - .offset:         160
        .size:           4
        .value_kind:     by_value
      - .offset:         164
        .size:           4
        .value_kind:     by_value
      - .offset:         168
        .size:           8
        .value_kind:     by_value
      - .offset:         176
        .size:           4
        .value_kind:     by_value
      - .offset:         180
        .size:           4
        .value_kind:     by_value
      - .offset:         184
        .size:           4
        .value_kind:     by_value
      - .offset:         188
        .size:           4
        .value_kind:     by_value
      - .offset:         192
        .size:           4
        .value_kind:     by_value
      - .offset:         200
        .size:           8
        .value_kind:     by_value
      - .offset:         208
        .size:           4
        .value_kind:     hidden_block_count_x
      - .offset:         212
        .size:           4
        .value_kind:     hidden_block_count_y
      - .offset:         216
        .size:           4
        .value_kind:     hidden_block_count_z
      - .offset:         220
        .size:           2
        .value_kind:     hidden_group_size_x
      - .offset:         222
        .size:           2
        .value_kind:     hidden_group_size_y
      - .offset:         224
        .size:           2
        .value_kind:     hidden_group_size_z
      - .offset:         226
        .size:           2
        .value_kind:     hidden_remainder_x
      - .offset:         228
        .size:           2
        .value_kind:     hidden_remainder_y
      - .offset:         230
        .size:           2
        .value_kind:     hidden_remainder_z
      - .offset:         248
        .size:           8
        .value_kind:     hidden_global_offset_x
      - .offset:         256
        .size:           8
        .value_kind:     hidden_global_offset_y
      - .offset:         264
        .size:           8
        .value_kind:     hidden_global_offset_z
      - .offset:         272
        .size:           2
        .value_kind:     hidden_grid_dims
    .group_segment_fixed_size: 10752
    .kernarg_segment_align: 8
    .kernarg_segment_size: 464
    .language:       OpenCL C
    .language_version:
      - 2
      - 0
    .max_flat_workgroup_size: 128
    .name:           _ZL15flash_attn_tileILi128ELi128ELi4ELi1ELb1EEvPKcS1_S1_S1_S1_PKiPfP15HIP_vector_typeIfLj2EEffffjfiS5_IjLj3EEiiiiiiiiiiiliiliiiiil
    .private_segment_fixed_size: 32
    .sgpr_count:     50
    .sgpr_spill_count: 0
    .symbol:         _ZL15flash_attn_tileILi128ELi128ELi4ELi1ELb1EEvPKcS1_S1_S1_S1_PKiPfP15HIP_vector_typeIfLj2EEffffjfiS5_IjLj3EEiiiiiiiiiiiliiliiiiil.kd
    .uniform_work_group_size: 1
    .uses_dynamic_stack: false
    .vgpr_count:     126
    .vgpr_spill_count: 0
    .wavefront_size: 32
  - .args:
      - .address_space:  global
        .offset:         0
        .size:           8
        .value_kind:     global_buffer
      - .address_space:  global
        .offset:         8
        .size:           8
        .value_kind:     global_buffer
      - .address_space:  global
        .offset:         16
        .size:           8
        .value_kind:     global_buffer
      - .address_space:  global
        .offset:         24
        .size:           8
        .value_kind:     global_buffer
      - .address_space:  global
        .offset:         32
        .size:           8
        .value_kind:     global_buffer
      - .address_space:  global
        .offset:         40
        .size:           8
        .value_kind:     global_buffer
      - .address_space:  global
        .offset:         48
        .size:           8
        .value_kind:     global_buffer
      - .address_space:  global
        .offset:         56
        .size:           8
        .value_kind:     global_buffer
      - .offset:         64
        .size:           4
        .value_kind:     by_value
      - .offset:         68
        .size:           4
        .value_kind:     by_value
      - .offset:         72
        .size:           4
        .value_kind:     by_value
      - .offset:         76
        .size:           4
        .value_kind:     by_value
      - .offset:         80
        .size:           4
        .value_kind:     by_value
      - .offset:         84
        .size:           4
        .value_kind:     by_value
      - .offset:         88
        .size:           4
        .value_kind:     by_value
      - .offset:         92
        .size:           12
        .value_kind:     by_value
      - .offset:         104
        .size:           4
        .value_kind:     by_value
      - .offset:         108
        .size:           4
        .value_kind:     by_value
      - .offset:         112
        .size:           4
        .value_kind:     by_value
      - .offset:         116
        .size:           4
        .value_kind:     by_value
      - .offset:         120
        .size:           4
        .value_kind:     by_value
      - .offset:         124
        .size:           4
        .value_kind:     by_value
      - .offset:         128
        .size:           4
        .value_kind:     by_value
      - .offset:         132
        .size:           4
        .value_kind:     by_value
      - .offset:         136
        .size:           4
        .value_kind:     by_value
      - .offset:         140
        .size:           4
        .value_kind:     by_value
      - .offset:         144
        .size:           4
        .value_kind:     by_value
      - .offset:         152
        .size:           8
        .value_kind:     by_value
      - .offset:         160
        .size:           4
        .value_kind:     by_value
      - .offset:         164
        .size:           4
        .value_kind:     by_value
      - .offset:         168
        .size:           8
        .value_kind:     by_value
      - .offset:         176
        .size:           4
        .value_kind:     by_value
      - .offset:         180
        .size:           4
        .value_kind:     by_value
      - .offset:         184
        .size:           4
        .value_kind:     by_value
      - .offset:         188
        .size:           4
        .value_kind:     by_value
      - .offset:         192
        .size:           4
        .value_kind:     by_value
      - .offset:         200
        .size:           8
        .value_kind:     by_value
      - .offset:         208
        .size:           4
        .value_kind:     hidden_block_count_x
      - .offset:         212
        .size:           4
        .value_kind:     hidden_block_count_y
      - .offset:         216
        .size:           4
        .value_kind:     hidden_block_count_z
      - .offset:         220
        .size:           2
        .value_kind:     hidden_group_size_x
      - .offset:         222
        .size:           2
        .value_kind:     hidden_group_size_y
      - .offset:         224
        .size:           2
        .value_kind:     hidden_group_size_z
      - .offset:         226
        .size:           2
        .value_kind:     hidden_remainder_x
      - .offset:         228
        .size:           2
        .value_kind:     hidden_remainder_y
      - .offset:         230
        .size:           2
        .value_kind:     hidden_remainder_z
      - .offset:         248
        .size:           8
        .value_kind:     hidden_global_offset_x
      - .offset:         256
        .size:           8
        .value_kind:     hidden_global_offset_y
      - .offset:         264
        .size:           8
        .value_kind:     hidden_global_offset_z
      - .offset:         272
        .size:           2
        .value_kind:     hidden_grid_dims
    .group_segment_fixed_size: 5248
    .kernarg_segment_align: 8
    .kernarg_segment_size: 464
    .language:       OpenCL C
    .language_version:
      - 2
      - 0
    .max_flat_workgroup_size: 64
    .name:           _ZL15flash_attn_tileILi128ELi128ELi2ELi1ELb1EEvPKcS1_S1_S1_S1_PKiPfP15HIP_vector_typeIfLj2EEffffjfiS5_IjLj3EEiiiiiiiiiiiliiliiiiil
    .private_segment_fixed_size: 32
    .sgpr_count:     50
    .sgpr_spill_count: 0
    .symbol:         _ZL15flash_attn_tileILi128ELi128ELi2ELi1ELb1EEvPKcS1_S1_S1_S1_PKiPfP15HIP_vector_typeIfLj2EEffffjfiS5_IjLj3EEiiiiiiiiiiiliiliiiiil.kd
    .uniform_work_group_size: 1
    .uses_dynamic_stack: false
    .vgpr_count:     112
    .vgpr_spill_count: 0
    .wavefront_size: 32
amdhsa.target:   amdgcn-amd-amdhsa--gfx1250
amdhsa.version:
  - 1
  - 2
...

	.end_amdgpu_metadata
